;; amdgpu-corpus repo=ROCm/aiter kind=compiled arch=gfx90a opt=O3
	.text
	.amdgcn_target "amdgcn-amd-amdhsa--gfx90a"
	.amdhsa_code_object_version 6
	.section	.text._ZN7ck_tileL11flush_cacheEv,"axG",@progbits,_ZN7ck_tileL11flush_cacheEv,comdat
	.globl	_ZN7ck_tileL11flush_cacheEv     ; -- Begin function _ZN7ck_tileL11flush_cacheEv
	.p2align	8
	.type	_ZN7ck_tileL11flush_cacheEv,@function
_ZN7ck_tileL11flush_cacheEv:            ; @_ZN7ck_tileL11flush_cacheEv
; %bb.0:
	;;#ASMSTART
	s_icache_inv 
	s_nop 0 
	s_nop 0 
	;; [unrolled: 1-line block ×16, first 2 shown]
	
	;;#ASMEND
	s_endpgm
	.section	.rodata,"a",@progbits
	.p2align	6, 0x0
	.amdhsa_kernel _ZN7ck_tileL11flush_cacheEv
		.amdhsa_group_segment_fixed_size 0
		.amdhsa_private_segment_fixed_size 0
		.amdhsa_kernarg_size 0
		.amdhsa_user_sgpr_count 4
		.amdhsa_user_sgpr_private_segment_buffer 1
		.amdhsa_user_sgpr_dispatch_ptr 0
		.amdhsa_user_sgpr_queue_ptr 0
		.amdhsa_user_sgpr_kernarg_segment_ptr 0
		.amdhsa_user_sgpr_dispatch_id 0
		.amdhsa_user_sgpr_flat_scratch_init 0
		.amdhsa_user_sgpr_kernarg_preload_length 0
		.amdhsa_user_sgpr_kernarg_preload_offset 0
		.amdhsa_user_sgpr_private_segment_size 0
		.amdhsa_uses_dynamic_stack 0
		.amdhsa_system_sgpr_private_segment_wavefront_offset 0
		.amdhsa_system_sgpr_workgroup_id_x 1
		.amdhsa_system_sgpr_workgroup_id_y 0
		.amdhsa_system_sgpr_workgroup_id_z 0
		.amdhsa_system_sgpr_workgroup_info 0
		.amdhsa_system_vgpr_workitem_id 0
		.amdhsa_next_free_vgpr 1
		.amdhsa_next_free_sgpr 0
		.amdhsa_accum_offset 4
		.amdhsa_reserve_vcc 0
		.amdhsa_reserve_flat_scratch 0
		.amdhsa_float_round_mode_32 0
		.amdhsa_float_round_mode_16_64 0
		.amdhsa_float_denorm_mode_32 3
		.amdhsa_float_denorm_mode_16_64 3
		.amdhsa_dx10_clamp 1
		.amdhsa_ieee_mode 1
		.amdhsa_fp16_overflow 0
		.amdhsa_tg_split 0
		.amdhsa_exception_fp_ieee_invalid_op 0
		.amdhsa_exception_fp_denorm_src 0
		.amdhsa_exception_fp_ieee_div_zero 0
		.amdhsa_exception_fp_ieee_overflow 0
		.amdhsa_exception_fp_ieee_underflow 0
		.amdhsa_exception_fp_ieee_inexact 0
		.amdhsa_exception_int_div_zero 0
	.end_amdhsa_kernel
	.section	.text._ZN7ck_tileL11flush_cacheEv,"axG",@progbits,_ZN7ck_tileL11flush_cacheEv,comdat
.Lfunc_end0:
	.size	_ZN7ck_tileL11flush_cacheEv, .Lfunc_end0-_ZN7ck_tileL11flush_cacheEv
                                        ; -- End function
	.section	.AMDGPU.csdata,"",@progbits
; Kernel info:
; codeLenInByte = 140
; NumSgprs: 4
; NumVgprs: 0
; NumAgprs: 0
; TotalNumVgprs: 0
; ScratchSize: 0
; MemoryBound: 0
; FloatMode: 240
; IeeeMode: 1
; LDSByteSize: 0 bytes/workgroup (compile time only)
; SGPRBlocks: 0
; VGPRBlocks: 0
; NumSGPRsForWavesPerEU: 4
; NumVGPRsForWavesPerEU: 1
; AccumOffset: 4
; Occupancy: 8
; WaveLimiterHint : 0
; COMPUTE_PGM_RSRC2:SCRATCH_EN: 0
; COMPUTE_PGM_RSRC2:USER_SGPR: 4
; COMPUTE_PGM_RSRC2:TRAP_HANDLER: 0
; COMPUTE_PGM_RSRC2:TGID_X_EN: 1
; COMPUTE_PGM_RSRC2:TGID_Y_EN: 0
; COMPUTE_PGM_RSRC2:TGID_Z_EN: 0
; COMPUTE_PGM_RSRC2:TIDIG_COMP_CNT: 0
; COMPUTE_PGM_RSRC3_GFX90A:ACCUM_OFFSET: 0
; COMPUTE_PGM_RSRC3_GFX90A:TG_SPLIT: 0
	.section	.text._ZN4vllm3moe17topkGatingSoftmaxIfLi1ELi1ELi8ELi4ELb1ELi0ELNS0_23SharedExpertScoringFuncE0EEEvPKT_PKbPfiPiS9_iiiiii,"axG",@progbits,_ZN4vllm3moe17topkGatingSoftmaxIfLi1ELi1ELi8ELi4ELb1ELi0ELNS0_23SharedExpertScoringFuncE0EEEvPKT_PKbPfiPiS9_iiiiii,comdat
	.protected	_ZN4vllm3moe17topkGatingSoftmaxIfLi1ELi1ELi8ELi4ELb1ELi0ELNS0_23SharedExpertScoringFuncE0EEEvPKT_PKbPfiPiS9_iiiiii ; -- Begin function _ZN4vllm3moe17topkGatingSoftmaxIfLi1ELi1ELi8ELi4ELb1ELi0ELNS0_23SharedExpertScoringFuncE0EEEvPKT_PKbPfiPiS9_iiiiii
	.globl	_ZN4vllm3moe17topkGatingSoftmaxIfLi1ELi1ELi8ELi4ELb1ELi0ELNS0_23SharedExpertScoringFuncE0EEEvPKT_PKbPfiPiS9_iiiiii
	.p2align	8
	.type	_ZN4vllm3moe17topkGatingSoftmaxIfLi1ELi1ELi8ELi4ELb1ELi0ELNS0_23SharedExpertScoringFuncE0EEEvPKT_PKbPfiPiS9_iiiiii,@function
_ZN4vllm3moe17topkGatingSoftmaxIfLi1ELi1ELi8ELi4ELb1ELi0ELNS0_23SharedExpertScoringFuncE0EEEvPKT_PKbPfiPiS9_iiiiii: ; @_ZN4vllm3moe17topkGatingSoftmaxIfLi1ELi1ELi8ELi4ELb1ELi0ELNS0_23SharedExpertScoringFuncE0EEEvPKT_PKbPfiPiS9_iiiiii
; %bb.0:
	s_load_dword s16, s[4:5], 0x18
	v_bfe_u32 v1, v0, 10, 10
	s_lshl_b32 s17, s6, 9
	v_lshlrev_b32_e32 v9, 6, v1
	v_and_b32_e32 v10, 0x3ff, v0
	v_add3_u32 v8, v9, v10, s17
	s_waitcnt lgkmcnt(0)
	v_cmp_gt_i32_e32 vcc, s16, v8
	s_and_saveexec_b64 s[0:1], vcc
	s_cbranch_execz .LBB1_20
; %bb.1:
	s_load_dwordx4 s[0:3], s[4:5], 0x0
	s_load_dwordx2 s[12:13], s[4:5], 0x10
	s_waitcnt lgkmcnt(0)
	s_cmp_eq_u64 s[2:3], 0
	s_cbranch_scc1 .LBB1_3
; %bb.2:
	v_ashrrev_i32_e32 v1, 31, v8
	v_mov_b32_e32 v2, s3
	v_add_co_u32_e32 v0, vcc, s2, v8
	v_addc_co_u32_e32 v1, vcc, v2, v1, vcc
	global_load_ubyte v0, v[0:1], off
	s_waitcnt vmcnt(0)
	v_and_b32_e32 v0, 1, v0
	v_cmp_eq_u32_e32 vcc, 1, v0
	s_xor_b64 s[2:3], vcc, -1
	s_orn2_b64 s[14:15], s[2:3], exec
	s_branch .LBB1_4
.LBB1_3:
	s_mov_b64 s[14:15], -1
.LBB1_4:
	s_load_dwordx4 s[8:11], s[4:5], 0x30
	s_waitcnt lgkmcnt(0)
	s_cmp_gt_i32 s8, 0
	s_cselect_b64 s[2:3], -1, 0
	s_cmp_lt_i32 s8, 1
	s_cbranch_scc1 .LBB1_9
; %bb.5:
	s_load_dwordx2 s[22:23], s[4:5], 0x40
	v_mov_b32_e32 v2, s1
	s_load_dwordx4 s[4:7], s[4:5], 0x20
	s_cmp_lt_i32 s9, 1
	v_mov_b32_e32 v6, s13
	s_waitcnt lgkmcnt(0)
	v_mul_lo_u32 v0, v8, s23
	v_ashrrev_i32_e32 v1, 31, v0
	v_lshlrev_b64 v[0:1], 2, v[0:1]
	v_add_co_u32_e32 v0, vcc, s0, v0
	v_addc_co_u32_e32 v1, vcc, v2, v1, vcc
	global_load_dword v13, v[0:1], off
	v_mul_lo_u32 v0, v8, s11
	v_mul_lo_u32 v2, v8, s8
	v_ashrrev_i32_e32 v1, 31, v0
	s_cselect_b64 s[0:1], -1, 0
	s_cmp_gt_i32 s10, 0
	v_ashrrev_i32_e32 v3, 31, v2
	v_lshlrev_b64 v[0:1], 2, v[0:1]
	s_cselect_b64 s[24:25], -1, 0
	v_lshlrev_b64 v[4:5], 2, v[2:3]
	v_add_co_u32_e32 v2, vcc, s12, v0
	s_sub_i32 s9, 0, s9
	s_and_b64 s[24:25], s[0:1], s[24:25]
	v_addc_co_u32_e64 v3, s[0:1], v6, v1, vcc
	v_mov_b32_e32 v0, s9
	s_and_b64 s[0:1], s[14:15], s[24:25]
	v_cndmask_b32_e64 v12, 1, v0, s[0:1]
	v_mov_b32_e32 v11, s7
	v_add_co_u32_e64 v16, s[0:1], s6, v4
	v_addc_co_u32_e64 v17, s[0:1], v11, v5, s[0:1]
	s_mov_b32 s18, 0x3fb8aa3b
	v_mul_lo_u32 v6, v8, s22
	v_ashrrev_i32_e32 v7, 31, v6
	v_lshlrev_b64 v[6:7], 2, v[6:7]
	v_mov_b32_e32 v0, s5
	s_mov_b32 s19, 0xc2ce8ed0
	s_mov_b32 s20, 0x42b17218
	v_mov_b32_e32 v14, 0x7f800000
	s_cmp_eq_u32 s8, 1
	s_waitcnt vmcnt(0)
	v_sub_f32_e32 v11, v13, v13
	v_mul_f32_e32 v15, 0x3fb8aa3b, v11
	v_fma_f32 v18, v11, s18, -v15
	v_rndne_f32_e32 v19, v15
	v_fmac_f32_e32 v18, 0x32a5705f, v11
	v_sub_f32_e32 v15, v15, v19
	v_add_f32_e32 v15, v15, v18
	v_cvt_i32_f32_e32 v20, v19
	v_exp_f32_e32 v15, v15
	v_add_co_u32_e64 v18, s[0:1], s4, v6
	v_addc_co_u32_e64 v19, s[0:1], v0, v7, s[0:1]
	v_ldexp_f32 v0, v15, v20
	v_cmp_ngt_f32_e64 s[0:1], s19, v11
	v_cndmask_b32_e64 v0, 0, v0, s[0:1]
	v_cmp_nlt_f32_e64 s[0:1], s20, v11
	v_cndmask_b32_e64 v11, v14, v0, s[0:1]
	global_store_dword v[18:19], v12, off
	global_store_dword v[2:3], v11, off
	;; [unrolled: 1-line block ×3, first 2 shown]
	s_cbranch_scc1 .LBB1_8
; %bb.6:
	v_sub_f32_e32 v0, 0xff800000, v13
	v_mul_f32_e32 v3, 0x3fb8aa3b, v0
	v_fma_f32 v13, v0, s18, -v3
	v_rndne_f32_e32 v15, v3
	v_fmac_f32_e32 v13, 0x32a5705f, v0
	v_sub_f32_e32 v3, v3, v15
	v_add_f32_e32 v3, v3, v13
	v_cvt_i32_f32_e32 v13, v15
	v_exp_f32_e32 v3, v3
	v_cmp_ngt_f32_e64 s[0:1], s19, v0
	s_add_i32 s17, s17, s16
	v_ldexp_f32 v3, v3, v13
	v_cndmask_b32_e64 v3, 0, v3, s[0:1]
	v_cmp_nlt_f32_e64 s[0:1], s20, v0
	v_cndmask_b32_e64 v3, v14, v3, s[0:1]
	v_mov_b32_e32 v0, s7
	v_add_co_u32_e64 v4, s[0:1], s6, v4
	v_addc_co_u32_e64 v0, s[0:1], v5, v0, s[0:1]
	v_add_co_u32_e64 v4, s[0:1], 4, v4
	v_addc_co_u32_e64 v5, s[0:1], 0, v0, s[0:1]
	v_mov_b32_e32 v0, s5
	v_add_co_u32_e64 v6, s[0:1], s4, v6
	v_addc_co_u32_e64 v0, s[0:1], v7, v0, s[0:1]
	v_add_co_u32_e64 v6, s[0:1], 4, v6
	v_addc_co_u32_e64 v7, s[0:1], 0, v0, s[0:1]
	v_mov_b32_e32 v0, s13
	v_addc_co_u32_e32 v1, vcc, v1, v0, vcc
	v_add_co_u32_e32 v0, vcc, 4, v2
	v_addc_co_u32_e32 v1, vcc, 0, v1, vcc
	s_add_i32 s0, s8, -1
	v_add3_u32 v2, s17, v10, v9
.LBB1_7:                                ; =>This Inner Loop Header: Depth=1
	global_store_dword v[0:1], v3, off
	global_store_dword v[6:7], v12, off
	;; [unrolled: 1-line block ×3, first 2 shown]
	v_add_co_u32_e32 v4, vcc, 4, v4
	v_addc_co_u32_e32 v5, vcc, 0, v5, vcc
	v_add_co_u32_e32 v6, vcc, 4, v6
	v_addc_co_u32_e32 v7, vcc, 0, v7, vcc
	v_add_co_u32_e32 v0, vcc, 4, v0
	s_add_i32 s0, s0, -1
	v_add_f32_e32 v11, v11, v3
	v_addc_co_u32_e32 v1, vcc, 0, v1, vcc
	s_cmp_eq_u32 s0, 0
	v_add_u32_e32 v2, s16, v2
	s_cbranch_scc0 .LBB1_7
.LBB1_8:
	v_cmp_neq_f32_e32 vcc, 0, v11
	s_and_b64 exec, exec, vcc
	s_cbranch_execnz .LBB1_10
	s_branch .LBB1_20
.LBB1_9:
	v_mov_b32_e32 v11, 0
	v_cmp_neq_f32_e32 vcc, 0, v11
	s_and_b64 exec, exec, vcc
	s_cbranch_execz .LBB1_20
.LBB1_10:
	s_andn2_b64 vcc, exec, s[2:3]
	s_cbranch_vccnz .LBB1_20
; %bb.11:
	v_div_scale_f32 v0, s[0:1], v11, v11, 1.0
	v_rcp_f32_e32 v1, v0
	v_div_scale_f32 v2, vcc, 1.0, v11, 1.0
	s_cmp_gt_u32 s8, 3
	v_fma_f32 v3, -v0, v1, 1.0
	v_fmac_f32_e32 v1, v3, v1
	v_mul_f32_e32 v3, v2, v1
	v_fma_f32 v4, -v0, v3, v2
	v_fmac_f32_e32 v3, v4, v1
	v_fma_f32 v0, -v0, v3, v2
	v_div_fmas_f32 v0, v0, v1, v3
	v_mul_lo_u32 v2, v8, s11
	v_div_fixup_f32 v0, v0, v11, 1.0
	v_ashrrev_i32_e32 v3, 31, v2
	s_cbranch_scc0 .LBB1_15
; %bb.12:
	v_lshlrev_b64 v[4:5], 2, v[2:3]
	v_mov_b32_e32 v6, s13
	v_add_co_u32_e32 v4, vcc, s12, v4
	v_addc_co_u32_e32 v5, vcc, v5, v6, vcc
	s_and_b32 s4, s8, 0x7ffffffc
	v_add_co_u32_e32 v4, vcc, 8, v4
	v_mov_b32_e32 v1, v0
	v_addc_co_u32_e32 v5, vcc, 0, v5, vcc
	s_mov_b32 s0, s4
.LBB1_13:                               ; =>This Inner Loop Header: Depth=1
	global_load_dwordx4 v[6:9], v[4:5], off offset:-8
	s_add_i32 s0, s0, -4
	s_cmp_lg_u32 s0, 0
	s_waitcnt vmcnt(0)
	v_pk_mul_f32 v[6:7], v[0:1], v[6:7]
	v_pk_mul_f32 v[8:9], v[0:1], v[8:9]
	global_store_dwordx4 v[4:5], v[6:9], off offset:-8
	v_add_co_u32_e32 v4, vcc, 16, v4
	v_addc_co_u32_e32 v5, vcc, 0, v5, vcc
	s_cbranch_scc1 .LBB1_13
; %bb.14:
	s_cmp_lg_u32 s4, s8
	s_cselect_b64 s[0:1], -1, 0
	s_branch .LBB1_17
.LBB1_15:
	s_mov_b64 s[0:1], 0
                                        ; implicit-def: $sgpr4
	s_cbranch_execz .LBB1_17
; %bb.16:
	s_mov_b64 s[0:1], -1
	s_mov_b32 s4, 0
.LBB1_17:
	s_andn2_b64 vcc, exec, s[0:1]
	s_cbranch_vccnz .LBB1_20
; %bb.18:
	v_add_co_u32_e32 v2, vcc, s4, v2
	v_addc_co_u32_e32 v3, vcc, 0, v3, vcc
	v_lshlrev_b64 v[2:3], 2, v[2:3]
	v_mov_b32_e32 v1, s13
	v_add_co_u32_e32 v2, vcc, s12, v2
	s_sub_i32 s0, s8, s4
	v_addc_co_u32_e32 v3, vcc, v1, v3, vcc
.LBB1_19:                               ; =>This Inner Loop Header: Depth=1
	global_load_dword v1, v[2:3], off
	s_add_i32 s0, s0, -1
	s_cmp_lg_u32 s0, 0
	s_waitcnt vmcnt(0)
	v_mul_f32_e32 v1, v0, v1
	global_store_dword v[2:3], v1, off
	v_add_co_u32_e32 v2, vcc, 4, v2
	v_addc_co_u32_e32 v3, vcc, 0, v3, vcc
	s_cbranch_scc1 .LBB1_19
.LBB1_20:
	s_endpgm
	.section	.rodata,"a",@progbits
	.p2align	6, 0x0
	.amdhsa_kernel _ZN4vllm3moe17topkGatingSoftmaxIfLi1ELi1ELi8ELi4ELb1ELi0ELNS0_23SharedExpertScoringFuncE0EEEvPKT_PKbPfiPiS9_iiiiii
		.amdhsa_group_segment_fixed_size 0
		.amdhsa_private_segment_fixed_size 0
		.amdhsa_kernarg_size 72
		.amdhsa_user_sgpr_count 6
		.amdhsa_user_sgpr_private_segment_buffer 1
		.amdhsa_user_sgpr_dispatch_ptr 0
		.amdhsa_user_sgpr_queue_ptr 0
		.amdhsa_user_sgpr_kernarg_segment_ptr 1
		.amdhsa_user_sgpr_dispatch_id 0
		.amdhsa_user_sgpr_flat_scratch_init 0
		.amdhsa_user_sgpr_kernarg_preload_length 0
		.amdhsa_user_sgpr_kernarg_preload_offset 0
		.amdhsa_user_sgpr_private_segment_size 0
		.amdhsa_uses_dynamic_stack 0
		.amdhsa_system_sgpr_private_segment_wavefront_offset 0
		.amdhsa_system_sgpr_workgroup_id_x 1
		.amdhsa_system_sgpr_workgroup_id_y 0
		.amdhsa_system_sgpr_workgroup_id_z 0
		.amdhsa_system_sgpr_workgroup_info 0
		.amdhsa_system_vgpr_workitem_id 1
		.amdhsa_next_free_vgpr 21
		.amdhsa_next_free_sgpr 26
		.amdhsa_accum_offset 24
		.amdhsa_reserve_vcc 1
		.amdhsa_reserve_flat_scratch 0
		.amdhsa_float_round_mode_32 0
		.amdhsa_float_round_mode_16_64 0
		.amdhsa_float_denorm_mode_32 3
		.amdhsa_float_denorm_mode_16_64 3
		.amdhsa_dx10_clamp 1
		.amdhsa_ieee_mode 1
		.amdhsa_fp16_overflow 0
		.amdhsa_tg_split 0
		.amdhsa_exception_fp_ieee_invalid_op 0
		.amdhsa_exception_fp_denorm_src 0
		.amdhsa_exception_fp_ieee_div_zero 0
		.amdhsa_exception_fp_ieee_overflow 0
		.amdhsa_exception_fp_ieee_underflow 0
		.amdhsa_exception_fp_ieee_inexact 0
		.amdhsa_exception_int_div_zero 0
	.end_amdhsa_kernel
	.section	.text._ZN4vllm3moe17topkGatingSoftmaxIfLi1ELi1ELi8ELi4ELb1ELi0ELNS0_23SharedExpertScoringFuncE0EEEvPKT_PKbPfiPiS9_iiiiii,"axG",@progbits,_ZN4vllm3moe17topkGatingSoftmaxIfLi1ELi1ELi8ELi4ELb1ELi0ELNS0_23SharedExpertScoringFuncE0EEEvPKT_PKbPfiPiS9_iiiiii,comdat
.Lfunc_end1:
	.size	_ZN4vllm3moe17topkGatingSoftmaxIfLi1ELi1ELi8ELi4ELb1ELi0ELNS0_23SharedExpertScoringFuncE0EEEvPKT_PKbPfiPiS9_iiiiii, .Lfunc_end1-_ZN4vllm3moe17topkGatingSoftmaxIfLi1ELi1ELi8ELi4ELb1ELi0ELNS0_23SharedExpertScoringFuncE0EEEvPKT_PKbPfiPiS9_iiiiii
                                        ; -- End function
	.section	.AMDGPU.csdata,"",@progbits
; Kernel info:
; codeLenInByte = 1148
; NumSgprs: 30
; NumVgprs: 21
; NumAgprs: 0
; TotalNumVgprs: 21
; ScratchSize: 0
; MemoryBound: 0
; FloatMode: 240
; IeeeMode: 1
; LDSByteSize: 0 bytes/workgroup (compile time only)
; SGPRBlocks: 3
; VGPRBlocks: 2
; NumSGPRsForWavesPerEU: 30
; NumVGPRsForWavesPerEU: 21
; AccumOffset: 24
; Occupancy: 8
; WaveLimiterHint : 0
; COMPUTE_PGM_RSRC2:SCRATCH_EN: 0
; COMPUTE_PGM_RSRC2:USER_SGPR: 6
; COMPUTE_PGM_RSRC2:TRAP_HANDLER: 0
; COMPUTE_PGM_RSRC2:TGID_X_EN: 1
; COMPUTE_PGM_RSRC2:TGID_Y_EN: 0
; COMPUTE_PGM_RSRC2:TGID_Z_EN: 0
; COMPUTE_PGM_RSRC2:TIDIG_COMP_CNT: 1
; COMPUTE_PGM_RSRC3_GFX90A:ACCUM_OFFSET: 5
; COMPUTE_PGM_RSRC3_GFX90A:TG_SPLIT: 0
	.section	.text._ZN4vllm3moe17topkGatingSoftmaxIfLi1ELi1ELi8ELi4ELb0ELi0ELNS0_23SharedExpertScoringFuncE0EEEvPKT_PKbPfiPiS9_iiiiii,"axG",@progbits,_ZN4vllm3moe17topkGatingSoftmaxIfLi1ELi1ELi8ELi4ELb0ELi0ELNS0_23SharedExpertScoringFuncE0EEEvPKT_PKbPfiPiS9_iiiiii,comdat
	.protected	_ZN4vllm3moe17topkGatingSoftmaxIfLi1ELi1ELi8ELi4ELb0ELi0ELNS0_23SharedExpertScoringFuncE0EEEvPKT_PKbPfiPiS9_iiiiii ; -- Begin function _ZN4vllm3moe17topkGatingSoftmaxIfLi1ELi1ELi8ELi4ELb0ELi0ELNS0_23SharedExpertScoringFuncE0EEEvPKT_PKbPfiPiS9_iiiiii
	.globl	_ZN4vllm3moe17topkGatingSoftmaxIfLi1ELi1ELi8ELi4ELb0ELi0ELNS0_23SharedExpertScoringFuncE0EEEvPKT_PKbPfiPiS9_iiiiii
	.p2align	8
	.type	_ZN4vllm3moe17topkGatingSoftmaxIfLi1ELi1ELi8ELi4ELb0ELi0ELNS0_23SharedExpertScoringFuncE0EEEvPKT_PKbPfiPiS9_iiiiii,@function
_ZN4vllm3moe17topkGatingSoftmaxIfLi1ELi1ELi8ELi4ELb0ELi0ELNS0_23SharedExpertScoringFuncE0EEEvPKT_PKbPfiPiS9_iiiiii: ; @_ZN4vllm3moe17topkGatingSoftmaxIfLi1ELi1ELi8ELi4ELb0ELi0ELNS0_23SharedExpertScoringFuncE0EEEvPKT_PKbPfiPiS9_iiiiii
; %bb.0:
	s_load_dword s18, s[4:5], 0x18
	v_bfe_u32 v1, v0, 10, 10
	s_lshl_b32 s19, s6, 9
	v_lshlrev_b32_e32 v10, 6, v1
	v_and_b32_e32 v11, 0x3ff, v0
	v_add3_u32 v8, v10, v11, s19
	s_waitcnt lgkmcnt(0)
	v_cmp_gt_i32_e32 vcc, s18, v8
	s_and_saveexec_b64 s[0:1], vcc
	s_cbranch_execz .LBB2_21
; %bb.1:
	s_load_dwordx4 s[0:3], s[4:5], 0x0
	s_load_dwordx2 s[12:13], s[4:5], 0x10
	s_waitcnt lgkmcnt(0)
	s_cmp_eq_u64 s[2:3], 0
	s_cbranch_scc1 .LBB2_3
; %bb.2:
	v_ashrrev_i32_e32 v1, 31, v8
	v_mov_b32_e32 v2, s3
	v_add_co_u32_e32 v0, vcc, s2, v8
	v_addc_co_u32_e32 v1, vcc, v2, v1, vcc
	global_load_ubyte v0, v[0:1], off
	s_waitcnt vmcnt(0)
	v_and_b32_e32 v0, 1, v0
	v_cmp_eq_u32_e32 vcc, 1, v0
	s_xor_b64 s[2:3], vcc, -1
	s_orn2_b64 s[14:15], s[2:3], exec
	s_branch .LBB2_4
.LBB2_3:
	s_mov_b64 s[14:15], -1
.LBB2_4:
	s_load_dwordx2 s[16:17], s[4:5], 0x40
	s_load_dwordx4 s[8:11], s[4:5], 0x30
	v_mov_b32_e32 v2, s1
	s_waitcnt lgkmcnt(0)
	v_mul_lo_u32 v0, v8, s17
	v_ashrrev_i32_e32 v1, 31, v0
	v_lshlrev_b64 v[0:1], 2, v[0:1]
	v_add_co_u32_e32 v0, vcc, s0, v0
	v_addc_co_u32_e32 v1, vcc, v2, v1, vcc
	global_load_dword v9, v[0:1], off
	s_cmp_gt_i32 s8, 0
	s_cselect_b64 s[2:3], -1, 0
	s_cmp_lt_i32 s8, 1
	s_cbranch_scc1 .LBB2_9
; %bb.5:
	s_waitcnt vmcnt(0)
	v_sub_f32_e32 v1, v9, v9
	v_mul_f32_e32 v2, 0x3fb8aa3b, v1
	v_mul_lo_u32 v4, v8, s16
	s_mov_b32 s16, 0x3fb8aa3b
	v_rndne_f32_e32 v3, v2
	v_sub_f32_e32 v5, v2, v3
	v_fma_f32 v2, v1, s16, -v2
	v_fmac_f32_e32 v2, 0x32a5705f, v1
	v_add_f32_e32 v2, v5, v2
	v_exp_f32_e32 v2, v2
	v_cvt_i32_f32_e32 v3, v3
	s_cmp_lt_i32 s9, 1
	s_cselect_b64 s[0:1], -1, 0
	s_cmp_gt_i32 s10, 0
	s_mov_b32 s10, 0xc2ce8ed0
	v_mul_lo_u32 v0, v8, s11
	v_ldexp_f32 v2, v2, v3
	v_cmp_ngt_f32_e32 vcc, s10, v1
	s_mov_b32 s17, 0x42b17218
	v_cndmask_b32_e32 v2, 0, v2, vcc
	v_cmp_nlt_f32_e32 vcc, s17, v1
	v_ashrrev_i32_e32 v1, 31, v0
	s_load_dwordx4 s[4:7], s[4:5], 0x20
	v_mov_b32_e32 v13, 0x7f800000
	v_lshlrev_b64 v[0:1], 2, v[0:1]
	s_cselect_b64 s[20:21], -1, 0
	v_cndmask_b32_e32 v12, v13, v2, vcc
	v_mov_b32_e32 v3, s13
	v_add_co_u32_e32 v2, vcc, s12, v0
	s_and_b64 s[20:21], s[0:1], s[20:21]
	v_addc_co_u32_e64 v3, s[0:1], v3, v1, vcc
	s_sub_i32 s0, 0, s9
	v_ashrrev_i32_e32 v5, 31, v4
	v_mov_b32_e32 v0, s0
	s_and_b64 s[0:1], s[14:15], s[20:21]
	v_lshlrev_b64 v[6:7], 2, v[4:5]
	v_mul_lo_u32 v14, v8, s8
	global_store_dword v[2:3], v12, off
	v_cndmask_b32_e64 v3, 1, v0, s[0:1]
	s_waitcnt lgkmcnt(0)
	v_mov_b32_e32 v0, s5
	v_add_co_u32_e64 v4, s[0:1], s4, v6
	v_addc_co_u32_e64 v5, s[0:1], v0, v7, s[0:1]
	v_ashrrev_i32_e32 v15, 31, v14
	global_store_dword v[4:5], v3, off
	v_lshlrev_b64 v[4:5], 2, v[14:15]
	v_mov_b32_e32 v0, s7
	v_add_co_u32_e64 v14, s[0:1], s6, v4
	v_addc_co_u32_e64 v15, s[0:1], v0, v5, s[0:1]
	s_cmp_eq_u32 s8, 1
	global_store_dword v[14:15], v8, off
	s_cbranch_scc1 .LBB2_8
; %bb.6:
	v_sub_f32_e32 v0, 0xff800000, v9
	v_mul_f32_e32 v14, 0x3fb8aa3b, v0
	v_fma_f32 v15, v0, s16, -v14
	v_rndne_f32_e32 v16, v14
	v_fmac_f32_e32 v15, 0x32a5705f, v0
	v_sub_f32_e32 v14, v14, v16
	v_add_f32_e32 v14, v14, v15
	v_cvt_i32_f32_e32 v15, v16
	v_exp_f32_e32 v14, v14
	v_cmp_ngt_f32_e64 s[0:1], s10, v0
	s_add_i32 s19, s19, s18
	v_ldexp_f32 v14, v14, v15
	v_cndmask_b32_e64 v14, 0, v14, s[0:1]
	v_cmp_nlt_f32_e64 s[0:1], s17, v0
	v_cndmask_b32_e64 v13, v13, v14, s[0:1]
	v_mov_b32_e32 v0, s7
	v_add_co_u32_e64 v4, s[0:1], s6, v4
	v_addc_co_u32_e64 v0, s[0:1], v5, v0, s[0:1]
	v_add_co_u32_e64 v4, s[0:1], 4, v4
	v_addc_co_u32_e64 v5, s[0:1], 0, v0, s[0:1]
	v_mov_b32_e32 v0, s5
	v_add_co_u32_e64 v6, s[0:1], s4, v6
	v_addc_co_u32_e64 v0, s[0:1], v7, v0, s[0:1]
	v_add_co_u32_e64 v6, s[0:1], 4, v6
	v_addc_co_u32_e64 v7, s[0:1], 0, v0, s[0:1]
	v_mov_b32_e32 v0, s13
	v_addc_co_u32_e32 v1, vcc, v1, v0, vcc
	v_add_co_u32_e32 v0, vcc, 4, v2
	v_addc_co_u32_e32 v1, vcc, 0, v1, vcc
	s_add_i32 s0, s8, -1
	v_add3_u32 v2, s19, v11, v10
.LBB2_7:                                ; =>This Inner Loop Header: Depth=1
	global_store_dword v[0:1], v13, off
	global_store_dword v[6:7], v3, off
	;; [unrolled: 1-line block ×3, first 2 shown]
	v_add_co_u32_e32 v4, vcc, 4, v4
	v_addc_co_u32_e32 v5, vcc, 0, v5, vcc
	v_add_co_u32_e32 v6, vcc, 4, v6
	v_addc_co_u32_e32 v7, vcc, 0, v7, vcc
	v_add_co_u32_e32 v0, vcc, 4, v0
	s_add_i32 s0, s0, -1
	v_add_f32_e32 v12, v12, v13
	v_addc_co_u32_e32 v1, vcc, 0, v1, vcc
	s_cmp_eq_u32 s0, 0
	v_add_u32_e32 v2, s18, v2
	s_cbranch_scc0 .LBB2_7
.LBB2_8:
	v_mov_b32_e32 v0, 0xff800000
	s_branch .LBB2_10
.LBB2_9:
	v_mov_b32_e32 v12, 0
	s_waitcnt vmcnt(0)
	v_mov_b32_e32 v0, v9
.LBB2_10:
	v_sub_f32_e32 v0, v0, v9
	s_mov_b32 s0, 0x3fb8aa3b
	v_mul_f32_e32 v1, 0x3fb8aa3b, v0
	v_fma_f32 v2, v0, s0, -v1
	v_rndne_f32_e32 v3, v1
	v_fmac_f32_e32 v2, 0x32a5705f, v0
	v_sub_f32_e32 v1, v1, v3
	v_add_f32_e32 v1, v1, v2
	v_exp_f32_e32 v1, v1
	v_cvt_i32_f32_e32 v2, v3
	s_mov_b32 s0, 0xc2ce8ed0
	v_cmp_ngt_f32_e32 vcc, s0, v0
	s_mov_b32 s0, 0x42b17218
	v_ldexp_f32 v1, v1, v2
	v_cndmask_b32_e32 v1, 0, v1, vcc
	v_mov_b32_e32 v2, 0x7f800000
	v_cmp_nlt_f32_e32 vcc, s0, v0
	v_cndmask_b32_e32 v0, v2, v1, vcc
	v_add_f32_e32 v0, v12, v0
	v_cmp_neq_f32_e32 vcc, 0, v0
	s_and_b64 exec, exec, vcc
	s_cbranch_execz .LBB2_21
; %bb.11:
	s_andn2_b64 vcc, exec, s[2:3]
	s_cbranch_vccnz .LBB2_21
; %bb.12:
	v_div_scale_f32 v1, s[0:1], v0, v0, 1.0
	v_rcp_f32_e32 v2, v1
	v_div_scale_f32 v3, vcc, 1.0, v0, 1.0
	s_cmp_gt_u32 s8, 3
	v_fma_f32 v4, -v1, v2, 1.0
	v_fmac_f32_e32 v2, v4, v2
	v_mul_f32_e32 v4, v3, v2
	v_fma_f32 v5, -v1, v4, v3
	v_fmac_f32_e32 v4, v5, v2
	v_fma_f32 v1, -v1, v4, v3
	v_div_fmas_f32 v1, v1, v2, v4
	v_mul_lo_u32 v2, v8, s11
	v_div_fixup_f32 v0, v1, v0, 1.0
	v_ashrrev_i32_e32 v3, 31, v2
	s_cbranch_scc0 .LBB2_16
; %bb.13:
	v_lshlrev_b64 v[4:5], 2, v[2:3]
	v_mov_b32_e32 v6, s13
	v_add_co_u32_e32 v4, vcc, s12, v4
	v_addc_co_u32_e32 v5, vcc, v5, v6, vcc
	s_and_b32 s4, s8, 0x7ffffffc
	v_add_co_u32_e32 v4, vcc, 8, v4
	v_mov_b32_e32 v1, v0
	v_addc_co_u32_e32 v5, vcc, 0, v5, vcc
	s_mov_b32 s0, s4
.LBB2_14:                               ; =>This Inner Loop Header: Depth=1
	global_load_dwordx4 v[6:9], v[4:5], off offset:-8
	s_add_i32 s0, s0, -4
	s_cmp_lg_u32 s0, 0
	s_waitcnt vmcnt(0)
	v_pk_mul_f32 v[6:7], v[0:1], v[6:7]
	v_pk_mul_f32 v[8:9], v[0:1], v[8:9]
	global_store_dwordx4 v[4:5], v[6:9], off offset:-8
	v_add_co_u32_e32 v4, vcc, 16, v4
	v_addc_co_u32_e32 v5, vcc, 0, v5, vcc
	s_cbranch_scc1 .LBB2_14
; %bb.15:
	s_cmp_lg_u32 s4, s8
	s_cselect_b64 s[0:1], -1, 0
	s_branch .LBB2_18
.LBB2_16:
	s_mov_b64 s[0:1], 0
                                        ; implicit-def: $sgpr4
	s_cbranch_execz .LBB2_18
; %bb.17:
	s_mov_b64 s[0:1], -1
	s_mov_b32 s4, 0
.LBB2_18:
	s_andn2_b64 vcc, exec, s[0:1]
	s_cbranch_vccnz .LBB2_21
; %bb.19:
	v_add_co_u32_e32 v2, vcc, s4, v2
	v_addc_co_u32_e32 v3, vcc, 0, v3, vcc
	v_lshlrev_b64 v[2:3], 2, v[2:3]
	v_mov_b32_e32 v1, s13
	v_add_co_u32_e32 v2, vcc, s12, v2
	s_sub_i32 s0, s8, s4
	v_addc_co_u32_e32 v3, vcc, v1, v3, vcc
.LBB2_20:                               ; =>This Inner Loop Header: Depth=1
	global_load_dword v1, v[2:3], off
	s_add_i32 s0, s0, -1
	s_cmp_lg_u32 s0, 0
	s_waitcnt vmcnt(0)
	v_mul_f32_e32 v1, v0, v1
	global_store_dword v[2:3], v1, off
	v_add_co_u32_e32 v2, vcc, 4, v2
	v_addc_co_u32_e32 v3, vcc, 0, v3, vcc
	s_cbranch_scc1 .LBB2_20
.LBB2_21:
	s_endpgm
	.section	.rodata,"a",@progbits
	.p2align	6, 0x0
	.amdhsa_kernel _ZN4vllm3moe17topkGatingSoftmaxIfLi1ELi1ELi8ELi4ELb0ELi0ELNS0_23SharedExpertScoringFuncE0EEEvPKT_PKbPfiPiS9_iiiiii
		.amdhsa_group_segment_fixed_size 0
		.amdhsa_private_segment_fixed_size 0
		.amdhsa_kernarg_size 72
		.amdhsa_user_sgpr_count 6
		.amdhsa_user_sgpr_private_segment_buffer 1
		.amdhsa_user_sgpr_dispatch_ptr 0
		.amdhsa_user_sgpr_queue_ptr 0
		.amdhsa_user_sgpr_kernarg_segment_ptr 1
		.amdhsa_user_sgpr_dispatch_id 0
		.amdhsa_user_sgpr_flat_scratch_init 0
		.amdhsa_user_sgpr_kernarg_preload_length 0
		.amdhsa_user_sgpr_kernarg_preload_offset 0
		.amdhsa_user_sgpr_private_segment_size 0
		.amdhsa_uses_dynamic_stack 0
		.amdhsa_system_sgpr_private_segment_wavefront_offset 0
		.amdhsa_system_sgpr_workgroup_id_x 1
		.amdhsa_system_sgpr_workgroup_id_y 0
		.amdhsa_system_sgpr_workgroup_id_z 0
		.amdhsa_system_sgpr_workgroup_info 0
		.amdhsa_system_vgpr_workitem_id 1
		.amdhsa_next_free_vgpr 17
		.amdhsa_next_free_sgpr 22
		.amdhsa_accum_offset 20
		.amdhsa_reserve_vcc 1
		.amdhsa_reserve_flat_scratch 0
		.amdhsa_float_round_mode_32 0
		.amdhsa_float_round_mode_16_64 0
		.amdhsa_float_denorm_mode_32 3
		.amdhsa_float_denorm_mode_16_64 3
		.amdhsa_dx10_clamp 1
		.amdhsa_ieee_mode 1
		.amdhsa_fp16_overflow 0
		.amdhsa_tg_split 0
		.amdhsa_exception_fp_ieee_invalid_op 0
		.amdhsa_exception_fp_denorm_src 0
		.amdhsa_exception_fp_ieee_div_zero 0
		.amdhsa_exception_fp_ieee_overflow 0
		.amdhsa_exception_fp_ieee_underflow 0
		.amdhsa_exception_fp_ieee_inexact 0
		.amdhsa_exception_int_div_zero 0
	.end_amdhsa_kernel
	.section	.text._ZN4vllm3moe17topkGatingSoftmaxIfLi1ELi1ELi8ELi4ELb0ELi0ELNS0_23SharedExpertScoringFuncE0EEEvPKT_PKbPfiPiS9_iiiiii,"axG",@progbits,_ZN4vllm3moe17topkGatingSoftmaxIfLi1ELi1ELi8ELi4ELb0ELi0ELNS0_23SharedExpertScoringFuncE0EEEvPKT_PKbPfiPiS9_iiiiii,comdat
.Lfunc_end2:
	.size	_ZN4vllm3moe17topkGatingSoftmaxIfLi1ELi1ELi8ELi4ELb0ELi0ELNS0_23SharedExpertScoringFuncE0EEEvPKT_PKbPfiPiS9_iiiiii, .Lfunc_end2-_ZN4vllm3moe17topkGatingSoftmaxIfLi1ELi1ELi8ELi4ELb0ELi0ELNS0_23SharedExpertScoringFuncE0EEEvPKT_PKbPfiPiS9_iiiiii
                                        ; -- End function
	.section	.AMDGPU.csdata,"",@progbits
; Kernel info:
; codeLenInByte = 1244
; NumSgprs: 26
; NumVgprs: 17
; NumAgprs: 0
; TotalNumVgprs: 17
; ScratchSize: 0
; MemoryBound: 0
; FloatMode: 240
; IeeeMode: 1
; LDSByteSize: 0 bytes/workgroup (compile time only)
; SGPRBlocks: 3
; VGPRBlocks: 2
; NumSGPRsForWavesPerEU: 26
; NumVGPRsForWavesPerEU: 17
; AccumOffset: 20
; Occupancy: 8
; WaveLimiterHint : 0
; COMPUTE_PGM_RSRC2:SCRATCH_EN: 0
; COMPUTE_PGM_RSRC2:USER_SGPR: 6
; COMPUTE_PGM_RSRC2:TRAP_HANDLER: 0
; COMPUTE_PGM_RSRC2:TGID_X_EN: 1
; COMPUTE_PGM_RSRC2:TGID_Y_EN: 0
; COMPUTE_PGM_RSRC2:TGID_Z_EN: 0
; COMPUTE_PGM_RSRC2:TIDIG_COMP_CNT: 1
; COMPUTE_PGM_RSRC3_GFX90A:ACCUM_OFFSET: 4
; COMPUTE_PGM_RSRC3_GFX90A:TG_SPLIT: 0
	.section	.text._ZN4vllm3moe17topkGatingSoftmaxIfLi1ELi1ELi8ELi4ELb1ELi1ELNS0_23SharedExpertScoringFuncE1EEEvPKT_PKbPfiPiS9_iiiiii,"axG",@progbits,_ZN4vllm3moe17topkGatingSoftmaxIfLi1ELi1ELi8ELi4ELb1ELi1ELNS0_23SharedExpertScoringFuncE1EEEvPKT_PKbPfiPiS9_iiiiii,comdat
	.protected	_ZN4vllm3moe17topkGatingSoftmaxIfLi1ELi1ELi8ELi4ELb1ELi1ELNS0_23SharedExpertScoringFuncE1EEEvPKT_PKbPfiPiS9_iiiiii ; -- Begin function _ZN4vllm3moe17topkGatingSoftmaxIfLi1ELi1ELi8ELi4ELb1ELi1ELNS0_23SharedExpertScoringFuncE1EEEvPKT_PKbPfiPiS9_iiiiii
	.globl	_ZN4vllm3moe17topkGatingSoftmaxIfLi1ELi1ELi8ELi4ELb1ELi1ELNS0_23SharedExpertScoringFuncE1EEEvPKT_PKbPfiPiS9_iiiiii
	.p2align	8
	.type	_ZN4vllm3moe17topkGatingSoftmaxIfLi1ELi1ELi8ELi4ELb1ELi1ELNS0_23SharedExpertScoringFuncE1EEEvPKT_PKbPfiPiS9_iiiiii,@function
_ZN4vllm3moe17topkGatingSoftmaxIfLi1ELi1ELi8ELi4ELb1ELi1ELNS0_23SharedExpertScoringFuncE1EEEvPKT_PKbPfiPiS9_iiiiii: ; @_ZN4vllm3moe17topkGatingSoftmaxIfLi1ELi1ELi8ELi4ELb1ELi1ELNS0_23SharedExpertScoringFuncE1EEEvPKT_PKbPfiPiS9_iiiiii
; %bb.0:
	s_load_dword s18, s[4:5], 0x18
	v_bfe_u32 v1, v0, 10, 10
	s_lshl_b32 s19, s6, 9
	v_lshlrev_b32_e32 v12, 6, v1
	v_and_b32_e32 v13, 0x3ff, v0
	v_add3_u32 v15, v12, v13, s19
	s_waitcnt lgkmcnt(0)
	v_cmp_gt_i32_e32 vcc, s18, v15
	s_and_saveexec_b64 s[0:1], vcc
	s_cbranch_execz .LBB3_19
; %bb.1:
	s_load_dwordx4 s[0:3], s[4:5], 0x0
	s_load_dwordx2 s[12:13], s[4:5], 0x10
	s_waitcnt lgkmcnt(0)
	s_cmp_eq_u64 s[2:3], 0
	s_cbranch_scc1 .LBB3_3
; %bb.2:
	v_ashrrev_i32_e32 v1, 31, v15
	v_mov_b32_e32 v2, s3
	v_add_co_u32_e32 v0, vcc, s2, v15
	v_addc_co_u32_e32 v1, vcc, v2, v1, vcc
	global_load_ubyte v0, v[0:1], off
	s_waitcnt vmcnt(0)
	v_and_b32_e32 v0, 1, v0
	v_cmp_eq_u32_e32 vcc, 1, v0
	s_xor_b64 s[2:3], vcc, -1
	s_orn2_b64 s[14:15], s[2:3], exec
	s_branch .LBB3_4
.LBB3_3:
	s_mov_b64 s[14:15], -1
.LBB3_4:
	s_load_dwordx2 s[16:17], s[4:5], 0x40
	s_load_dwordx4 s[8:11], s[4:5], 0x30
	v_mov_b32_e32 v2, s1
	s_mov_b32 s1, 0x42ce8ed0
	s_mov_b32 s6, 0xc2b17218
	s_waitcnt lgkmcnt(0)
	v_mul_lo_u32 v0, v15, s17
	v_ashrrev_i32_e32 v1, 31, v0
	v_lshlrev_b64 v[0:1], 2, v[0:1]
	v_add_co_u32_e32 v0, vcc, s0, v0
	v_addc_co_u32_e32 v1, vcc, v2, v1, vcc
	global_load_dwordx2 v[2:3], v[0:1], off
	s_mov_b32 s0, 0xbfb8aa3b
	v_mov_b32_e32 v1, 0x7f800000
	v_mul_lo_u32 v0, v15, s11
	v_add_u32_e32 v4, s8, v0
	v_mov_b32_e32 v6, s13
	s_cmp_gt_i32 s8, 0
	v_mov_b32_e32 v14, 0
	s_cselect_b64 s[2:3], -1, 0
	s_cmp_lt_i32 s8, 1
	s_waitcnt vmcnt(0)
	v_mul_f32_e32 v5, 0xbfb8aa3b, v3
	v_fma_f32 v7, v3, s0, -v5
	v_rndne_f32_e32 v8, v5
	v_fmac_f32_e32 v7, 0xb2a5705f, v3
	v_sub_f32_e32 v5, v5, v8
	v_add_f32_e32 v5, v5, v7
	v_cvt_i32_f32_e32 v8, v8
	v_exp_f32_e32 v7, v5
	v_cmp_nlt_f32_e32 vcc, s1, v3
	v_ashrrev_i32_e32 v5, 31, v4
	v_lshlrev_b64 v[4:5], 2, v[4:5]
	v_ldexp_f32 v7, v7, v8
	v_cndmask_b32_e32 v7, 0, v7, vcc
	v_cmp_ngt_f32_e32 vcc, s6, v3
	v_cndmask_b32_e32 v3, v1, v7, vcc
	v_add_f32_e32 v3, 1.0, v3
	v_div_scale_f32 v7, s[0:1], v3, v3, 1.0
	v_rcp_f32_e32 v8, v7
	v_add_co_u32_e32 v4, vcc, s12, v4
	v_addc_co_u32_e32 v5, vcc, v6, v5, vcc
	v_fma_f32 v9, -v7, v8, 1.0
	v_div_scale_f32 v6, vcc, 1.0, v3, 1.0
	v_fmac_f32_e32 v8, v9, v8
	v_mul_f32_e32 v9, v6, v8
	v_fma_f32 v10, -v7, v9, v6
	v_fmac_f32_e32 v9, v10, v8
	v_fma_f32 v6, -v7, v9, v6
	v_div_fmas_f32 v6, v6, v8, v9
	v_div_fixup_f32 v3, v6, v3, 1.0
	global_store_dword v[4:5], v3, off
	s_cbranch_scc1 .LBB3_8
; %bb.5:
	v_sub_f32_e32 v3, v2, v2
	v_mul_f32_e32 v4, 0x3fb8aa3b, v3
	s_mov_b32 s11, 0x3fb8aa3b
	v_rndne_f32_e32 v5, v4
	v_sub_f32_e32 v6, v4, v5
	v_fma_f32 v4, v3, s11, -v4
	v_fmac_f32_e32 v4, 0x32a5705f, v3
	v_add_f32_e32 v4, v6, v4
	s_cmp_lt_i32 s9, 1
	v_exp_f32_e32 v4, v4
	v_cvt_i32_f32_e32 v5, v5
	s_cselect_b64 s[0:1], -1, 0
	s_cmp_gt_i32 s10, 0
	v_mul_lo_u32 v8, v15, s16
	s_cselect_b64 s[16:17], -1, 0
	s_and_b64 s[20:21], s[0:1], s[16:17]
	s_mov_b32 s16, 0xc2ce8ed0
	v_ldexp_f32 v4, v4, v5
	v_cmp_ngt_f32_e32 vcc, s16, v3
	s_mov_b32 s10, 0x42b17218
	v_cndmask_b32_e32 v4, 0, v4, vcc
	v_cmp_nlt_f32_e32 vcc, s10, v3
	v_cndmask_b32_e32 v14, v1, v4, vcc
	v_ashrrev_i32_e32 v1, 31, v0
	s_load_dwordx4 s[4:7], s[4:5], 0x20
	v_lshlrev_b64 v[4:5], 2, v[0:1]
	v_mov_b32_e32 v1, s13
	v_add_co_u32_e32 v6, vcc, s12, v4
	v_addc_co_u32_e64 v7, s[0:1], v1, v5, vcc
	s_sub_i32 s0, 0, s9
	v_ashrrev_i32_e32 v9, 31, v8
	v_mul_lo_u32 v10, v15, s8
	v_mov_b32_e32 v1, s0
	s_and_b64 s[0:1], s[14:15], s[20:21]
	v_lshlrev_b64 v[8:9], 2, v[8:9]
	v_cndmask_b32_e64 v1, 1, v1, s[0:1]
	s_waitcnt lgkmcnt(0)
	v_mov_b32_e32 v3, s5
	v_add_co_u32_e64 v16, s[0:1], s4, v8
	v_ashrrev_i32_e32 v11, 31, v10
	v_addc_co_u32_e64 v17, s[0:1], v3, v9, s[0:1]
	v_lshlrev_b64 v[10:11], 2, v[10:11]
	global_store_dword v[16:17], v1, off
	v_mov_b32_e32 v3, s7
	v_add_co_u32_e64 v16, s[0:1], s6, v10
	v_addc_co_u32_e64 v17, s[0:1], v3, v11, s[0:1]
	s_cmp_eq_u32 s8, 1
	global_store_dword v[6:7], v14, off
	global_store_dword v[16:17], v15, off
	s_cbranch_scc1 .LBB3_8
; %bb.6:
	v_sub_f32_e32 v2, 0xff800000, v2
	v_mul_f32_e32 v3, 0x3fb8aa3b, v2
	v_fma_f32 v4, v2, s11, -v3
	v_rndne_f32_e32 v7, v3
	v_fmac_f32_e32 v4, 0x32a5705f, v2
	v_sub_f32_e32 v3, v3, v7
	v_add_f32_e32 v3, v3, v4
	v_cvt_i32_f32_e32 v4, v7
	v_exp_f32_e32 v3, v3
	v_cmp_ngt_f32_e64 s[0:1], s16, v2
	s_add_i32 s19, s19, s18
	v_ldexp_f32 v3, v3, v4
	v_cndmask_b32_e64 v3, 0, v3, s[0:1]
	v_mov_b32_e32 v4, 0x7f800000
	v_cmp_nlt_f32_e64 s[0:1], s10, v2
	v_cndmask_b32_e64 v7, v4, v3, s[0:1]
	v_mov_b32_e32 v2, s7
	v_add_co_u32_e64 v3, s[0:1], s6, v10
	v_addc_co_u32_e64 v4, s[0:1], v11, v2, s[0:1]
	v_add_co_u32_e64 v2, s[0:1], 4, v3
	v_addc_co_u32_e64 v3, s[0:1], 0, v4, s[0:1]
	v_mov_b32_e32 v4, s5
	v_add_co_u32_e64 v8, s[0:1], s4, v8
	v_addc_co_u32_e64 v4, s[0:1], v9, v4, s[0:1]
	v_add_co_u32_e64 v8, s[0:1], 4, v8
	v_addc_co_u32_e64 v9, s[0:1], 0, v4, s[0:1]
	v_mov_b32_e32 v4, s13
	v_addc_co_u32_e32 v5, vcc, v5, v4, vcc
	v_add_co_u32_e32 v4, vcc, 4, v6
	v_addc_co_u32_e32 v5, vcc, 0, v5, vcc
	s_add_i32 s0, s8, -1
	v_add3_u32 v6, s19, v13, v12
.LBB3_7:                                ; =>This Inner Loop Header: Depth=1
	global_store_dword v[4:5], v7, off
	global_store_dword v[8:9], v1, off
	;; [unrolled: 1-line block ×3, first 2 shown]
	v_add_co_u32_e32 v2, vcc, 4, v2
	v_addc_co_u32_e32 v3, vcc, 0, v3, vcc
	v_add_co_u32_e32 v8, vcc, 4, v8
	v_addc_co_u32_e32 v9, vcc, 0, v9, vcc
	v_add_co_u32_e32 v4, vcc, 4, v4
	s_add_i32 s0, s0, -1
	v_add_f32_e32 v14, v14, v7
	v_addc_co_u32_e32 v5, vcc, 0, v5, vcc
	s_cmp_eq_u32 s0, 0
	v_add_u32_e32 v6, s18, v6
	s_cbranch_scc0 .LBB3_7
.LBB3_8:
	v_cmp_neq_f32_e32 vcc, 0, v14
	s_and_b64 exec, exec, vcc
	s_cbranch_execz .LBB3_19
; %bb.9:
	s_andn2_b64 vcc, exec, s[2:3]
	s_cbranch_vccnz .LBB3_19
; %bb.10:
	v_div_scale_f32 v1, s[0:1], v14, v14, 1.0
	v_rcp_f32_e32 v2, v1
	v_div_scale_f32 v3, vcc, 1.0, v14, 1.0
	s_cmp_gt_u32 s8, 3
	v_fma_f32 v4, -v1, v2, 1.0
	v_fmac_f32_e32 v2, v4, v2
	v_mul_f32_e32 v4, v3, v2
	v_fma_f32 v5, -v1, v4, v3
	v_fmac_f32_e32 v4, v5, v2
	v_fma_f32 v1, -v1, v4, v3
	v_div_fmas_f32 v1, v1, v2, v4
	v_div_fixup_f32 v2, v1, v14, 1.0
	v_ashrrev_i32_e32 v1, 31, v0
	s_cbranch_scc0 .LBB3_14
; %bb.11:
	v_lshlrev_b64 v[4:5], 2, v[0:1]
	v_mov_b32_e32 v6, s13
	v_add_co_u32_e32 v4, vcc, s12, v4
	v_addc_co_u32_e32 v5, vcc, v5, v6, vcc
	s_and_b32 s4, s8, 0x7ffffffc
	v_add_co_u32_e32 v4, vcc, 8, v4
	v_mov_b32_e32 v3, v2
	v_addc_co_u32_e32 v5, vcc, 0, v5, vcc
	s_mov_b32 s0, s4
.LBB3_12:                               ; =>This Inner Loop Header: Depth=1
	global_load_dwordx4 v[6:9], v[4:5], off offset:-8
	s_add_i32 s0, s0, -4
	s_cmp_lg_u32 s0, 0
	s_waitcnt vmcnt(0)
	v_pk_mul_f32 v[6:7], v[2:3], v[6:7]
	v_pk_mul_f32 v[8:9], v[2:3], v[8:9]
	global_store_dwordx4 v[4:5], v[6:9], off offset:-8
	v_add_co_u32_e32 v4, vcc, 16, v4
	v_addc_co_u32_e32 v5, vcc, 0, v5, vcc
	s_cbranch_scc1 .LBB3_12
; %bb.13:
	s_cmp_lg_u32 s4, s8
	s_cselect_b64 s[0:1], -1, 0
	s_branch .LBB3_16
.LBB3_14:
	s_mov_b64 s[0:1], 0
                                        ; implicit-def: $sgpr4
	s_cbranch_execz .LBB3_16
; %bb.15:
	s_mov_b64 s[0:1], -1
	s_mov_b32 s4, 0
.LBB3_16:
	s_andn2_b64 vcc, exec, s[0:1]
	s_cbranch_vccnz .LBB3_19
; %bb.17:
	v_add_co_u32_e32 v0, vcc, s4, v0
	v_addc_co_u32_e32 v1, vcc, 0, v1, vcc
	v_lshlrev_b64 v[0:1], 2, v[0:1]
	v_mov_b32_e32 v3, s13
	v_add_co_u32_e32 v0, vcc, s12, v0
	s_sub_i32 s0, s8, s4
	v_addc_co_u32_e32 v1, vcc, v3, v1, vcc
.LBB3_18:                               ; =>This Inner Loop Header: Depth=1
	global_load_dword v3, v[0:1], off
	s_add_i32 s0, s0, -1
	s_cmp_lg_u32 s0, 0
	s_waitcnt vmcnt(0)
	v_mul_f32_e32 v3, v2, v3
	global_store_dword v[0:1], v3, off
	v_add_co_u32_e32 v0, vcc, 4, v0
	v_addc_co_u32_e32 v1, vcc, 0, v1, vcc
	s_cbranch_scc1 .LBB3_18
.LBB3_19:
	s_endpgm
	.section	.rodata,"a",@progbits
	.p2align	6, 0x0
	.amdhsa_kernel _ZN4vllm3moe17topkGatingSoftmaxIfLi1ELi1ELi8ELi4ELb1ELi1ELNS0_23SharedExpertScoringFuncE1EEEvPKT_PKbPfiPiS9_iiiiii
		.amdhsa_group_segment_fixed_size 0
		.amdhsa_private_segment_fixed_size 0
		.amdhsa_kernarg_size 72
		.amdhsa_user_sgpr_count 6
		.amdhsa_user_sgpr_private_segment_buffer 1
		.amdhsa_user_sgpr_dispatch_ptr 0
		.amdhsa_user_sgpr_queue_ptr 0
		.amdhsa_user_sgpr_kernarg_segment_ptr 1
		.amdhsa_user_sgpr_dispatch_id 0
		.amdhsa_user_sgpr_flat_scratch_init 0
		.amdhsa_user_sgpr_kernarg_preload_length 0
		.amdhsa_user_sgpr_kernarg_preload_offset 0
		.amdhsa_user_sgpr_private_segment_size 0
		.amdhsa_uses_dynamic_stack 0
		.amdhsa_system_sgpr_private_segment_wavefront_offset 0
		.amdhsa_system_sgpr_workgroup_id_x 1
		.amdhsa_system_sgpr_workgroup_id_y 0
		.amdhsa_system_sgpr_workgroup_id_z 0
		.amdhsa_system_sgpr_workgroup_info 0
		.amdhsa_system_vgpr_workitem_id 1
		.amdhsa_next_free_vgpr 18
		.amdhsa_next_free_sgpr 22
		.amdhsa_accum_offset 20
		.amdhsa_reserve_vcc 1
		.amdhsa_reserve_flat_scratch 0
		.amdhsa_float_round_mode_32 0
		.amdhsa_float_round_mode_16_64 0
		.amdhsa_float_denorm_mode_32 3
		.amdhsa_float_denorm_mode_16_64 3
		.amdhsa_dx10_clamp 1
		.amdhsa_ieee_mode 1
		.amdhsa_fp16_overflow 0
		.amdhsa_tg_split 0
		.amdhsa_exception_fp_ieee_invalid_op 0
		.amdhsa_exception_fp_denorm_src 0
		.amdhsa_exception_fp_ieee_div_zero 0
		.amdhsa_exception_fp_ieee_overflow 0
		.amdhsa_exception_fp_ieee_underflow 0
		.amdhsa_exception_fp_ieee_inexact 0
		.amdhsa_exception_int_div_zero 0
	.end_amdhsa_kernel
	.section	.text._ZN4vllm3moe17topkGatingSoftmaxIfLi1ELi1ELi8ELi4ELb1ELi1ELNS0_23SharedExpertScoringFuncE1EEEvPKT_PKbPfiPiS9_iiiiii,"axG",@progbits,_ZN4vllm3moe17topkGatingSoftmaxIfLi1ELi1ELi8ELi4ELb1ELi1ELNS0_23SharedExpertScoringFuncE1EEEvPKT_PKbPfiPiS9_iiiiii,comdat
.Lfunc_end3:
	.size	_ZN4vllm3moe17topkGatingSoftmaxIfLi1ELi1ELi8ELi4ELb1ELi1ELNS0_23SharedExpertScoringFuncE1EEEvPKT_PKbPfiPiS9_iiiiii, .Lfunc_end3-_ZN4vllm3moe17topkGatingSoftmaxIfLi1ELi1ELi8ELi4ELb1ELi1ELNS0_23SharedExpertScoringFuncE1EEEvPKT_PKbPfiPiS9_iiiiii
                                        ; -- End function
	.section	.AMDGPU.csdata,"",@progbits
; Kernel info:
; codeLenInByte = 1320
; NumSgprs: 26
; NumVgprs: 18
; NumAgprs: 0
; TotalNumVgprs: 18
; ScratchSize: 0
; MemoryBound: 0
; FloatMode: 240
; IeeeMode: 1
; LDSByteSize: 0 bytes/workgroup (compile time only)
; SGPRBlocks: 3
; VGPRBlocks: 2
; NumSGPRsForWavesPerEU: 26
; NumVGPRsForWavesPerEU: 18
; AccumOffset: 20
; Occupancy: 8
; WaveLimiterHint : 0
; COMPUTE_PGM_RSRC2:SCRATCH_EN: 0
; COMPUTE_PGM_RSRC2:USER_SGPR: 6
; COMPUTE_PGM_RSRC2:TRAP_HANDLER: 0
; COMPUTE_PGM_RSRC2:TGID_X_EN: 1
; COMPUTE_PGM_RSRC2:TGID_Y_EN: 0
; COMPUTE_PGM_RSRC2:TGID_Z_EN: 0
; COMPUTE_PGM_RSRC2:TIDIG_COMP_CNT: 1
; COMPUTE_PGM_RSRC3_GFX90A:ACCUM_OFFSET: 4
; COMPUTE_PGM_RSRC3_GFX90A:TG_SPLIT: 0
	.section	.text._ZN4vllm3moe17topkGatingSoftmaxIfLi1ELi1ELi8ELi4ELb0ELi1ELNS0_23SharedExpertScoringFuncE1EEEvPKT_PKbPfiPiS9_iiiiii,"axG",@progbits,_ZN4vllm3moe17topkGatingSoftmaxIfLi1ELi1ELi8ELi4ELb0ELi1ELNS0_23SharedExpertScoringFuncE1EEEvPKT_PKbPfiPiS9_iiiiii,comdat
	.protected	_ZN4vllm3moe17topkGatingSoftmaxIfLi1ELi1ELi8ELi4ELb0ELi1ELNS0_23SharedExpertScoringFuncE1EEEvPKT_PKbPfiPiS9_iiiiii ; -- Begin function _ZN4vllm3moe17topkGatingSoftmaxIfLi1ELi1ELi8ELi4ELb0ELi1ELNS0_23SharedExpertScoringFuncE1EEEvPKT_PKbPfiPiS9_iiiiii
	.globl	_ZN4vllm3moe17topkGatingSoftmaxIfLi1ELi1ELi8ELi4ELb0ELi1ELNS0_23SharedExpertScoringFuncE1EEEvPKT_PKbPfiPiS9_iiiiii
	.p2align	8
	.type	_ZN4vllm3moe17topkGatingSoftmaxIfLi1ELi1ELi8ELi4ELb0ELi1ELNS0_23SharedExpertScoringFuncE1EEEvPKT_PKbPfiPiS9_iiiiii,@function
_ZN4vllm3moe17topkGatingSoftmaxIfLi1ELi1ELi8ELi4ELb0ELi1ELNS0_23SharedExpertScoringFuncE1EEEvPKT_PKbPfiPiS9_iiiiii: ; @_ZN4vllm3moe17topkGatingSoftmaxIfLi1ELi1ELi8ELi4ELb0ELi1ELNS0_23SharedExpertScoringFuncE1EEEvPKT_PKbPfiPiS9_iiiiii
; %bb.0:
	s_load_dword s18, s[4:5], 0x18
	v_bfe_u32 v1, v0, 10, 10
	s_lshl_b32 s19, s6, 9
	v_lshlrev_b32_e32 v12, 6, v1
	v_and_b32_e32 v13, 0x3ff, v0
	v_add3_u32 v16, v12, v13, s19
	s_waitcnt lgkmcnt(0)
	v_cmp_gt_i32_e32 vcc, s18, v16
	s_and_saveexec_b64 s[0:1], vcc
	s_cbranch_execz .LBB4_20
; %bb.1:
	s_load_dwordx4 s[0:3], s[4:5], 0x0
	s_load_dwordx2 s[12:13], s[4:5], 0x10
	s_waitcnt lgkmcnt(0)
	s_cmp_eq_u64 s[2:3], 0
	s_cbranch_scc1 .LBB4_3
; %bb.2:
	v_ashrrev_i32_e32 v1, 31, v16
	v_mov_b32_e32 v2, s3
	v_add_co_u32_e32 v0, vcc, s2, v16
	v_addc_co_u32_e32 v1, vcc, v2, v1, vcc
	global_load_ubyte v0, v[0:1], off
	s_waitcnt vmcnt(0)
	v_and_b32_e32 v0, 1, v0
	v_cmp_eq_u32_e32 vcc, 1, v0
	s_xor_b64 s[2:3], vcc, -1
	s_orn2_b64 s[14:15], s[2:3], exec
	s_branch .LBB4_4
.LBB4_3:
	s_mov_b64 s[14:15], -1
.LBB4_4:
	s_load_dwordx2 s[16:17], s[4:5], 0x40
	s_load_dwordx4 s[8:11], s[4:5], 0x30
	v_mov_b32_e32 v2, s1
	s_mov_b32 s1, 0x42ce8ed0
	s_mov_b32 s6, 0xc2b17218
	s_waitcnt lgkmcnt(0)
	v_mul_lo_u32 v0, v16, s17
	v_ashrrev_i32_e32 v1, 31, v0
	v_lshlrev_b64 v[0:1], 2, v[0:1]
	v_add_co_u32_e32 v0, vcc, s0, v0
	v_addc_co_u32_e32 v1, vcc, v2, v1, vcc
	global_load_dwordx2 v[2:3], v[0:1], off
	s_mov_b32 s0, 0xbfb8aa3b
	v_mov_b32_e32 v14, 0x7f800000
	v_mul_lo_u32 v0, v16, s11
	v_add_u32_e32 v4, s8, v0
	v_mov_b32_e32 v1, s13
	s_cmp_gt_i32 s8, 0
	v_mov_b32_e32 v15, 0
	s_cselect_b64 s[2:3], -1, 0
	s_cmp_lt_i32 s8, 1
	s_waitcnt vmcnt(0)
	v_mul_f32_e32 v5, 0xbfb8aa3b, v3
	v_fma_f32 v6, v3, s0, -v5
	v_rndne_f32_e32 v7, v5
	v_fmac_f32_e32 v6, 0xb2a5705f, v3
	v_sub_f32_e32 v5, v5, v7
	v_add_f32_e32 v5, v5, v6
	v_cvt_i32_f32_e32 v7, v7
	v_exp_f32_e32 v6, v5
	v_cmp_nlt_f32_e32 vcc, s1, v3
	v_ashrrev_i32_e32 v5, 31, v4
	v_lshlrev_b64 v[4:5], 2, v[4:5]
	v_ldexp_f32 v6, v6, v7
	v_cndmask_b32_e32 v6, 0, v6, vcc
	v_cmp_ngt_f32_e32 vcc, s6, v3
	v_cndmask_b32_e32 v3, v14, v6, vcc
	v_add_f32_e32 v3, 1.0, v3
	v_div_scale_f32 v6, s[0:1], v3, v3, 1.0
	v_rcp_f32_e32 v7, v6
	v_add_co_u32_e32 v4, vcc, s12, v4
	v_addc_co_u32_e32 v5, vcc, v1, v5, vcc
	v_fma_f32 v8, -v6, v7, 1.0
	v_div_scale_f32 v1, vcc, 1.0, v3, 1.0
	v_fmac_f32_e32 v7, v8, v7
	v_mul_f32_e32 v8, v1, v7
	v_fma_f32 v9, -v6, v8, v1
	v_fmac_f32_e32 v8, v9, v7
	v_fma_f32 v1, -v6, v8, v1
	v_div_fmas_f32 v1, v1, v7, v8
	v_div_fixup_f32 v1, v1, v3, 1.0
	global_store_dword v[4:5], v1, off
	v_mov_b32_e32 v1, v2
	s_cbranch_scc1 .LBB4_9
; %bb.5:
	v_sub_f32_e32 v1, v2, v2
	v_mul_f32_e32 v3, 0x3fb8aa3b, v1
	s_mov_b32 s11, 0x3fb8aa3b
	v_rndne_f32_e32 v4, v3
	v_sub_f32_e32 v5, v3, v4
	v_fma_f32 v3, v1, s11, -v3
	v_fmac_f32_e32 v3, 0x32a5705f, v1
	v_add_f32_e32 v3, v5, v3
	s_cmp_lt_i32 s9, 1
	v_exp_f32_e32 v3, v3
	v_cvt_i32_f32_e32 v4, v4
	s_cselect_b64 s[0:1], -1, 0
	s_cmp_gt_i32 s10, 0
	v_mul_lo_u32 v8, v16, s16
	s_cselect_b64 s[16:17], -1, 0
	s_and_b64 s[20:21], s[0:1], s[16:17]
	s_mov_b32 s16, 0xc2ce8ed0
	v_ldexp_f32 v3, v3, v4
	v_cmp_ngt_f32_e32 vcc, s16, v1
	s_mov_b32 s10, 0x42b17218
	v_cndmask_b32_e32 v3, 0, v3, vcc
	v_cmp_nlt_f32_e32 vcc, s10, v1
	v_ashrrev_i32_e32 v1, 31, v0
	s_load_dwordx4 s[4:7], s[4:5], 0x20
	v_lshlrev_b64 v[4:5], 2, v[0:1]
	v_cndmask_b32_e32 v15, v14, v3, vcc
	v_mov_b32_e32 v1, s13
	v_add_co_u32_e32 v6, vcc, s12, v4
	v_addc_co_u32_e64 v7, s[0:1], v1, v5, vcc
	s_sub_i32 s0, 0, s9
	v_ashrrev_i32_e32 v9, 31, v8
	v_mov_b32_e32 v1, s0
	s_and_b64 s[0:1], s[14:15], s[20:21]
	v_lshlrev_b64 v[10:11], 2, v[8:9]
	v_mul_lo_u32 v18, v16, s8
	v_cndmask_b32_e64 v1, 1, v1, s[0:1]
	s_waitcnt lgkmcnt(0)
	v_mov_b32_e32 v3, s5
	v_add_co_u32_e64 v8, s[0:1], s4, v10
	v_addc_co_u32_e64 v9, s[0:1], v3, v11, s[0:1]
	v_ashrrev_i32_e32 v19, 31, v18
	global_store_dword v[8:9], v1, off
	v_lshlrev_b64 v[8:9], 2, v[18:19]
	v_mov_b32_e32 v3, s7
	v_add_co_u32_e64 v18, s[0:1], s6, v8
	v_addc_co_u32_e64 v19, s[0:1], v3, v9, s[0:1]
	s_cmp_eq_u32 s8, 1
	global_store_dword v[6:7], v15, off
	global_store_dword v[18:19], v16, off
	s_cbranch_scc1 .LBB4_8
; %bb.6:
	v_sub_f32_e32 v3, 0xff800000, v2
	v_mul_f32_e32 v4, 0x3fb8aa3b, v3
	v_fma_f32 v7, v3, s11, -v4
	v_rndne_f32_e32 v16, v4
	v_fmac_f32_e32 v7, 0x32a5705f, v3
	v_sub_f32_e32 v4, v4, v16
	v_add_f32_e32 v4, v4, v7
	v_cvt_i32_f32_e32 v7, v16
	v_exp_f32_e32 v4, v4
	v_cmp_ngt_f32_e64 s[0:1], s16, v3
	s_add_i32 s19, s19, s18
	v_ldexp_f32 v4, v4, v7
	v_cndmask_b32_e64 v4, 0, v4, s[0:1]
	v_mov_b32_e32 v7, 0x7f800000
	v_cmp_nlt_f32_e64 s[0:1], s10, v3
	v_cndmask_b32_e64 v3, v7, v4, s[0:1]
	v_mov_b32_e32 v4, s7
	v_add_co_u32_e64 v7, s[0:1], s6, v8
	v_addc_co_u32_e64 v4, s[0:1], v9, v4, s[0:1]
	v_add_co_u32_e64 v8, s[0:1], 4, v7
	v_addc_co_u32_e64 v9, s[0:1], 0, v4, s[0:1]
	v_mov_b32_e32 v4, s5
	v_add_co_u32_e64 v7, s[0:1], s4, v10
	v_addc_co_u32_e64 v4, s[0:1], v11, v4, s[0:1]
	v_add_co_u32_e64 v10, s[0:1], 4, v7
	v_addc_co_u32_e64 v11, s[0:1], 0, v4, s[0:1]
	v_mov_b32_e32 v4, s13
	v_addc_co_u32_e32 v5, vcc, v5, v4, vcc
	v_add_co_u32_e32 v4, vcc, 4, v6
	v_addc_co_u32_e32 v5, vcc, 0, v5, vcc
	s_add_i32 s0, s8, -1
	v_add3_u32 v6, s19, v13, v12
.LBB4_7:                                ; =>This Inner Loop Header: Depth=1
	global_store_dword v[4:5], v3, off
	global_store_dword v[10:11], v1, off
	;; [unrolled: 1-line block ×3, first 2 shown]
	v_add_co_u32_e32 v8, vcc, 4, v8
	v_addc_co_u32_e32 v9, vcc, 0, v9, vcc
	v_add_co_u32_e32 v10, vcc, 4, v10
	v_addc_co_u32_e32 v11, vcc, 0, v11, vcc
	v_add_co_u32_e32 v4, vcc, 4, v4
	s_add_i32 s0, s0, -1
	v_add_f32_e32 v15, v15, v3
	v_addc_co_u32_e32 v5, vcc, 0, v5, vcc
	s_cmp_eq_u32 s0, 0
	v_add_u32_e32 v6, s18, v6
	s_cbranch_scc0 .LBB4_7
.LBB4_8:
	v_mov_b32_e32 v1, 0xff800000
.LBB4_9:
	v_sub_f32_e32 v1, v1, v2
	s_mov_b32 s0, 0x3fb8aa3b
	v_mul_f32_e32 v2, 0x3fb8aa3b, v1
	v_fma_f32 v3, v1, s0, -v2
	v_rndne_f32_e32 v4, v2
	v_fmac_f32_e32 v3, 0x32a5705f, v1
	v_sub_f32_e32 v2, v2, v4
	v_add_f32_e32 v2, v2, v3
	v_exp_f32_e32 v2, v2
	v_cvt_i32_f32_e32 v3, v4
	s_mov_b32 s0, 0xc2ce8ed0
	v_cmp_ngt_f32_e32 vcc, s0, v1
	s_mov_b32 s0, 0x42b17218
	v_ldexp_f32 v2, v2, v3
	v_cndmask_b32_e32 v2, 0, v2, vcc
	v_cmp_nlt_f32_e32 vcc, s0, v1
	v_cndmask_b32_e32 v1, v14, v2, vcc
	v_add_f32_e32 v1, v15, v1
	v_cmp_neq_f32_e32 vcc, 0, v1
	s_and_b64 exec, exec, vcc
	s_cbranch_execz .LBB4_20
; %bb.10:
	s_andn2_b64 vcc, exec, s[2:3]
	s_cbranch_vccnz .LBB4_20
; %bb.11:
	v_div_scale_f32 v2, s[0:1], v1, v1, 1.0
	v_rcp_f32_e32 v3, v2
	v_div_scale_f32 v4, vcc, 1.0, v1, 1.0
	s_cmp_gt_u32 s8, 3
	v_fma_f32 v5, -v2, v3, 1.0
	v_fmac_f32_e32 v3, v5, v3
	v_mul_f32_e32 v5, v4, v3
	v_fma_f32 v6, -v2, v5, v4
	v_fmac_f32_e32 v5, v6, v3
	v_fma_f32 v2, -v2, v5, v4
	v_div_fmas_f32 v2, v2, v3, v5
	v_div_fixup_f32 v2, v2, v1, 1.0
	v_ashrrev_i32_e32 v1, 31, v0
	s_cbranch_scc0 .LBB4_15
; %bb.12:
	v_lshlrev_b64 v[4:5], 2, v[0:1]
	v_mov_b32_e32 v6, s13
	v_add_co_u32_e32 v4, vcc, s12, v4
	v_addc_co_u32_e32 v5, vcc, v5, v6, vcc
	s_and_b32 s4, s8, 0x7ffffffc
	v_add_co_u32_e32 v4, vcc, 8, v4
	v_mov_b32_e32 v3, v2
	v_addc_co_u32_e32 v5, vcc, 0, v5, vcc
	s_mov_b32 s0, s4
.LBB4_13:                               ; =>This Inner Loop Header: Depth=1
	global_load_dwordx4 v[6:9], v[4:5], off offset:-8
	s_add_i32 s0, s0, -4
	s_cmp_lg_u32 s0, 0
	s_waitcnt vmcnt(0)
	v_pk_mul_f32 v[6:7], v[2:3], v[6:7]
	v_pk_mul_f32 v[8:9], v[2:3], v[8:9]
	global_store_dwordx4 v[4:5], v[6:9], off offset:-8
	v_add_co_u32_e32 v4, vcc, 16, v4
	v_addc_co_u32_e32 v5, vcc, 0, v5, vcc
	s_cbranch_scc1 .LBB4_13
; %bb.14:
	s_cmp_lg_u32 s4, s8
	s_cselect_b64 s[0:1], -1, 0
	s_branch .LBB4_17
.LBB4_15:
	s_mov_b64 s[0:1], 0
                                        ; implicit-def: $sgpr4
	s_cbranch_execz .LBB4_17
; %bb.16:
	s_mov_b64 s[0:1], -1
	s_mov_b32 s4, 0
.LBB4_17:
	s_andn2_b64 vcc, exec, s[0:1]
	s_cbranch_vccnz .LBB4_20
; %bb.18:
	v_add_co_u32_e32 v0, vcc, s4, v0
	v_addc_co_u32_e32 v1, vcc, 0, v1, vcc
	v_lshlrev_b64 v[0:1], 2, v[0:1]
	v_mov_b32_e32 v3, s13
	v_add_co_u32_e32 v0, vcc, s12, v0
	s_sub_i32 s0, s8, s4
	v_addc_co_u32_e32 v1, vcc, v3, v1, vcc
.LBB4_19:                               ; =>This Inner Loop Header: Depth=1
	global_load_dword v3, v[0:1], off
	s_add_i32 s0, s0, -1
	s_cmp_lg_u32 s0, 0
	s_waitcnt vmcnt(0)
	v_mul_f32_e32 v3, v2, v3
	global_store_dword v[0:1], v3, off
	v_add_co_u32_e32 v0, vcc, 4, v0
	v_addc_co_u32_e32 v1, vcc, 0, v1, vcc
	s_cbranch_scc1 .LBB4_19
.LBB4_20:
	s_endpgm
	.section	.rodata,"a",@progbits
	.p2align	6, 0x0
	.amdhsa_kernel _ZN4vllm3moe17topkGatingSoftmaxIfLi1ELi1ELi8ELi4ELb0ELi1ELNS0_23SharedExpertScoringFuncE1EEEvPKT_PKbPfiPiS9_iiiiii
		.amdhsa_group_segment_fixed_size 0
		.amdhsa_private_segment_fixed_size 0
		.amdhsa_kernarg_size 72
		.amdhsa_user_sgpr_count 6
		.amdhsa_user_sgpr_private_segment_buffer 1
		.amdhsa_user_sgpr_dispatch_ptr 0
		.amdhsa_user_sgpr_queue_ptr 0
		.amdhsa_user_sgpr_kernarg_segment_ptr 1
		.amdhsa_user_sgpr_dispatch_id 0
		.amdhsa_user_sgpr_flat_scratch_init 0
		.amdhsa_user_sgpr_kernarg_preload_length 0
		.amdhsa_user_sgpr_kernarg_preload_offset 0
		.amdhsa_user_sgpr_private_segment_size 0
		.amdhsa_uses_dynamic_stack 0
		.amdhsa_system_sgpr_private_segment_wavefront_offset 0
		.amdhsa_system_sgpr_workgroup_id_x 1
		.amdhsa_system_sgpr_workgroup_id_y 0
		.amdhsa_system_sgpr_workgroup_id_z 0
		.amdhsa_system_sgpr_workgroup_info 0
		.amdhsa_system_vgpr_workitem_id 1
		.amdhsa_next_free_vgpr 20
		.amdhsa_next_free_sgpr 22
		.amdhsa_accum_offset 20
		.amdhsa_reserve_vcc 1
		.amdhsa_reserve_flat_scratch 0
		.amdhsa_float_round_mode_32 0
		.amdhsa_float_round_mode_16_64 0
		.amdhsa_float_denorm_mode_32 3
		.amdhsa_float_denorm_mode_16_64 3
		.amdhsa_dx10_clamp 1
		.amdhsa_ieee_mode 1
		.amdhsa_fp16_overflow 0
		.amdhsa_tg_split 0
		.amdhsa_exception_fp_ieee_invalid_op 0
		.amdhsa_exception_fp_denorm_src 0
		.amdhsa_exception_fp_ieee_div_zero 0
		.amdhsa_exception_fp_ieee_overflow 0
		.amdhsa_exception_fp_ieee_underflow 0
		.amdhsa_exception_fp_ieee_inexact 0
		.amdhsa_exception_int_div_zero 0
	.end_amdhsa_kernel
	.section	.text._ZN4vllm3moe17topkGatingSoftmaxIfLi1ELi1ELi8ELi4ELb0ELi1ELNS0_23SharedExpertScoringFuncE1EEEvPKT_PKbPfiPiS9_iiiiii,"axG",@progbits,_ZN4vllm3moe17topkGatingSoftmaxIfLi1ELi1ELi8ELi4ELb0ELi1ELNS0_23SharedExpertScoringFuncE1EEEvPKT_PKbPfiPiS9_iiiiii,comdat
.Lfunc_end4:
	.size	_ZN4vllm3moe17topkGatingSoftmaxIfLi1ELi1ELi8ELi4ELb0ELi1ELNS0_23SharedExpertScoringFuncE1EEEvPKT_PKbPfiPiS9_iiiiii, .Lfunc_end4-_ZN4vllm3moe17topkGatingSoftmaxIfLi1ELi1ELi8ELi4ELb0ELi1ELNS0_23SharedExpertScoringFuncE1EEEvPKT_PKbPfiPiS9_iiiiii
                                        ; -- End function
	.section	.AMDGPU.csdata,"",@progbits
; Kernel info:
; codeLenInByte = 1432
; NumSgprs: 26
; NumVgprs: 20
; NumAgprs: 0
; TotalNumVgprs: 20
; ScratchSize: 0
; MemoryBound: 0
; FloatMode: 240
; IeeeMode: 1
; LDSByteSize: 0 bytes/workgroup (compile time only)
; SGPRBlocks: 3
; VGPRBlocks: 2
; NumSGPRsForWavesPerEU: 26
; NumVGPRsForWavesPerEU: 20
; AccumOffset: 20
; Occupancy: 8
; WaveLimiterHint : 0
; COMPUTE_PGM_RSRC2:SCRATCH_EN: 0
; COMPUTE_PGM_RSRC2:USER_SGPR: 6
; COMPUTE_PGM_RSRC2:TRAP_HANDLER: 0
; COMPUTE_PGM_RSRC2:TGID_X_EN: 1
; COMPUTE_PGM_RSRC2:TGID_Y_EN: 0
; COMPUTE_PGM_RSRC2:TGID_Z_EN: 0
; COMPUTE_PGM_RSRC2:TIDIG_COMP_CNT: 1
; COMPUTE_PGM_RSRC3_GFX90A:ACCUM_OFFSET: 4
; COMPUTE_PGM_RSRC3_GFX90A:TG_SPLIT: 0
	.section	.text._ZN4vllm3moe17topkGatingSoftmaxIfLi1ELi1ELi8ELi4ELb1ELi2ELNS0_23SharedExpertScoringFuncE1EEEvPKT_PKbPfiPiS9_iiiiii,"axG",@progbits,_ZN4vllm3moe17topkGatingSoftmaxIfLi1ELi1ELi8ELi4ELb1ELi2ELNS0_23SharedExpertScoringFuncE1EEEvPKT_PKbPfiPiS9_iiiiii,comdat
	.protected	_ZN4vllm3moe17topkGatingSoftmaxIfLi1ELi1ELi8ELi4ELb1ELi2ELNS0_23SharedExpertScoringFuncE1EEEvPKT_PKbPfiPiS9_iiiiii ; -- Begin function _ZN4vllm3moe17topkGatingSoftmaxIfLi1ELi1ELi8ELi4ELb1ELi2ELNS0_23SharedExpertScoringFuncE1EEEvPKT_PKbPfiPiS9_iiiiii
	.globl	_ZN4vllm3moe17topkGatingSoftmaxIfLi1ELi1ELi8ELi4ELb1ELi2ELNS0_23SharedExpertScoringFuncE1EEEvPKT_PKbPfiPiS9_iiiiii
	.p2align	8
	.type	_ZN4vllm3moe17topkGatingSoftmaxIfLi1ELi1ELi8ELi4ELb1ELi2ELNS0_23SharedExpertScoringFuncE1EEEvPKT_PKbPfiPiS9_iiiiii,@function
_ZN4vllm3moe17topkGatingSoftmaxIfLi1ELi1ELi8ELi4ELb1ELi2ELNS0_23SharedExpertScoringFuncE1EEEvPKT_PKbPfiPiS9_iiiiii: ; @_ZN4vllm3moe17topkGatingSoftmaxIfLi1ELi1ELi8ELi4ELb1ELi2ELNS0_23SharedExpertScoringFuncE1EEEvPKT_PKbPfiPiS9_iiiiii
; %bb.0:
	s_load_dword s18, s[4:5], 0x18
	v_bfe_u32 v1, v0, 10, 10
	s_lshl_b32 s19, s6, 9
	v_lshlrev_b32_e32 v12, 6, v1
	v_and_b32_e32 v13, 0x3ff, v0
	v_add3_u32 v14, v12, v13, s19
	s_waitcnt lgkmcnt(0)
	v_cmp_gt_i32_e32 vcc, s18, v14
	s_and_saveexec_b64 s[0:1], vcc
	s_cbranch_execz .LBB5_19
; %bb.1:
	s_load_dwordx4 s[0:3], s[4:5], 0x0
	s_load_dwordx2 s[12:13], s[4:5], 0x10
	s_waitcnt lgkmcnt(0)
	s_cmp_eq_u64 s[2:3], 0
	s_cbranch_scc1 .LBB5_3
; %bb.2:
	v_ashrrev_i32_e32 v1, 31, v14
	v_mov_b32_e32 v2, s3
	v_add_co_u32_e32 v0, vcc, s2, v14
	v_addc_co_u32_e32 v1, vcc, v2, v1, vcc
	global_load_ubyte v0, v[0:1], off
	s_waitcnt vmcnt(0)
	v_and_b32_e32 v0, 1, v0
	v_cmp_eq_u32_e32 vcc, 1, v0
	s_xor_b64 s[2:3], vcc, -1
	s_orn2_b64 s[2:3], s[2:3], exec
	s_branch .LBB5_4
.LBB5_3:
	s_mov_b64 s[2:3], -1
.LBB5_4:
	s_load_dwordx2 s[16:17], s[4:5], 0x40
	s_load_dwordx4 s[8:11], s[4:5], 0x30
	v_mov_b32_e32 v2, s1
	s_mov_b32 s6, 0xbfb8aa3b
	s_mov_b32 s7, 0x42ce8ed0
	s_waitcnt lgkmcnt(0)
	v_mul_lo_u32 v0, v14, s17
	v_ashrrev_i32_e32 v1, 31, v0
	v_lshlrev_b64 v[0:1], 2, v[0:1]
	v_add_co_u32_e32 v4, vcc, s0, v0
	v_addc_co_u32_e32 v5, vcc, v2, v1, vcc
	global_load_dwordx2 v[2:3], v[4:5], off
	s_mov_b32 s14, 0xc2b17218
	v_mov_b32_e32 v1, 0x7f800000
	v_mul_lo_u32 v0, v14, s11
	v_mov_b32_e32 v8, s13
	s_cmp_gt_i32 s8, 0
	s_waitcnt vmcnt(0)
	v_mul_f32_e32 v6, 0xbfb8aa3b, v3
	v_fma_f32 v7, v3, s6, -v6
	v_rndne_f32_e32 v9, v6
	v_fmac_f32_e32 v7, 0xb2a5705f, v3
	v_sub_f32_e32 v6, v6, v9
	v_add_f32_e32 v6, v6, v7
	v_cvt_i32_f32_e32 v9, v9
	v_exp_f32_e32 v10, v6
	v_cmp_nlt_f32_e32 vcc, s7, v3
	v_add_u32_e32 v6, s8, v0
	v_ashrrev_i32_e32 v7, 31, v6
	v_ldexp_f32 v9, v10, v9
	v_cndmask_b32_e32 v9, 0, v9, vcc
	v_cmp_ngt_f32_e32 vcc, s14, v3
	v_cndmask_b32_e32 v3, v1, v9, vcc
	v_add_f32_e32 v3, 1.0, v3
	v_div_scale_f32 v9, s[0:1], v3, v3, 1.0
	v_rcp_f32_e32 v10, v9
	v_lshlrev_b64 v[6:7], 2, v[6:7]
	v_add_co_u32_e32 v6, vcc, s12, v6
	v_addc_co_u32_e32 v7, vcc, v8, v7, vcc
	v_fma_f32 v11, -v9, v10, 1.0
	v_div_scale_f32 v8, vcc, 1.0, v3, 1.0
	v_fmac_f32_e32 v10, v11, v10
	v_mul_f32_e32 v11, v8, v10
	v_fma_f32 v15, -v9, v11, v8
	v_fmac_f32_e32 v11, v15, v10
	v_fma_f32 v8, -v9, v11, v8
	v_div_fmas_f32 v8, v8, v10, v11
	v_div_fixup_f32 v3, v8, v3, 1.0
	global_store_dword v[6:7], v3, off
	global_load_dword v3, v[4:5], off offset:8
	v_mov_b32_e32 v15, 0
	s_waitcnt vmcnt(0)
	v_mul_f32_e32 v4, 0xbfb8aa3b, v3
	v_fma_f32 v5, v3, s6, -v4
	v_rndne_f32_e32 v8, v4
	v_fmac_f32_e32 v5, 0xb2a5705f, v3
	v_sub_f32_e32 v4, v4, v8
	v_add_f32_e32 v4, v4, v5
	v_cvt_i32_f32_e32 v8, v8
	v_exp_f32_e32 v4, v4
	v_cmp_nlt_f32_e32 vcc, s7, v3
	v_ldexp_f32 v4, v4, v8
	v_cndmask_b32_e32 v4, 0, v4, vcc
	v_cmp_ngt_f32_e32 vcc, s14, v3
	v_cndmask_b32_e32 v3, v1, v4, vcc
	v_add_f32_e32 v3, 1.0, v3
	v_div_scale_f32 v4, s[0:1], v3, v3, 1.0
	v_rcp_f32_e32 v5, v4
	v_div_scale_f32 v8, vcc, 1.0, v3, 1.0
	s_cselect_b64 s[14:15], -1, 0
	v_fma_f32 v9, -v4, v5, 1.0
	v_fmac_f32_e32 v5, v9, v5
	v_mul_f32_e32 v9, v8, v5
	v_fma_f32 v10, -v4, v9, v8
	v_fmac_f32_e32 v9, v10, v5
	v_fma_f32 v4, -v4, v9, v8
	v_div_fmas_f32 v4, v4, v5, v9
	v_div_fixup_f32 v3, v4, v3, 1.0
	s_cmp_lt_i32 s8, 1
	global_store_dword v[6:7], v3, off offset:4
	s_cbranch_scc1 .LBB5_8
; %bb.5:
	v_sub_f32_e32 v3, v2, v2
	v_mul_f32_e32 v4, 0x3fb8aa3b, v3
	s_mov_b32 s11, 0x3fb8aa3b
	v_rndne_f32_e32 v5, v4
	v_sub_f32_e32 v6, v4, v5
	v_fma_f32 v4, v3, s11, -v4
	v_fmac_f32_e32 v4, 0x32a5705f, v3
	v_add_f32_e32 v4, v6, v4
	s_cmp_lt_i32 s9, 1
	v_exp_f32_e32 v4, v4
	v_cvt_i32_f32_e32 v5, v5
	s_cselect_b64 s[0:1], -1, 0
	s_cmp_gt_i32 s10, 0
	v_mul_lo_u32 v8, v14, s16
	s_cselect_b64 s[16:17], -1, 0
	s_and_b64 s[20:21], s[0:1], s[16:17]
	s_mov_b32 s16, 0xc2ce8ed0
	v_ldexp_f32 v4, v4, v5
	v_cmp_ngt_f32_e32 vcc, s16, v3
	s_mov_b32 s10, 0x42b17218
	v_cndmask_b32_e32 v4, 0, v4, vcc
	v_cmp_nlt_f32_e32 vcc, s10, v3
	v_cndmask_b32_e32 v15, v1, v4, vcc
	v_ashrrev_i32_e32 v1, 31, v0
	s_load_dwordx4 s[4:7], s[4:5], 0x20
	v_lshlrev_b64 v[4:5], 2, v[0:1]
	v_mov_b32_e32 v1, s13
	v_add_co_u32_e32 v6, vcc, s12, v4
	v_addc_co_u32_e64 v7, s[0:1], v1, v5, vcc
	s_sub_i32 s0, 0, s9
	v_ashrrev_i32_e32 v9, 31, v8
	v_mul_lo_u32 v10, v14, s8
	v_mov_b32_e32 v1, s0
	s_and_b64 s[0:1], s[2:3], s[20:21]
	v_lshlrev_b64 v[8:9], 2, v[8:9]
	v_cndmask_b32_e64 v1, 1, v1, s[0:1]
	s_waitcnt lgkmcnt(0)
	v_mov_b32_e32 v3, s5
	v_add_co_u32_e64 v16, s[0:1], s4, v8
	v_ashrrev_i32_e32 v11, 31, v10
	v_addc_co_u32_e64 v17, s[0:1], v3, v9, s[0:1]
	v_lshlrev_b64 v[10:11], 2, v[10:11]
	global_store_dword v[16:17], v1, off
	v_mov_b32_e32 v3, s7
	v_add_co_u32_e64 v16, s[0:1], s6, v10
	v_addc_co_u32_e64 v17, s[0:1], v3, v11, s[0:1]
	s_cmp_eq_u32 s8, 1
	global_store_dword v[6:7], v15, off
	global_store_dword v[16:17], v14, off
	s_cbranch_scc1 .LBB5_8
; %bb.6:
	v_sub_f32_e32 v2, 0xff800000, v2
	v_mul_f32_e32 v3, 0x3fb8aa3b, v2
	v_fma_f32 v4, v2, s11, -v3
	v_rndne_f32_e32 v7, v3
	v_fmac_f32_e32 v4, 0x32a5705f, v2
	v_sub_f32_e32 v3, v3, v7
	v_add_f32_e32 v3, v3, v4
	v_cvt_i32_f32_e32 v4, v7
	v_exp_f32_e32 v3, v3
	v_cmp_ngt_f32_e64 s[0:1], s16, v2
	s_add_i32 s19, s19, s18
	v_ldexp_f32 v3, v3, v4
	v_cndmask_b32_e64 v3, 0, v3, s[0:1]
	v_mov_b32_e32 v4, 0x7f800000
	v_cmp_nlt_f32_e64 s[0:1], s10, v2
	v_cndmask_b32_e64 v7, v4, v3, s[0:1]
	v_mov_b32_e32 v2, s7
	v_add_co_u32_e64 v3, s[0:1], s6, v10
	v_addc_co_u32_e64 v4, s[0:1], v11, v2, s[0:1]
	v_add_co_u32_e64 v2, s[0:1], 4, v3
	v_addc_co_u32_e64 v3, s[0:1], 0, v4, s[0:1]
	v_mov_b32_e32 v4, s5
	v_add_co_u32_e64 v8, s[0:1], s4, v8
	v_addc_co_u32_e64 v4, s[0:1], v9, v4, s[0:1]
	v_add_co_u32_e64 v8, s[0:1], 4, v8
	v_addc_co_u32_e64 v9, s[0:1], 0, v4, s[0:1]
	v_mov_b32_e32 v4, s13
	v_addc_co_u32_e32 v5, vcc, v5, v4, vcc
	v_add_co_u32_e32 v4, vcc, 4, v6
	v_addc_co_u32_e32 v5, vcc, 0, v5, vcc
	s_add_i32 s0, s8, -1
	v_add3_u32 v6, s19, v13, v12
.LBB5_7:                                ; =>This Inner Loop Header: Depth=1
	global_store_dword v[4:5], v7, off
	global_store_dword v[8:9], v1, off
	;; [unrolled: 1-line block ×3, first 2 shown]
	v_add_co_u32_e32 v2, vcc, 4, v2
	v_addc_co_u32_e32 v3, vcc, 0, v3, vcc
	v_add_co_u32_e32 v8, vcc, 4, v8
	v_addc_co_u32_e32 v9, vcc, 0, v9, vcc
	v_add_co_u32_e32 v4, vcc, 4, v4
	s_add_i32 s0, s0, -1
	v_add_f32_e32 v15, v15, v7
	v_addc_co_u32_e32 v5, vcc, 0, v5, vcc
	s_cmp_eq_u32 s0, 0
	v_add_u32_e32 v6, s18, v6
	s_cbranch_scc0 .LBB5_7
.LBB5_8:
	v_cmp_neq_f32_e32 vcc, 0, v15
	s_and_b64 exec, exec, vcc
	s_cbranch_execz .LBB5_19
; %bb.9:
	s_andn2_b64 vcc, exec, s[14:15]
	s_cbranch_vccnz .LBB5_19
; %bb.10:
	v_div_scale_f32 v1, s[0:1], v15, v15, 1.0
	v_rcp_f32_e32 v2, v1
	v_div_scale_f32 v3, vcc, 1.0, v15, 1.0
	s_cmp_gt_u32 s8, 3
	v_fma_f32 v4, -v1, v2, 1.0
	v_fmac_f32_e32 v2, v4, v2
	v_mul_f32_e32 v4, v3, v2
	v_fma_f32 v5, -v1, v4, v3
	v_fmac_f32_e32 v4, v5, v2
	v_fma_f32 v1, -v1, v4, v3
	v_div_fmas_f32 v1, v1, v2, v4
	v_div_fixup_f32 v2, v1, v15, 1.0
	v_ashrrev_i32_e32 v1, 31, v0
	s_cbranch_scc0 .LBB5_14
; %bb.11:
	v_lshlrev_b64 v[4:5], 2, v[0:1]
	v_mov_b32_e32 v6, s13
	v_add_co_u32_e32 v4, vcc, s12, v4
	v_addc_co_u32_e32 v5, vcc, v5, v6, vcc
	s_and_b32 s4, s8, 0x7ffffffc
	v_add_co_u32_e32 v4, vcc, 8, v4
	v_mov_b32_e32 v3, v2
	v_addc_co_u32_e32 v5, vcc, 0, v5, vcc
	s_mov_b32 s0, s4
.LBB5_12:                               ; =>This Inner Loop Header: Depth=1
	global_load_dwordx4 v[6:9], v[4:5], off offset:-8
	s_add_i32 s0, s0, -4
	s_cmp_lg_u32 s0, 0
	s_waitcnt vmcnt(0)
	v_pk_mul_f32 v[6:7], v[2:3], v[6:7]
	v_pk_mul_f32 v[8:9], v[2:3], v[8:9]
	global_store_dwordx4 v[4:5], v[6:9], off offset:-8
	v_add_co_u32_e32 v4, vcc, 16, v4
	v_addc_co_u32_e32 v5, vcc, 0, v5, vcc
	s_cbranch_scc1 .LBB5_12
; %bb.13:
	s_cmp_lg_u32 s4, s8
	s_cselect_b64 s[0:1], -1, 0
	s_branch .LBB5_16
.LBB5_14:
	s_mov_b64 s[0:1], 0
                                        ; implicit-def: $sgpr4
	s_cbranch_execz .LBB5_16
; %bb.15:
	s_mov_b64 s[0:1], -1
	s_mov_b32 s4, 0
.LBB5_16:
	s_andn2_b64 vcc, exec, s[0:1]
	s_cbranch_vccnz .LBB5_19
; %bb.17:
	v_add_co_u32_e32 v0, vcc, s4, v0
	v_addc_co_u32_e32 v1, vcc, 0, v1, vcc
	v_lshlrev_b64 v[0:1], 2, v[0:1]
	v_mov_b32_e32 v3, s13
	v_add_co_u32_e32 v0, vcc, s12, v0
	s_sub_i32 s0, s8, s4
	v_addc_co_u32_e32 v1, vcc, v3, v1, vcc
.LBB5_18:                               ; =>This Inner Loop Header: Depth=1
	global_load_dword v3, v[0:1], off
	s_add_i32 s0, s0, -1
	s_cmp_lg_u32 s0, 0
	s_waitcnt vmcnt(0)
	v_mul_f32_e32 v3, v2, v3
	global_store_dword v[0:1], v3, off
	v_add_co_u32_e32 v0, vcc, 4, v0
	v_addc_co_u32_e32 v1, vcc, 0, v1, vcc
	s_cbranch_scc1 .LBB5_18
.LBB5_19:
	s_endpgm
	.section	.rodata,"a",@progbits
	.p2align	6, 0x0
	.amdhsa_kernel _ZN4vllm3moe17topkGatingSoftmaxIfLi1ELi1ELi8ELi4ELb1ELi2ELNS0_23SharedExpertScoringFuncE1EEEvPKT_PKbPfiPiS9_iiiiii
		.amdhsa_group_segment_fixed_size 0
		.amdhsa_private_segment_fixed_size 0
		.amdhsa_kernarg_size 72
		.amdhsa_user_sgpr_count 6
		.amdhsa_user_sgpr_private_segment_buffer 1
		.amdhsa_user_sgpr_dispatch_ptr 0
		.amdhsa_user_sgpr_queue_ptr 0
		.amdhsa_user_sgpr_kernarg_segment_ptr 1
		.amdhsa_user_sgpr_dispatch_id 0
		.amdhsa_user_sgpr_flat_scratch_init 0
		.amdhsa_user_sgpr_kernarg_preload_length 0
		.amdhsa_user_sgpr_kernarg_preload_offset 0
		.amdhsa_user_sgpr_private_segment_size 0
		.amdhsa_uses_dynamic_stack 0
		.amdhsa_system_sgpr_private_segment_wavefront_offset 0
		.amdhsa_system_sgpr_workgroup_id_x 1
		.amdhsa_system_sgpr_workgroup_id_y 0
		.amdhsa_system_sgpr_workgroup_id_z 0
		.amdhsa_system_sgpr_workgroup_info 0
		.amdhsa_system_vgpr_workitem_id 1
		.amdhsa_next_free_vgpr 18
		.amdhsa_next_free_sgpr 22
		.amdhsa_accum_offset 20
		.amdhsa_reserve_vcc 1
		.amdhsa_reserve_flat_scratch 0
		.amdhsa_float_round_mode_32 0
		.amdhsa_float_round_mode_16_64 0
		.amdhsa_float_denorm_mode_32 3
		.amdhsa_float_denorm_mode_16_64 3
		.amdhsa_dx10_clamp 1
		.amdhsa_ieee_mode 1
		.amdhsa_fp16_overflow 0
		.amdhsa_tg_split 0
		.amdhsa_exception_fp_ieee_invalid_op 0
		.amdhsa_exception_fp_denorm_src 0
		.amdhsa_exception_fp_ieee_div_zero 0
		.amdhsa_exception_fp_ieee_overflow 0
		.amdhsa_exception_fp_ieee_underflow 0
		.amdhsa_exception_fp_ieee_inexact 0
		.amdhsa_exception_int_div_zero 0
	.end_amdhsa_kernel
	.section	.text._ZN4vllm3moe17topkGatingSoftmaxIfLi1ELi1ELi8ELi4ELb1ELi2ELNS0_23SharedExpertScoringFuncE1EEEvPKT_PKbPfiPiS9_iiiiii,"axG",@progbits,_ZN4vllm3moe17topkGatingSoftmaxIfLi1ELi1ELi8ELi4ELb1ELi2ELNS0_23SharedExpertScoringFuncE1EEEvPKT_PKbPfiPiS9_iiiiii,comdat
.Lfunc_end5:
	.size	_ZN4vllm3moe17topkGatingSoftmaxIfLi1ELi1ELi8ELi4ELb1ELi2ELNS0_23SharedExpertScoringFuncE1EEEvPKT_PKbPfiPiS9_iiiiii, .Lfunc_end5-_ZN4vllm3moe17topkGatingSoftmaxIfLi1ELi1ELi8ELi4ELb1ELi2ELNS0_23SharedExpertScoringFuncE1EEEvPKT_PKbPfiPiS9_iiiiii
                                        ; -- End function
	.section	.AMDGPU.csdata,"",@progbits
; Kernel info:
; codeLenInByte = 1484
; NumSgprs: 26
; NumVgprs: 18
; NumAgprs: 0
; TotalNumVgprs: 18
; ScratchSize: 0
; MemoryBound: 0
; FloatMode: 240
; IeeeMode: 1
; LDSByteSize: 0 bytes/workgroup (compile time only)
; SGPRBlocks: 3
; VGPRBlocks: 2
; NumSGPRsForWavesPerEU: 26
; NumVGPRsForWavesPerEU: 18
; AccumOffset: 20
; Occupancy: 8
; WaveLimiterHint : 0
; COMPUTE_PGM_RSRC2:SCRATCH_EN: 0
; COMPUTE_PGM_RSRC2:USER_SGPR: 6
; COMPUTE_PGM_RSRC2:TRAP_HANDLER: 0
; COMPUTE_PGM_RSRC2:TGID_X_EN: 1
; COMPUTE_PGM_RSRC2:TGID_Y_EN: 0
; COMPUTE_PGM_RSRC2:TGID_Z_EN: 0
; COMPUTE_PGM_RSRC2:TIDIG_COMP_CNT: 1
; COMPUTE_PGM_RSRC3_GFX90A:ACCUM_OFFSET: 4
; COMPUTE_PGM_RSRC3_GFX90A:TG_SPLIT: 0
	.section	.text._ZN4vllm3moe17topkGatingSoftmaxIfLi1ELi1ELi8ELi4ELb0ELi2ELNS0_23SharedExpertScoringFuncE1EEEvPKT_PKbPfiPiS9_iiiiii,"axG",@progbits,_ZN4vllm3moe17topkGatingSoftmaxIfLi1ELi1ELi8ELi4ELb0ELi2ELNS0_23SharedExpertScoringFuncE1EEEvPKT_PKbPfiPiS9_iiiiii,comdat
	.protected	_ZN4vllm3moe17topkGatingSoftmaxIfLi1ELi1ELi8ELi4ELb0ELi2ELNS0_23SharedExpertScoringFuncE1EEEvPKT_PKbPfiPiS9_iiiiii ; -- Begin function _ZN4vllm3moe17topkGatingSoftmaxIfLi1ELi1ELi8ELi4ELb0ELi2ELNS0_23SharedExpertScoringFuncE1EEEvPKT_PKbPfiPiS9_iiiiii
	.globl	_ZN4vllm3moe17topkGatingSoftmaxIfLi1ELi1ELi8ELi4ELb0ELi2ELNS0_23SharedExpertScoringFuncE1EEEvPKT_PKbPfiPiS9_iiiiii
	.p2align	8
	.type	_ZN4vllm3moe17topkGatingSoftmaxIfLi1ELi1ELi8ELi4ELb0ELi2ELNS0_23SharedExpertScoringFuncE1EEEvPKT_PKbPfiPiS9_iiiiii,@function
_ZN4vllm3moe17topkGatingSoftmaxIfLi1ELi1ELi8ELi4ELb0ELi2ELNS0_23SharedExpertScoringFuncE1EEEvPKT_PKbPfiPiS9_iiiiii: ; @_ZN4vllm3moe17topkGatingSoftmaxIfLi1ELi1ELi8ELi4ELb0ELi2ELNS0_23SharedExpertScoringFuncE1EEEvPKT_PKbPfiPiS9_iiiiii
; %bb.0:
	s_load_dword s18, s[4:5], 0x18
	v_bfe_u32 v1, v0, 10, 10
	s_lshl_b32 s19, s6, 9
	v_lshlrev_b32_e32 v12, 6, v1
	v_and_b32_e32 v13, 0x3ff, v0
	v_add3_u32 v15, v12, v13, s19
	s_waitcnt lgkmcnt(0)
	v_cmp_gt_i32_e32 vcc, s18, v15
	s_and_saveexec_b64 s[0:1], vcc
	s_cbranch_execz .LBB6_20
; %bb.1:
	s_load_dwordx4 s[0:3], s[4:5], 0x0
	s_load_dwordx2 s[12:13], s[4:5], 0x10
	s_waitcnt lgkmcnt(0)
	s_cmp_eq_u64 s[2:3], 0
	s_cbranch_scc1 .LBB6_3
; %bb.2:
	v_ashrrev_i32_e32 v1, 31, v15
	v_mov_b32_e32 v2, s3
	v_add_co_u32_e32 v0, vcc, s2, v15
	v_addc_co_u32_e32 v1, vcc, v2, v1, vcc
	global_load_ubyte v0, v[0:1], off
	s_waitcnt vmcnt(0)
	v_and_b32_e32 v0, 1, v0
	v_cmp_eq_u32_e32 vcc, 1, v0
	s_xor_b64 s[2:3], vcc, -1
	s_orn2_b64 s[14:15], s[2:3], exec
	s_branch .LBB6_4
.LBB6_3:
	s_mov_b64 s[14:15], -1
.LBB6_4:
	s_load_dwordx2 s[16:17], s[4:5], 0x40
	s_load_dwordx4 s[8:11], s[4:5], 0x30
	v_mov_b32_e32 v2, s1
	s_mov_b32 s2, 0xbfb8aa3b
	s_mov_b32 s6, 0x42ce8ed0
	s_waitcnt lgkmcnt(0)
	v_mul_lo_u32 v0, v15, s17
	v_ashrrev_i32_e32 v1, 31, v0
	v_lshlrev_b64 v[0:1], 2, v[0:1]
	v_add_co_u32_e32 v4, vcc, s0, v0
	v_addc_co_u32_e32 v5, vcc, v2, v1, vcc
	global_load_dwordx2 v[2:3], v[4:5], off
	s_mov_b32 s7, 0xc2b17218
	v_mov_b32_e32 v14, 0x7f800000
	v_mul_lo_u32 v0, v15, s11
	v_mov_b32_e32 v1, s13
	s_cmp_gt_i32 s8, 0
	s_waitcnt vmcnt(0)
	v_mul_f32_e32 v6, 0xbfb8aa3b, v3
	v_fma_f32 v7, v3, s2, -v6
	v_rndne_f32_e32 v8, v6
	v_fmac_f32_e32 v7, 0xb2a5705f, v3
	v_sub_f32_e32 v6, v6, v8
	v_add_f32_e32 v6, v6, v7
	v_cvt_i32_f32_e32 v8, v8
	v_exp_f32_e32 v9, v6
	v_cmp_nlt_f32_e32 vcc, s6, v3
	v_add_u32_e32 v6, s8, v0
	v_ashrrev_i32_e32 v7, 31, v6
	v_ldexp_f32 v8, v9, v8
	v_cndmask_b32_e32 v8, 0, v8, vcc
	v_cmp_ngt_f32_e32 vcc, s7, v3
	v_cndmask_b32_e32 v3, v14, v8, vcc
	v_add_f32_e32 v3, 1.0, v3
	v_div_scale_f32 v8, s[0:1], v3, v3, 1.0
	v_rcp_f32_e32 v9, v8
	v_lshlrev_b64 v[6:7], 2, v[6:7]
	v_add_co_u32_e32 v6, vcc, s12, v6
	v_addc_co_u32_e32 v7, vcc, v1, v7, vcc
	v_fma_f32 v10, -v8, v9, 1.0
	v_div_scale_f32 v1, vcc, 1.0, v3, 1.0
	v_fmac_f32_e32 v9, v10, v9
	v_mul_f32_e32 v10, v1, v9
	v_fma_f32 v11, -v8, v10, v1
	v_fmac_f32_e32 v10, v11, v9
	v_fma_f32 v1, -v8, v10, v1
	v_div_fmas_f32 v1, v1, v9, v10
	v_div_fixup_f32 v1, v1, v3, 1.0
	global_store_dword v[6:7], v1, off
	global_load_dword v1, v[4:5], off offset:8
	s_waitcnt vmcnt(0)
	v_mul_f32_e32 v3, 0xbfb8aa3b, v1
	v_fma_f32 v4, v1, s2, -v3
	v_rndne_f32_e32 v5, v3
	v_fmac_f32_e32 v4, 0xb2a5705f, v1
	v_sub_f32_e32 v3, v3, v5
	v_add_f32_e32 v3, v3, v4
	v_cvt_i32_f32_e32 v5, v5
	v_exp_f32_e32 v4, v3
	v_cmp_nlt_f32_e32 vcc, s6, v1
	v_mov_b32_e32 v3, 0
	s_cselect_b64 s[2:3], -1, 0
	v_ldexp_f32 v4, v4, v5
	v_cndmask_b32_e32 v4, 0, v4, vcc
	v_cmp_ngt_f32_e32 vcc, s7, v1
	v_cndmask_b32_e32 v1, v14, v4, vcc
	v_add_f32_e32 v1, 1.0, v1
	v_div_scale_f32 v4, s[0:1], v1, v1, 1.0
	v_rcp_f32_e32 v5, v4
	v_div_scale_f32 v8, vcc, 1.0, v1, 1.0
	s_cmp_lt_i32 s8, 1
	v_fma_f32 v9, -v4, v5, 1.0
	v_fmac_f32_e32 v5, v9, v5
	v_mul_f32_e32 v9, v8, v5
	v_fma_f32 v10, -v4, v9, v8
	v_fmac_f32_e32 v9, v10, v5
	v_fma_f32 v4, -v4, v9, v8
	v_div_fmas_f32 v4, v4, v5, v9
	v_div_fixup_f32 v1, v4, v1, 1.0
	global_store_dword v[6:7], v1, off offset:4
	v_mov_b32_e32 v1, v2
	s_cbranch_scc1 .LBB6_9
; %bb.5:
	v_sub_f32_e32 v1, v2, v2
	v_mul_f32_e32 v3, 0x3fb8aa3b, v1
	s_mov_b32 s11, 0x3fb8aa3b
	v_rndne_f32_e32 v4, v3
	v_sub_f32_e32 v5, v3, v4
	v_fma_f32 v3, v1, s11, -v3
	v_fmac_f32_e32 v3, 0x32a5705f, v1
	v_add_f32_e32 v3, v5, v3
	s_cmp_lt_i32 s9, 1
	v_exp_f32_e32 v3, v3
	v_cvt_i32_f32_e32 v4, v4
	s_cselect_b64 s[0:1], -1, 0
	s_cmp_gt_i32 s10, 0
	v_mul_lo_u32 v8, v15, s16
	s_cselect_b64 s[16:17], -1, 0
	s_and_b64 s[20:21], s[0:1], s[16:17]
	s_mov_b32 s16, 0xc2ce8ed0
	v_ldexp_f32 v3, v3, v4
	v_cmp_ngt_f32_e32 vcc, s16, v1
	s_mov_b32 s10, 0x42b17218
	v_cndmask_b32_e32 v3, 0, v3, vcc
	v_cmp_nlt_f32_e32 vcc, s10, v1
	v_ashrrev_i32_e32 v1, 31, v0
	s_load_dwordx4 s[4:7], s[4:5], 0x20
	v_lshlrev_b64 v[4:5], 2, v[0:1]
	v_cndmask_b32_e32 v3, v14, v3, vcc
	v_mov_b32_e32 v1, s13
	v_add_co_u32_e32 v6, vcc, s12, v4
	v_addc_co_u32_e64 v7, s[0:1], v1, v5, vcc
	s_sub_i32 s0, 0, s9
	v_ashrrev_i32_e32 v9, 31, v8
	v_mov_b32_e32 v1, s0
	s_and_b64 s[0:1], s[14:15], s[20:21]
	v_lshlrev_b64 v[10:11], 2, v[8:9]
	v_mul_lo_u32 v16, v15, s8
	v_cndmask_b32_e64 v1, 1, v1, s[0:1]
	s_waitcnt lgkmcnt(0)
	v_mov_b32_e32 v4, s5
	v_add_co_u32_e64 v8, s[0:1], s4, v10
	v_addc_co_u32_e64 v9, s[0:1], v4, v11, s[0:1]
	v_ashrrev_i32_e32 v17, 31, v16
	global_store_dword v[8:9], v1, off
	v_lshlrev_b64 v[8:9], 2, v[16:17]
	v_mov_b32_e32 v4, s7
	v_add_co_u32_e64 v16, s[0:1], s6, v8
	v_addc_co_u32_e64 v17, s[0:1], v4, v9, s[0:1]
	s_cmp_eq_u32 s8, 1
	global_store_dword v[6:7], v3, off
	global_store_dword v[16:17], v15, off
	s_cbranch_scc1 .LBB6_8
; %bb.6:
	v_sub_f32_e32 v4, 0xff800000, v2
	v_mul_f32_e32 v7, 0x3fb8aa3b, v4
	v_fma_f32 v15, v4, s11, -v7
	v_rndne_f32_e32 v16, v7
	v_fmac_f32_e32 v15, 0x32a5705f, v4
	v_sub_f32_e32 v7, v7, v16
	v_add_f32_e32 v7, v7, v15
	v_cvt_i32_f32_e32 v15, v16
	v_exp_f32_e32 v7, v7
	v_cmp_ngt_f32_e64 s[0:1], s16, v4
	s_add_i32 s19, s19, s18
	v_ldexp_f32 v7, v7, v15
	v_cndmask_b32_e64 v7, 0, v7, s[0:1]
	v_mov_b32_e32 v15, 0x7f800000
	v_cmp_nlt_f32_e64 s[0:1], s10, v4
	v_cndmask_b32_e64 v7, v15, v7, s[0:1]
	v_mov_b32_e32 v4, s7
	v_add_co_u32_e64 v8, s[0:1], s6, v8
	v_addc_co_u32_e64 v4, s[0:1], v9, v4, s[0:1]
	v_add_co_u32_e64 v8, s[0:1], 4, v8
	v_addc_co_u32_e64 v9, s[0:1], 0, v4, s[0:1]
	v_mov_b32_e32 v4, s5
	v_add_co_u32_e64 v10, s[0:1], s4, v10
	v_addc_co_u32_e64 v4, s[0:1], v11, v4, s[0:1]
	v_add_co_u32_e64 v10, s[0:1], 4, v10
	v_addc_co_u32_e64 v11, s[0:1], 0, v4, s[0:1]
	v_mov_b32_e32 v4, s13
	v_addc_co_u32_e32 v5, vcc, v5, v4, vcc
	v_add_co_u32_e32 v4, vcc, 4, v6
	v_addc_co_u32_e32 v5, vcc, 0, v5, vcc
	s_add_i32 s0, s8, -1
	v_add3_u32 v6, s19, v13, v12
.LBB6_7:                                ; =>This Inner Loop Header: Depth=1
	global_store_dword v[4:5], v7, off
	global_store_dword v[10:11], v1, off
	;; [unrolled: 1-line block ×3, first 2 shown]
	v_add_co_u32_e32 v8, vcc, 4, v8
	v_addc_co_u32_e32 v9, vcc, 0, v9, vcc
	v_add_co_u32_e32 v10, vcc, 4, v10
	v_addc_co_u32_e32 v11, vcc, 0, v11, vcc
	v_add_co_u32_e32 v4, vcc, 4, v4
	s_add_i32 s0, s0, -1
	v_add_f32_e32 v3, v3, v7
	v_addc_co_u32_e32 v5, vcc, 0, v5, vcc
	s_cmp_eq_u32 s0, 0
	v_add_u32_e32 v6, s18, v6
	s_cbranch_scc0 .LBB6_7
.LBB6_8:
	v_mov_b32_e32 v1, 0xff800000
.LBB6_9:
	v_sub_f32_e32 v1, v1, v2
	s_mov_b32 s0, 0x3fb8aa3b
	v_mul_f32_e32 v2, 0x3fb8aa3b, v1
	v_fma_f32 v4, v1, s0, -v2
	v_rndne_f32_e32 v5, v2
	v_fmac_f32_e32 v4, 0x32a5705f, v1
	v_sub_f32_e32 v2, v2, v5
	v_add_f32_e32 v2, v2, v4
	v_exp_f32_e32 v2, v2
	v_cvt_i32_f32_e32 v4, v5
	s_mov_b32 s0, 0xc2ce8ed0
	v_cmp_ngt_f32_e32 vcc, s0, v1
	s_mov_b32 s0, 0x42b17218
	v_ldexp_f32 v2, v2, v4
	v_cndmask_b32_e32 v2, 0, v2, vcc
	v_cmp_nlt_f32_e32 vcc, s0, v1
	v_cndmask_b32_e32 v1, v14, v2, vcc
	v_add_f32_e32 v1, v3, v1
	v_cmp_neq_f32_e32 vcc, 0, v1
	s_and_b64 exec, exec, vcc
	s_cbranch_execz .LBB6_20
; %bb.10:
	s_andn2_b64 vcc, exec, s[2:3]
	s_cbranch_vccnz .LBB6_20
; %bb.11:
	v_div_scale_f32 v2, s[0:1], v1, v1, 1.0
	v_rcp_f32_e32 v3, v2
	v_div_scale_f32 v4, vcc, 1.0, v1, 1.0
	s_cmp_gt_u32 s8, 3
	v_fma_f32 v5, -v2, v3, 1.0
	v_fmac_f32_e32 v3, v5, v3
	v_mul_f32_e32 v5, v4, v3
	v_fma_f32 v6, -v2, v5, v4
	v_fmac_f32_e32 v5, v6, v3
	v_fma_f32 v2, -v2, v5, v4
	v_div_fmas_f32 v2, v2, v3, v5
	v_div_fixup_f32 v2, v2, v1, 1.0
	v_ashrrev_i32_e32 v1, 31, v0
	s_cbranch_scc0 .LBB6_15
; %bb.12:
	v_lshlrev_b64 v[4:5], 2, v[0:1]
	v_mov_b32_e32 v6, s13
	v_add_co_u32_e32 v4, vcc, s12, v4
	v_addc_co_u32_e32 v5, vcc, v5, v6, vcc
	s_and_b32 s4, s8, 0x7ffffffc
	v_add_co_u32_e32 v4, vcc, 8, v4
	v_mov_b32_e32 v3, v2
	v_addc_co_u32_e32 v5, vcc, 0, v5, vcc
	s_mov_b32 s0, s4
.LBB6_13:                               ; =>This Inner Loop Header: Depth=1
	global_load_dwordx4 v[6:9], v[4:5], off offset:-8
	s_add_i32 s0, s0, -4
	s_cmp_lg_u32 s0, 0
	s_waitcnt vmcnt(0)
	v_pk_mul_f32 v[6:7], v[2:3], v[6:7]
	v_pk_mul_f32 v[8:9], v[2:3], v[8:9]
	global_store_dwordx4 v[4:5], v[6:9], off offset:-8
	v_add_co_u32_e32 v4, vcc, 16, v4
	v_addc_co_u32_e32 v5, vcc, 0, v5, vcc
	s_cbranch_scc1 .LBB6_13
; %bb.14:
	s_cmp_lg_u32 s4, s8
	s_cselect_b64 s[0:1], -1, 0
	s_branch .LBB6_17
.LBB6_15:
	s_mov_b64 s[0:1], 0
                                        ; implicit-def: $sgpr4
	s_cbranch_execz .LBB6_17
; %bb.16:
	s_mov_b64 s[0:1], -1
	s_mov_b32 s4, 0
.LBB6_17:
	s_andn2_b64 vcc, exec, s[0:1]
	s_cbranch_vccnz .LBB6_20
; %bb.18:
	v_add_co_u32_e32 v0, vcc, s4, v0
	v_addc_co_u32_e32 v1, vcc, 0, v1, vcc
	v_lshlrev_b64 v[0:1], 2, v[0:1]
	v_mov_b32_e32 v3, s13
	v_add_co_u32_e32 v0, vcc, s12, v0
	s_sub_i32 s0, s8, s4
	v_addc_co_u32_e32 v1, vcc, v3, v1, vcc
.LBB6_19:                               ; =>This Inner Loop Header: Depth=1
	global_load_dword v3, v[0:1], off
	s_add_i32 s0, s0, -1
	s_cmp_lg_u32 s0, 0
	s_waitcnt vmcnt(0)
	v_mul_f32_e32 v3, v2, v3
	global_store_dword v[0:1], v3, off
	v_add_co_u32_e32 v0, vcc, 4, v0
	v_addc_co_u32_e32 v1, vcc, 0, v1, vcc
	s_cbranch_scc1 .LBB6_19
.LBB6_20:
	s_endpgm
	.section	.rodata,"a",@progbits
	.p2align	6, 0x0
	.amdhsa_kernel _ZN4vllm3moe17topkGatingSoftmaxIfLi1ELi1ELi8ELi4ELb0ELi2ELNS0_23SharedExpertScoringFuncE1EEEvPKT_PKbPfiPiS9_iiiiii
		.amdhsa_group_segment_fixed_size 0
		.amdhsa_private_segment_fixed_size 0
		.amdhsa_kernarg_size 72
		.amdhsa_user_sgpr_count 6
		.amdhsa_user_sgpr_private_segment_buffer 1
		.amdhsa_user_sgpr_dispatch_ptr 0
		.amdhsa_user_sgpr_queue_ptr 0
		.amdhsa_user_sgpr_kernarg_segment_ptr 1
		.amdhsa_user_sgpr_dispatch_id 0
		.amdhsa_user_sgpr_flat_scratch_init 0
		.amdhsa_user_sgpr_kernarg_preload_length 0
		.amdhsa_user_sgpr_kernarg_preload_offset 0
		.amdhsa_user_sgpr_private_segment_size 0
		.amdhsa_uses_dynamic_stack 0
		.amdhsa_system_sgpr_private_segment_wavefront_offset 0
		.amdhsa_system_sgpr_workgroup_id_x 1
		.amdhsa_system_sgpr_workgroup_id_y 0
		.amdhsa_system_sgpr_workgroup_id_z 0
		.amdhsa_system_sgpr_workgroup_info 0
		.amdhsa_system_vgpr_workitem_id 1
		.amdhsa_next_free_vgpr 18
		.amdhsa_next_free_sgpr 22
		.amdhsa_accum_offset 20
		.amdhsa_reserve_vcc 1
		.amdhsa_reserve_flat_scratch 0
		.amdhsa_float_round_mode_32 0
		.amdhsa_float_round_mode_16_64 0
		.amdhsa_float_denorm_mode_32 3
		.amdhsa_float_denorm_mode_16_64 3
		.amdhsa_dx10_clamp 1
		.amdhsa_ieee_mode 1
		.amdhsa_fp16_overflow 0
		.amdhsa_tg_split 0
		.amdhsa_exception_fp_ieee_invalid_op 0
		.amdhsa_exception_fp_denorm_src 0
		.amdhsa_exception_fp_ieee_div_zero 0
		.amdhsa_exception_fp_ieee_overflow 0
		.amdhsa_exception_fp_ieee_underflow 0
		.amdhsa_exception_fp_ieee_inexact 0
		.amdhsa_exception_int_div_zero 0
	.end_amdhsa_kernel
	.section	.text._ZN4vllm3moe17topkGatingSoftmaxIfLi1ELi1ELi8ELi4ELb0ELi2ELNS0_23SharedExpertScoringFuncE1EEEvPKT_PKbPfiPiS9_iiiiii,"axG",@progbits,_ZN4vllm3moe17topkGatingSoftmaxIfLi1ELi1ELi8ELi4ELb0ELi2ELNS0_23SharedExpertScoringFuncE1EEEvPKT_PKbPfiPiS9_iiiiii,comdat
.Lfunc_end6:
	.size	_ZN4vllm3moe17topkGatingSoftmaxIfLi1ELi1ELi8ELi4ELb0ELi2ELNS0_23SharedExpertScoringFuncE1EEEvPKT_PKbPfiPiS9_iiiiii, .Lfunc_end6-_ZN4vllm3moe17topkGatingSoftmaxIfLi1ELi1ELi8ELi4ELb0ELi2ELNS0_23SharedExpertScoringFuncE1EEEvPKT_PKbPfiPiS9_iiiiii
                                        ; -- End function
	.section	.AMDGPU.csdata,"",@progbits
; Kernel info:
; codeLenInByte = 1596
; NumSgprs: 26
; NumVgprs: 18
; NumAgprs: 0
; TotalNumVgprs: 18
; ScratchSize: 0
; MemoryBound: 0
; FloatMode: 240
; IeeeMode: 1
; LDSByteSize: 0 bytes/workgroup (compile time only)
; SGPRBlocks: 3
; VGPRBlocks: 2
; NumSGPRsForWavesPerEU: 26
; NumVGPRsForWavesPerEU: 18
; AccumOffset: 20
; Occupancy: 8
; WaveLimiterHint : 0
; COMPUTE_PGM_RSRC2:SCRATCH_EN: 0
; COMPUTE_PGM_RSRC2:USER_SGPR: 6
; COMPUTE_PGM_RSRC2:TRAP_HANDLER: 0
; COMPUTE_PGM_RSRC2:TGID_X_EN: 1
; COMPUTE_PGM_RSRC2:TGID_Y_EN: 0
; COMPUTE_PGM_RSRC2:TGID_Z_EN: 0
; COMPUTE_PGM_RSRC2:TIDIG_COMP_CNT: 1
; COMPUTE_PGM_RSRC3_GFX90A:ACCUM_OFFSET: 4
; COMPUTE_PGM_RSRC3_GFX90A:TG_SPLIT: 0
	.section	.text._ZN4vllm3moe17topkGatingSoftmaxIfLi1ELi1ELi8ELi4ELb1ELi4ELNS0_23SharedExpertScoringFuncE1EEEvPKT_PKbPfiPiS9_iiiiii,"axG",@progbits,_ZN4vllm3moe17topkGatingSoftmaxIfLi1ELi1ELi8ELi4ELb1ELi4ELNS0_23SharedExpertScoringFuncE1EEEvPKT_PKbPfiPiS9_iiiiii,comdat
	.protected	_ZN4vllm3moe17topkGatingSoftmaxIfLi1ELi1ELi8ELi4ELb1ELi4ELNS0_23SharedExpertScoringFuncE1EEEvPKT_PKbPfiPiS9_iiiiii ; -- Begin function _ZN4vllm3moe17topkGatingSoftmaxIfLi1ELi1ELi8ELi4ELb1ELi4ELNS0_23SharedExpertScoringFuncE1EEEvPKT_PKbPfiPiS9_iiiiii
	.globl	_ZN4vllm3moe17topkGatingSoftmaxIfLi1ELi1ELi8ELi4ELb1ELi4ELNS0_23SharedExpertScoringFuncE1EEEvPKT_PKbPfiPiS9_iiiiii
	.p2align	8
	.type	_ZN4vllm3moe17topkGatingSoftmaxIfLi1ELi1ELi8ELi4ELb1ELi4ELNS0_23SharedExpertScoringFuncE1EEEvPKT_PKbPfiPiS9_iiiiii,@function
_ZN4vllm3moe17topkGatingSoftmaxIfLi1ELi1ELi8ELi4ELb1ELi4ELNS0_23SharedExpertScoringFuncE1EEEvPKT_PKbPfiPiS9_iiiiii: ; @_ZN4vllm3moe17topkGatingSoftmaxIfLi1ELi1ELi8ELi4ELb1ELi4ELNS0_23SharedExpertScoringFuncE1EEEvPKT_PKbPfiPiS9_iiiiii
; %bb.0:
	s_load_dword s18, s[4:5], 0x18
	v_bfe_u32 v1, v0, 10, 10
	s_lshl_b32 s19, s6, 9
	v_lshlrev_b32_e32 v12, 6, v1
	v_and_b32_e32 v13, 0x3ff, v0
	v_add3_u32 v14, v12, v13, s19
	s_waitcnt lgkmcnt(0)
	v_cmp_gt_i32_e32 vcc, s18, v14
	s_and_saveexec_b64 s[0:1], vcc
	s_cbranch_execz .LBB7_19
; %bb.1:
	s_load_dwordx4 s[0:3], s[4:5], 0x0
	s_load_dwordx2 s[12:13], s[4:5], 0x10
	s_waitcnt lgkmcnt(0)
	s_cmp_eq_u64 s[2:3], 0
	s_cbranch_scc1 .LBB7_3
; %bb.2:
	v_ashrrev_i32_e32 v1, 31, v14
	v_mov_b32_e32 v2, s3
	v_add_co_u32_e32 v0, vcc, s2, v14
	v_addc_co_u32_e32 v1, vcc, v2, v1, vcc
	global_load_ubyte v0, v[0:1], off
	s_waitcnt vmcnt(0)
	v_and_b32_e32 v0, 1, v0
	v_cmp_eq_u32_e32 vcc, 1, v0
	s_xor_b64 s[2:3], vcc, -1
	s_orn2_b64 s[2:3], s[2:3], exec
	s_branch .LBB7_4
.LBB7_3:
	s_mov_b64 s[2:3], -1
.LBB7_4:
	s_load_dwordx2 s[14:15], s[4:5], 0x40
	s_load_dwordx4 s[8:11], s[4:5], 0x30
	v_mov_b32_e32 v2, s1
	s_mov_b32 s6, 0xbfb8aa3b
	s_mov_b32 s7, 0x42ce8ed0
	s_waitcnt lgkmcnt(0)
	v_mul_lo_u32 v0, v14, s15
	v_ashrrev_i32_e32 v1, 31, v0
	v_lshlrev_b64 v[0:1], 2, v[0:1]
	v_add_co_u32_e32 v4, vcc, s0, v0
	v_addc_co_u32_e32 v5, vcc, v2, v1, vcc
	global_load_dwordx2 v[2:3], v[4:5], off
	s_mov_b32 s15, 0xc2b17218
	v_mov_b32_e32 v1, 0x7f800000
	v_mul_lo_u32 v0, v14, s11
	v_mov_b32_e32 v8, s13
	s_cmp_gt_i32 s8, 0
	s_cselect_b64 s[16:17], -1, 0
	s_cmp_lt_i32 s8, 1
	s_waitcnt vmcnt(0)
	v_mul_f32_e32 v6, 0xbfb8aa3b, v3
	v_fma_f32 v7, v3, s6, -v6
	v_rndne_f32_e32 v9, v6
	v_fmac_f32_e32 v7, 0xb2a5705f, v3
	v_sub_f32_e32 v6, v6, v9
	v_add_f32_e32 v6, v6, v7
	v_cvt_i32_f32_e32 v9, v9
	v_exp_f32_e32 v10, v6
	v_cmp_nlt_f32_e32 vcc, s7, v3
	v_add_u32_e32 v6, s8, v0
	v_ashrrev_i32_e32 v7, 31, v6
	v_ldexp_f32 v9, v10, v9
	v_cndmask_b32_e32 v9, 0, v9, vcc
	v_cmp_ngt_f32_e32 vcc, s15, v3
	v_cndmask_b32_e32 v3, v1, v9, vcc
	v_add_f32_e32 v3, 1.0, v3
	v_div_scale_f32 v9, s[0:1], v3, v3, 1.0
	v_rcp_f32_e32 v10, v9
	v_lshlrev_b64 v[6:7], 2, v[6:7]
	v_add_co_u32_e32 v6, vcc, s12, v6
	v_addc_co_u32_e32 v7, vcc, v8, v7, vcc
	v_fma_f32 v11, -v9, v10, 1.0
	v_div_scale_f32 v8, vcc, 1.0, v3, 1.0
	v_fmac_f32_e32 v10, v11, v10
	v_mul_f32_e32 v11, v8, v10
	v_fma_f32 v15, -v9, v11, v8
	v_fmac_f32_e32 v11, v15, v10
	v_fma_f32 v8, -v9, v11, v8
	v_div_fmas_f32 v8, v8, v10, v11
	v_div_fixup_f32 v3, v8, v3, 1.0
	global_store_dword v[6:7], v3, off
	global_load_dword v3, v[4:5], off offset:8
	s_waitcnt vmcnt(0)
	v_mul_f32_e32 v8, 0xbfb8aa3b, v3
	v_fma_f32 v9, v3, s6, -v8
	v_rndne_f32_e32 v10, v8
	v_fmac_f32_e32 v9, 0xb2a5705f, v3
	v_sub_f32_e32 v8, v8, v10
	v_add_f32_e32 v8, v8, v9
	v_cvt_i32_f32_e32 v10, v10
	v_exp_f32_e32 v8, v8
	v_cmp_nlt_f32_e32 vcc, s7, v3
	v_ldexp_f32 v8, v8, v10
	v_cndmask_b32_e32 v8, 0, v8, vcc
	v_cmp_ngt_f32_e32 vcc, s15, v3
	v_cndmask_b32_e32 v3, v1, v8, vcc
	v_add_f32_e32 v3, 1.0, v3
	v_div_scale_f32 v8, s[0:1], v3, v3, 1.0
	v_rcp_f32_e32 v9, v8
	v_div_scale_f32 v10, vcc, 1.0, v3, 1.0
	v_fma_f32 v11, -v8, v9, 1.0
	v_fmac_f32_e32 v9, v11, v9
	v_mul_f32_e32 v11, v10, v9
	v_fma_f32 v15, -v8, v11, v10
	v_fmac_f32_e32 v11, v15, v9
	v_fma_f32 v8, -v8, v11, v10
	v_div_fmas_f32 v8, v8, v9, v11
	v_div_fixup_f32 v3, v8, v3, 1.0
	global_store_dword v[6:7], v3, off offset:4
	global_load_dword v3, v[4:5], off offset:12
	s_waitcnt vmcnt(0)
	v_mul_f32_e32 v8, 0xbfb8aa3b, v3
	v_fma_f32 v9, v3, s6, -v8
	v_rndne_f32_e32 v10, v8
	v_fmac_f32_e32 v9, 0xb2a5705f, v3
	v_sub_f32_e32 v8, v8, v10
	v_add_f32_e32 v8, v8, v9
	v_cvt_i32_f32_e32 v10, v10
	v_exp_f32_e32 v8, v8
	v_cmp_nlt_f32_e32 vcc, s7, v3
	v_ldexp_f32 v8, v8, v10
	v_cndmask_b32_e32 v8, 0, v8, vcc
	v_cmp_ngt_f32_e32 vcc, s15, v3
	v_cndmask_b32_e32 v3, v1, v8, vcc
	v_add_f32_e32 v3, 1.0, v3
	v_div_scale_f32 v8, s[0:1], v3, v3, 1.0
	v_rcp_f32_e32 v9, v8
	v_div_scale_f32 v10, vcc, 1.0, v3, 1.0
	v_fma_f32 v11, -v8, v9, 1.0
	v_fmac_f32_e32 v9, v11, v9
	v_mul_f32_e32 v11, v10, v9
	v_fma_f32 v15, -v8, v11, v10
	v_fmac_f32_e32 v11, v15, v9
	v_fma_f32 v8, -v8, v11, v10
	v_div_fmas_f32 v8, v8, v9, v11
	v_div_fixup_f32 v3, v8, v3, 1.0
	global_store_dword v[6:7], v3, off offset:8
	global_load_dword v3, v[4:5], off offset:16
	v_mov_b32_e32 v15, 0
	s_waitcnt vmcnt(0)
	v_mul_f32_e32 v4, 0xbfb8aa3b, v3
	v_fma_f32 v5, v3, s6, -v4
	v_rndne_f32_e32 v8, v4
	v_fmac_f32_e32 v5, 0xb2a5705f, v3
	v_sub_f32_e32 v4, v4, v8
	v_add_f32_e32 v4, v4, v5
	v_cvt_i32_f32_e32 v8, v8
	v_exp_f32_e32 v4, v4
	v_cmp_nlt_f32_e32 vcc, s7, v3
	v_ldexp_f32 v4, v4, v8
	v_cndmask_b32_e32 v4, 0, v4, vcc
	v_cmp_ngt_f32_e32 vcc, s15, v3
	v_cndmask_b32_e32 v3, v1, v4, vcc
	v_add_f32_e32 v3, 1.0, v3
	v_div_scale_f32 v4, s[0:1], v3, v3, 1.0
	v_rcp_f32_e32 v5, v4
	v_div_scale_f32 v8, vcc, 1.0, v3, 1.0
	v_fma_f32 v9, -v4, v5, 1.0
	v_fmac_f32_e32 v5, v9, v5
	v_mul_f32_e32 v9, v8, v5
	v_fma_f32 v10, -v4, v9, v8
	v_fmac_f32_e32 v9, v10, v5
	v_fma_f32 v4, -v4, v9, v8
	v_div_fmas_f32 v4, v4, v5, v9
	v_div_fixup_f32 v3, v4, v3, 1.0
	global_store_dword v[6:7], v3, off offset:12
	s_cbranch_scc1 .LBB7_8
; %bb.5:
	v_sub_f32_e32 v3, v2, v2
	v_mul_f32_e32 v4, 0x3fb8aa3b, v3
	s_mov_b32 s11, 0x3fb8aa3b
	v_rndne_f32_e32 v5, v4
	v_sub_f32_e32 v6, v4, v5
	v_fma_f32 v4, v3, s11, -v4
	v_fmac_f32_e32 v4, 0x32a5705f, v3
	v_add_f32_e32 v4, v6, v4
	s_cmp_lt_i32 s9, 1
	v_exp_f32_e32 v4, v4
	v_cvt_i32_f32_e32 v5, v5
	s_cselect_b64 s[0:1], -1, 0
	s_cmp_gt_i32 s10, 0
	v_mul_lo_u32 v8, v14, s14
	s_cselect_b64 s[14:15], -1, 0
	s_and_b64 s[20:21], s[0:1], s[14:15]
	s_mov_b32 s14, 0xc2ce8ed0
	v_ldexp_f32 v4, v4, v5
	v_cmp_ngt_f32_e32 vcc, s14, v3
	s_mov_b32 s10, 0x42b17218
	v_cndmask_b32_e32 v4, 0, v4, vcc
	v_cmp_nlt_f32_e32 vcc, s10, v3
	v_cndmask_b32_e32 v15, v1, v4, vcc
	v_ashrrev_i32_e32 v1, 31, v0
	s_load_dwordx4 s[4:7], s[4:5], 0x20
	v_lshlrev_b64 v[4:5], 2, v[0:1]
	v_mov_b32_e32 v1, s13
	v_add_co_u32_e32 v6, vcc, s12, v4
	v_addc_co_u32_e64 v7, s[0:1], v1, v5, vcc
	s_sub_i32 s0, 0, s9
	v_ashrrev_i32_e32 v9, 31, v8
	v_mul_lo_u32 v10, v14, s8
	v_mov_b32_e32 v1, s0
	s_and_b64 s[0:1], s[2:3], s[20:21]
	v_lshlrev_b64 v[8:9], 2, v[8:9]
	v_cndmask_b32_e64 v1, 1, v1, s[0:1]
	s_waitcnt lgkmcnt(0)
	v_mov_b32_e32 v3, s5
	v_add_co_u32_e64 v16, s[0:1], s4, v8
	v_ashrrev_i32_e32 v11, 31, v10
	v_addc_co_u32_e64 v17, s[0:1], v3, v9, s[0:1]
	v_lshlrev_b64 v[10:11], 2, v[10:11]
	global_store_dword v[16:17], v1, off
	v_mov_b32_e32 v3, s7
	v_add_co_u32_e64 v16, s[0:1], s6, v10
	v_addc_co_u32_e64 v17, s[0:1], v3, v11, s[0:1]
	s_cmp_eq_u32 s8, 1
	global_store_dword v[6:7], v15, off
	global_store_dword v[16:17], v14, off
	s_cbranch_scc1 .LBB7_8
; %bb.6:
	v_sub_f32_e32 v2, 0xff800000, v2
	v_mul_f32_e32 v3, 0x3fb8aa3b, v2
	v_fma_f32 v4, v2, s11, -v3
	v_rndne_f32_e32 v7, v3
	v_fmac_f32_e32 v4, 0x32a5705f, v2
	v_sub_f32_e32 v3, v3, v7
	v_add_f32_e32 v3, v3, v4
	v_cvt_i32_f32_e32 v4, v7
	v_exp_f32_e32 v3, v3
	v_cmp_ngt_f32_e64 s[0:1], s14, v2
	s_add_i32 s19, s19, s18
	v_ldexp_f32 v3, v3, v4
	v_cndmask_b32_e64 v3, 0, v3, s[0:1]
	v_mov_b32_e32 v4, 0x7f800000
	v_cmp_nlt_f32_e64 s[0:1], s10, v2
	v_cndmask_b32_e64 v7, v4, v3, s[0:1]
	v_mov_b32_e32 v2, s7
	v_add_co_u32_e64 v3, s[0:1], s6, v10
	v_addc_co_u32_e64 v4, s[0:1], v11, v2, s[0:1]
	v_add_co_u32_e64 v2, s[0:1], 4, v3
	v_addc_co_u32_e64 v3, s[0:1], 0, v4, s[0:1]
	v_mov_b32_e32 v4, s5
	v_add_co_u32_e64 v8, s[0:1], s4, v8
	v_addc_co_u32_e64 v4, s[0:1], v9, v4, s[0:1]
	v_add_co_u32_e64 v8, s[0:1], 4, v8
	v_addc_co_u32_e64 v9, s[0:1], 0, v4, s[0:1]
	v_mov_b32_e32 v4, s13
	v_addc_co_u32_e32 v5, vcc, v5, v4, vcc
	v_add_co_u32_e32 v4, vcc, 4, v6
	v_addc_co_u32_e32 v5, vcc, 0, v5, vcc
	s_add_i32 s0, s8, -1
	v_add3_u32 v6, s19, v13, v12
.LBB7_7:                                ; =>This Inner Loop Header: Depth=1
	global_store_dword v[4:5], v7, off
	global_store_dword v[8:9], v1, off
	;; [unrolled: 1-line block ×3, first 2 shown]
	v_add_co_u32_e32 v2, vcc, 4, v2
	v_addc_co_u32_e32 v3, vcc, 0, v3, vcc
	v_add_co_u32_e32 v8, vcc, 4, v8
	v_addc_co_u32_e32 v9, vcc, 0, v9, vcc
	v_add_co_u32_e32 v4, vcc, 4, v4
	s_add_i32 s0, s0, -1
	v_add_f32_e32 v15, v15, v7
	v_addc_co_u32_e32 v5, vcc, 0, v5, vcc
	s_cmp_eq_u32 s0, 0
	v_add_u32_e32 v6, s18, v6
	s_cbranch_scc0 .LBB7_7
.LBB7_8:
	v_cmp_neq_f32_e32 vcc, 0, v15
	s_and_b64 exec, exec, vcc
	s_cbranch_execz .LBB7_19
; %bb.9:
	s_andn2_b64 vcc, exec, s[16:17]
	s_cbranch_vccnz .LBB7_19
; %bb.10:
	v_div_scale_f32 v1, s[0:1], v15, v15, 1.0
	v_rcp_f32_e32 v2, v1
	v_div_scale_f32 v3, vcc, 1.0, v15, 1.0
	s_cmp_gt_u32 s8, 3
	v_fma_f32 v4, -v1, v2, 1.0
	v_fmac_f32_e32 v2, v4, v2
	v_mul_f32_e32 v4, v3, v2
	v_fma_f32 v5, -v1, v4, v3
	v_fmac_f32_e32 v4, v5, v2
	v_fma_f32 v1, -v1, v4, v3
	v_div_fmas_f32 v1, v1, v2, v4
	v_div_fixup_f32 v2, v1, v15, 1.0
	v_ashrrev_i32_e32 v1, 31, v0
	s_cbranch_scc0 .LBB7_14
; %bb.11:
	v_lshlrev_b64 v[4:5], 2, v[0:1]
	v_mov_b32_e32 v6, s13
	v_add_co_u32_e32 v4, vcc, s12, v4
	v_addc_co_u32_e32 v5, vcc, v5, v6, vcc
	s_and_b32 s4, s8, 0x7ffffffc
	v_add_co_u32_e32 v4, vcc, 8, v4
	v_mov_b32_e32 v3, v2
	v_addc_co_u32_e32 v5, vcc, 0, v5, vcc
	s_mov_b32 s0, s4
.LBB7_12:                               ; =>This Inner Loop Header: Depth=1
	global_load_dwordx4 v[6:9], v[4:5], off offset:-8
	s_add_i32 s0, s0, -4
	s_cmp_lg_u32 s0, 0
	s_waitcnt vmcnt(0)
	v_pk_mul_f32 v[6:7], v[2:3], v[6:7]
	v_pk_mul_f32 v[8:9], v[2:3], v[8:9]
	global_store_dwordx4 v[4:5], v[6:9], off offset:-8
	v_add_co_u32_e32 v4, vcc, 16, v4
	v_addc_co_u32_e32 v5, vcc, 0, v5, vcc
	s_cbranch_scc1 .LBB7_12
; %bb.13:
	s_cmp_lg_u32 s4, s8
	s_cselect_b64 s[0:1], -1, 0
	s_branch .LBB7_16
.LBB7_14:
	s_mov_b64 s[0:1], 0
                                        ; implicit-def: $sgpr4
	s_cbranch_execz .LBB7_16
; %bb.15:
	s_mov_b64 s[0:1], -1
	s_mov_b32 s4, 0
.LBB7_16:
	s_andn2_b64 vcc, exec, s[0:1]
	s_cbranch_vccnz .LBB7_19
; %bb.17:
	v_add_co_u32_e32 v0, vcc, s4, v0
	v_addc_co_u32_e32 v1, vcc, 0, v1, vcc
	v_lshlrev_b64 v[0:1], 2, v[0:1]
	v_mov_b32_e32 v3, s13
	v_add_co_u32_e32 v0, vcc, s12, v0
	s_sub_i32 s0, s8, s4
	v_addc_co_u32_e32 v1, vcc, v3, v1, vcc
.LBB7_18:                               ; =>This Inner Loop Header: Depth=1
	global_load_dword v3, v[0:1], off
	s_add_i32 s0, s0, -1
	s_cmp_lg_u32 s0, 0
	s_waitcnt vmcnt(0)
	v_mul_f32_e32 v3, v2, v3
	global_store_dword v[0:1], v3, off
	v_add_co_u32_e32 v0, vcc, 4, v0
	v_addc_co_u32_e32 v1, vcc, 0, v1, vcc
	s_cbranch_scc1 .LBB7_18
.LBB7_19:
	s_endpgm
	.section	.rodata,"a",@progbits
	.p2align	6, 0x0
	.amdhsa_kernel _ZN4vllm3moe17topkGatingSoftmaxIfLi1ELi1ELi8ELi4ELb1ELi4ELNS0_23SharedExpertScoringFuncE1EEEvPKT_PKbPfiPiS9_iiiiii
		.amdhsa_group_segment_fixed_size 0
		.amdhsa_private_segment_fixed_size 0
		.amdhsa_kernarg_size 72
		.amdhsa_user_sgpr_count 6
		.amdhsa_user_sgpr_private_segment_buffer 1
		.amdhsa_user_sgpr_dispatch_ptr 0
		.amdhsa_user_sgpr_queue_ptr 0
		.amdhsa_user_sgpr_kernarg_segment_ptr 1
		.amdhsa_user_sgpr_dispatch_id 0
		.amdhsa_user_sgpr_flat_scratch_init 0
		.amdhsa_user_sgpr_kernarg_preload_length 0
		.amdhsa_user_sgpr_kernarg_preload_offset 0
		.amdhsa_user_sgpr_private_segment_size 0
		.amdhsa_uses_dynamic_stack 0
		.amdhsa_system_sgpr_private_segment_wavefront_offset 0
		.amdhsa_system_sgpr_workgroup_id_x 1
		.amdhsa_system_sgpr_workgroup_id_y 0
		.amdhsa_system_sgpr_workgroup_id_z 0
		.amdhsa_system_sgpr_workgroup_info 0
		.amdhsa_system_vgpr_workitem_id 1
		.amdhsa_next_free_vgpr 18
		.amdhsa_next_free_sgpr 22
		.amdhsa_accum_offset 20
		.amdhsa_reserve_vcc 1
		.amdhsa_reserve_flat_scratch 0
		.amdhsa_float_round_mode_32 0
		.amdhsa_float_round_mode_16_64 0
		.amdhsa_float_denorm_mode_32 3
		.amdhsa_float_denorm_mode_16_64 3
		.amdhsa_dx10_clamp 1
		.amdhsa_ieee_mode 1
		.amdhsa_fp16_overflow 0
		.amdhsa_tg_split 0
		.amdhsa_exception_fp_ieee_invalid_op 0
		.amdhsa_exception_fp_denorm_src 0
		.amdhsa_exception_fp_ieee_div_zero 0
		.amdhsa_exception_fp_ieee_overflow 0
		.amdhsa_exception_fp_ieee_underflow 0
		.amdhsa_exception_fp_ieee_inexact 0
		.amdhsa_exception_int_div_zero 0
	.end_amdhsa_kernel
	.section	.text._ZN4vllm3moe17topkGatingSoftmaxIfLi1ELi1ELi8ELi4ELb1ELi4ELNS0_23SharedExpertScoringFuncE1EEEvPKT_PKbPfiPiS9_iiiiii,"axG",@progbits,_ZN4vllm3moe17topkGatingSoftmaxIfLi1ELi1ELi8ELi4ELb1ELi4ELNS0_23SharedExpertScoringFuncE1EEEvPKT_PKbPfiPiS9_iiiiii,comdat
.Lfunc_end7:
	.size	_ZN4vllm3moe17topkGatingSoftmaxIfLi1ELi1ELi8ELi4ELb1ELi4ELNS0_23SharedExpertScoringFuncE1EEEvPKT_PKbPfiPiS9_iiiiii, .Lfunc_end7-_ZN4vllm3moe17topkGatingSoftmaxIfLi1ELi1ELi8ELi4ELb1ELi4ELNS0_23SharedExpertScoringFuncE1EEEvPKT_PKbPfiPiS9_iiiiii
                                        ; -- End function
	.section	.AMDGPU.csdata,"",@progbits
; Kernel info:
; codeLenInByte = 1812
; NumSgprs: 26
; NumVgprs: 18
; NumAgprs: 0
; TotalNumVgprs: 18
; ScratchSize: 0
; MemoryBound: 0
; FloatMode: 240
; IeeeMode: 1
; LDSByteSize: 0 bytes/workgroup (compile time only)
; SGPRBlocks: 3
; VGPRBlocks: 2
; NumSGPRsForWavesPerEU: 26
; NumVGPRsForWavesPerEU: 18
; AccumOffset: 20
; Occupancy: 8
; WaveLimiterHint : 0
; COMPUTE_PGM_RSRC2:SCRATCH_EN: 0
; COMPUTE_PGM_RSRC2:USER_SGPR: 6
; COMPUTE_PGM_RSRC2:TRAP_HANDLER: 0
; COMPUTE_PGM_RSRC2:TGID_X_EN: 1
; COMPUTE_PGM_RSRC2:TGID_Y_EN: 0
; COMPUTE_PGM_RSRC2:TGID_Z_EN: 0
; COMPUTE_PGM_RSRC2:TIDIG_COMP_CNT: 1
; COMPUTE_PGM_RSRC3_GFX90A:ACCUM_OFFSET: 4
; COMPUTE_PGM_RSRC3_GFX90A:TG_SPLIT: 0
	.section	.text._ZN4vllm3moe17topkGatingSoftmaxIfLi1ELi1ELi8ELi4ELb0ELi4ELNS0_23SharedExpertScoringFuncE1EEEvPKT_PKbPfiPiS9_iiiiii,"axG",@progbits,_ZN4vllm3moe17topkGatingSoftmaxIfLi1ELi1ELi8ELi4ELb0ELi4ELNS0_23SharedExpertScoringFuncE1EEEvPKT_PKbPfiPiS9_iiiiii,comdat
	.protected	_ZN4vllm3moe17topkGatingSoftmaxIfLi1ELi1ELi8ELi4ELb0ELi4ELNS0_23SharedExpertScoringFuncE1EEEvPKT_PKbPfiPiS9_iiiiii ; -- Begin function _ZN4vllm3moe17topkGatingSoftmaxIfLi1ELi1ELi8ELi4ELb0ELi4ELNS0_23SharedExpertScoringFuncE1EEEvPKT_PKbPfiPiS9_iiiiii
	.globl	_ZN4vllm3moe17topkGatingSoftmaxIfLi1ELi1ELi8ELi4ELb0ELi4ELNS0_23SharedExpertScoringFuncE1EEEvPKT_PKbPfiPiS9_iiiiii
	.p2align	8
	.type	_ZN4vllm3moe17topkGatingSoftmaxIfLi1ELi1ELi8ELi4ELb0ELi4ELNS0_23SharedExpertScoringFuncE1EEEvPKT_PKbPfiPiS9_iiiiii,@function
_ZN4vllm3moe17topkGatingSoftmaxIfLi1ELi1ELi8ELi4ELb0ELi4ELNS0_23SharedExpertScoringFuncE1EEEvPKT_PKbPfiPiS9_iiiiii: ; @_ZN4vllm3moe17topkGatingSoftmaxIfLi1ELi1ELi8ELi4ELb0ELi4ELNS0_23SharedExpertScoringFuncE1EEEvPKT_PKbPfiPiS9_iiiiii
; %bb.0:
	s_load_dword s18, s[4:5], 0x18
	v_bfe_u32 v1, v0, 10, 10
	s_lshl_b32 s19, s6, 9
	v_lshlrev_b32_e32 v12, 6, v1
	v_and_b32_e32 v13, 0x3ff, v0
	v_add3_u32 v15, v12, v13, s19
	s_waitcnt lgkmcnt(0)
	v_cmp_gt_i32_e32 vcc, s18, v15
	s_and_saveexec_b64 s[0:1], vcc
	s_cbranch_execz .LBB8_20
; %bb.1:
	s_load_dwordx4 s[0:3], s[4:5], 0x0
	s_load_dwordx2 s[12:13], s[4:5], 0x10
	s_waitcnt lgkmcnt(0)
	s_cmp_eq_u64 s[2:3], 0
	s_cbranch_scc1 .LBB8_3
; %bb.2:
	v_ashrrev_i32_e32 v1, 31, v15
	v_mov_b32_e32 v2, s3
	v_add_co_u32_e32 v0, vcc, s2, v15
	v_addc_co_u32_e32 v1, vcc, v2, v1, vcc
	global_load_ubyte v0, v[0:1], off
	s_waitcnt vmcnt(0)
	v_and_b32_e32 v0, 1, v0
	v_cmp_eq_u32_e32 vcc, 1, v0
	s_xor_b64 s[2:3], vcc, -1
	s_orn2_b64 s[2:3], s[2:3], exec
	s_branch .LBB8_4
.LBB8_3:
	s_mov_b64 s[2:3], -1
.LBB8_4:
	s_load_dwordx2 s[14:15], s[4:5], 0x40
	s_load_dwordx4 s[8:11], s[4:5], 0x30
	v_mov_b32_e32 v2, s1
	s_mov_b32 s6, 0xbfb8aa3b
	s_mov_b32 s7, 0x42ce8ed0
	s_waitcnt lgkmcnt(0)
	v_mul_lo_u32 v0, v15, s15
	v_ashrrev_i32_e32 v1, 31, v0
	v_lshlrev_b64 v[0:1], 2, v[0:1]
	v_add_co_u32_e32 v4, vcc, s0, v0
	v_addc_co_u32_e32 v5, vcc, v2, v1, vcc
	global_load_dwordx2 v[2:3], v[4:5], off
	s_mov_b32 s15, 0xc2b17218
	v_mov_b32_e32 v14, 0x7f800000
	v_mul_lo_u32 v0, v15, s11
	v_mov_b32_e32 v1, s13
	s_cmp_gt_i32 s8, 0
	s_cselect_b64 s[16:17], -1, 0
	s_cmp_lt_i32 s8, 1
	s_waitcnt vmcnt(0)
	v_mul_f32_e32 v6, 0xbfb8aa3b, v3
	v_fma_f32 v7, v3, s6, -v6
	v_rndne_f32_e32 v8, v6
	v_fmac_f32_e32 v7, 0xb2a5705f, v3
	v_sub_f32_e32 v6, v6, v8
	v_add_f32_e32 v6, v6, v7
	v_cvt_i32_f32_e32 v8, v8
	v_exp_f32_e32 v9, v6
	v_cmp_nlt_f32_e32 vcc, s7, v3
	v_add_u32_e32 v6, s8, v0
	v_ashrrev_i32_e32 v7, 31, v6
	v_ldexp_f32 v8, v9, v8
	v_cndmask_b32_e32 v8, 0, v8, vcc
	v_cmp_ngt_f32_e32 vcc, s15, v3
	v_cndmask_b32_e32 v3, v14, v8, vcc
	v_add_f32_e32 v3, 1.0, v3
	v_div_scale_f32 v8, s[0:1], v3, v3, 1.0
	v_rcp_f32_e32 v9, v8
	v_lshlrev_b64 v[6:7], 2, v[6:7]
	v_add_co_u32_e32 v6, vcc, s12, v6
	v_addc_co_u32_e32 v7, vcc, v1, v7, vcc
	v_fma_f32 v10, -v8, v9, 1.0
	v_div_scale_f32 v1, vcc, 1.0, v3, 1.0
	v_fmac_f32_e32 v9, v10, v9
	v_mul_f32_e32 v10, v1, v9
	v_fma_f32 v11, -v8, v10, v1
	v_fmac_f32_e32 v10, v11, v9
	v_fma_f32 v1, -v8, v10, v1
	v_div_fmas_f32 v1, v1, v9, v10
	v_div_fixup_f32 v1, v1, v3, 1.0
	global_store_dword v[6:7], v1, off
	global_load_dword v1, v[4:5], off offset:8
	s_waitcnt vmcnt(0)
	v_mul_f32_e32 v3, 0xbfb8aa3b, v1
	v_fma_f32 v8, v1, s6, -v3
	v_rndne_f32_e32 v9, v3
	v_fmac_f32_e32 v8, 0xb2a5705f, v1
	v_sub_f32_e32 v3, v3, v9
	v_add_f32_e32 v3, v3, v8
	v_cvt_i32_f32_e32 v9, v9
	v_exp_f32_e32 v3, v3
	v_cmp_nlt_f32_e32 vcc, s7, v1
	v_ldexp_f32 v3, v3, v9
	v_cndmask_b32_e32 v3, 0, v3, vcc
	v_cmp_ngt_f32_e32 vcc, s15, v1
	v_cndmask_b32_e32 v1, v14, v3, vcc
	v_add_f32_e32 v1, 1.0, v1
	v_div_scale_f32 v3, s[0:1], v1, v1, 1.0
	v_rcp_f32_e32 v8, v3
	v_div_scale_f32 v9, vcc, 1.0, v1, 1.0
	v_fma_f32 v10, -v3, v8, 1.0
	v_fmac_f32_e32 v8, v10, v8
	v_mul_f32_e32 v10, v9, v8
	v_fma_f32 v11, -v3, v10, v9
	v_fmac_f32_e32 v10, v11, v8
	v_fma_f32 v3, -v3, v10, v9
	v_div_fmas_f32 v3, v3, v8, v10
	v_div_fixup_f32 v1, v3, v1, 1.0
	global_store_dword v[6:7], v1, off offset:4
	global_load_dword v1, v[4:5], off offset:12
	s_waitcnt vmcnt(0)
	v_mul_f32_e32 v3, 0xbfb8aa3b, v1
	v_fma_f32 v8, v1, s6, -v3
	v_rndne_f32_e32 v9, v3
	v_fmac_f32_e32 v8, 0xb2a5705f, v1
	v_sub_f32_e32 v3, v3, v9
	v_add_f32_e32 v3, v3, v8
	v_cvt_i32_f32_e32 v9, v9
	v_exp_f32_e32 v3, v3
	v_cmp_nlt_f32_e32 vcc, s7, v1
	v_ldexp_f32 v3, v3, v9
	v_cndmask_b32_e32 v3, 0, v3, vcc
	v_cmp_ngt_f32_e32 vcc, s15, v1
	v_cndmask_b32_e32 v1, v14, v3, vcc
	v_add_f32_e32 v1, 1.0, v1
	v_div_scale_f32 v3, s[0:1], v1, v1, 1.0
	v_rcp_f32_e32 v8, v3
	v_div_scale_f32 v9, vcc, 1.0, v1, 1.0
	v_fma_f32 v10, -v3, v8, 1.0
	v_fmac_f32_e32 v8, v10, v8
	v_mul_f32_e32 v10, v9, v8
	v_fma_f32 v11, -v3, v10, v9
	v_fmac_f32_e32 v10, v11, v8
	v_fma_f32 v3, -v3, v10, v9
	v_div_fmas_f32 v3, v3, v8, v10
	v_div_fixup_f32 v1, v3, v1, 1.0
	global_store_dword v[6:7], v1, off offset:8
	global_load_dword v1, v[4:5], off offset:16
	s_waitcnt vmcnt(0)
	v_mul_f32_e32 v3, 0xbfb8aa3b, v1
	v_fma_f32 v4, v1, s6, -v3
	v_rndne_f32_e32 v5, v3
	v_fmac_f32_e32 v4, 0xb2a5705f, v1
	v_sub_f32_e32 v3, v3, v5
	v_add_f32_e32 v3, v3, v4
	v_cvt_i32_f32_e32 v5, v5
	v_exp_f32_e32 v4, v3
	v_cmp_nlt_f32_e32 vcc, s7, v1
	v_mov_b32_e32 v3, 0
	v_ldexp_f32 v4, v4, v5
	v_cndmask_b32_e32 v4, 0, v4, vcc
	v_cmp_ngt_f32_e32 vcc, s15, v1
	v_cndmask_b32_e32 v1, v14, v4, vcc
	v_add_f32_e32 v1, 1.0, v1
	v_div_scale_f32 v4, s[0:1], v1, v1, 1.0
	v_rcp_f32_e32 v5, v4
	v_div_scale_f32 v8, vcc, 1.0, v1, 1.0
	v_fma_f32 v9, -v4, v5, 1.0
	v_fmac_f32_e32 v5, v9, v5
	v_mul_f32_e32 v9, v8, v5
	v_fma_f32 v10, -v4, v9, v8
	v_fmac_f32_e32 v9, v10, v5
	v_fma_f32 v4, -v4, v9, v8
	v_div_fmas_f32 v4, v4, v5, v9
	v_div_fixup_f32 v1, v4, v1, 1.0
	global_store_dword v[6:7], v1, off offset:12
	v_mov_b32_e32 v1, v2
	s_cbranch_scc1 .LBB8_9
; %bb.5:
	v_sub_f32_e32 v1, v2, v2
	v_mul_f32_e32 v3, 0x3fb8aa3b, v1
	s_mov_b32 s11, 0x3fb8aa3b
	v_rndne_f32_e32 v4, v3
	v_sub_f32_e32 v5, v3, v4
	v_fma_f32 v3, v1, s11, -v3
	v_fmac_f32_e32 v3, 0x32a5705f, v1
	v_add_f32_e32 v3, v5, v3
	s_cmp_lt_i32 s9, 1
	v_exp_f32_e32 v3, v3
	v_cvt_i32_f32_e32 v4, v4
	s_cselect_b64 s[0:1], -1, 0
	s_cmp_gt_i32 s10, 0
	v_mul_lo_u32 v8, v15, s14
	s_cselect_b64 s[14:15], -1, 0
	s_and_b64 s[20:21], s[0:1], s[14:15]
	s_mov_b32 s14, 0xc2ce8ed0
	v_ldexp_f32 v3, v3, v4
	v_cmp_ngt_f32_e32 vcc, s14, v1
	s_mov_b32 s10, 0x42b17218
	v_cndmask_b32_e32 v3, 0, v3, vcc
	v_cmp_nlt_f32_e32 vcc, s10, v1
	v_ashrrev_i32_e32 v1, 31, v0
	s_load_dwordx4 s[4:7], s[4:5], 0x20
	v_lshlrev_b64 v[4:5], 2, v[0:1]
	v_cndmask_b32_e32 v3, v14, v3, vcc
	v_mov_b32_e32 v1, s13
	v_add_co_u32_e32 v6, vcc, s12, v4
	v_addc_co_u32_e64 v7, s[0:1], v1, v5, vcc
	s_sub_i32 s0, 0, s9
	v_ashrrev_i32_e32 v9, 31, v8
	v_mov_b32_e32 v1, s0
	s_and_b64 s[0:1], s[2:3], s[20:21]
	v_lshlrev_b64 v[10:11], 2, v[8:9]
	v_mul_lo_u32 v16, v15, s8
	v_cndmask_b32_e64 v1, 1, v1, s[0:1]
	s_waitcnt lgkmcnt(0)
	v_mov_b32_e32 v4, s5
	v_add_co_u32_e64 v8, s[0:1], s4, v10
	v_addc_co_u32_e64 v9, s[0:1], v4, v11, s[0:1]
	v_ashrrev_i32_e32 v17, 31, v16
	global_store_dword v[8:9], v1, off
	v_lshlrev_b64 v[8:9], 2, v[16:17]
	v_mov_b32_e32 v4, s7
	v_add_co_u32_e64 v16, s[0:1], s6, v8
	v_addc_co_u32_e64 v17, s[0:1], v4, v9, s[0:1]
	s_cmp_eq_u32 s8, 1
	global_store_dword v[6:7], v3, off
	global_store_dword v[16:17], v15, off
	s_cbranch_scc1 .LBB8_8
; %bb.6:
	v_sub_f32_e32 v4, 0xff800000, v2
	v_mul_f32_e32 v7, 0x3fb8aa3b, v4
	v_fma_f32 v15, v4, s11, -v7
	v_rndne_f32_e32 v16, v7
	v_fmac_f32_e32 v15, 0x32a5705f, v4
	v_sub_f32_e32 v7, v7, v16
	v_add_f32_e32 v7, v7, v15
	v_cvt_i32_f32_e32 v15, v16
	v_exp_f32_e32 v7, v7
	v_cmp_ngt_f32_e64 s[0:1], s14, v4
	s_add_i32 s19, s19, s18
	v_ldexp_f32 v7, v7, v15
	v_cndmask_b32_e64 v7, 0, v7, s[0:1]
	v_mov_b32_e32 v15, 0x7f800000
	v_cmp_nlt_f32_e64 s[0:1], s10, v4
	v_cndmask_b32_e64 v7, v15, v7, s[0:1]
	v_mov_b32_e32 v4, s7
	v_add_co_u32_e64 v8, s[0:1], s6, v8
	v_addc_co_u32_e64 v4, s[0:1], v9, v4, s[0:1]
	v_add_co_u32_e64 v8, s[0:1], 4, v8
	v_addc_co_u32_e64 v9, s[0:1], 0, v4, s[0:1]
	v_mov_b32_e32 v4, s5
	v_add_co_u32_e64 v10, s[0:1], s4, v10
	v_addc_co_u32_e64 v4, s[0:1], v11, v4, s[0:1]
	v_add_co_u32_e64 v10, s[0:1], 4, v10
	v_addc_co_u32_e64 v11, s[0:1], 0, v4, s[0:1]
	v_mov_b32_e32 v4, s13
	v_addc_co_u32_e32 v5, vcc, v5, v4, vcc
	v_add_co_u32_e32 v4, vcc, 4, v6
	v_addc_co_u32_e32 v5, vcc, 0, v5, vcc
	s_add_i32 s0, s8, -1
	v_add3_u32 v6, s19, v13, v12
.LBB8_7:                                ; =>This Inner Loop Header: Depth=1
	global_store_dword v[4:5], v7, off
	global_store_dword v[10:11], v1, off
	;; [unrolled: 1-line block ×3, first 2 shown]
	v_add_co_u32_e32 v8, vcc, 4, v8
	v_addc_co_u32_e32 v9, vcc, 0, v9, vcc
	v_add_co_u32_e32 v10, vcc, 4, v10
	v_addc_co_u32_e32 v11, vcc, 0, v11, vcc
	v_add_co_u32_e32 v4, vcc, 4, v4
	s_add_i32 s0, s0, -1
	v_add_f32_e32 v3, v3, v7
	v_addc_co_u32_e32 v5, vcc, 0, v5, vcc
	s_cmp_eq_u32 s0, 0
	v_add_u32_e32 v6, s18, v6
	s_cbranch_scc0 .LBB8_7
.LBB8_8:
	v_mov_b32_e32 v1, 0xff800000
.LBB8_9:
	v_sub_f32_e32 v1, v1, v2
	s_mov_b32 s0, 0x3fb8aa3b
	v_mul_f32_e32 v2, 0x3fb8aa3b, v1
	v_fma_f32 v4, v1, s0, -v2
	v_rndne_f32_e32 v5, v2
	v_fmac_f32_e32 v4, 0x32a5705f, v1
	v_sub_f32_e32 v2, v2, v5
	v_add_f32_e32 v2, v2, v4
	v_exp_f32_e32 v2, v2
	v_cvt_i32_f32_e32 v4, v5
	s_mov_b32 s0, 0xc2ce8ed0
	v_cmp_ngt_f32_e32 vcc, s0, v1
	s_mov_b32 s0, 0x42b17218
	v_ldexp_f32 v2, v2, v4
	v_cndmask_b32_e32 v2, 0, v2, vcc
	v_cmp_nlt_f32_e32 vcc, s0, v1
	v_cndmask_b32_e32 v1, v14, v2, vcc
	v_add_f32_e32 v1, v3, v1
	v_cmp_neq_f32_e32 vcc, 0, v1
	s_and_b64 exec, exec, vcc
	s_cbranch_execz .LBB8_20
; %bb.10:
	s_andn2_b64 vcc, exec, s[16:17]
	s_cbranch_vccnz .LBB8_20
; %bb.11:
	v_div_scale_f32 v2, s[0:1], v1, v1, 1.0
	v_rcp_f32_e32 v3, v2
	v_div_scale_f32 v4, vcc, 1.0, v1, 1.0
	s_cmp_gt_u32 s8, 3
	v_fma_f32 v5, -v2, v3, 1.0
	v_fmac_f32_e32 v3, v5, v3
	v_mul_f32_e32 v5, v4, v3
	v_fma_f32 v6, -v2, v5, v4
	v_fmac_f32_e32 v5, v6, v3
	v_fma_f32 v2, -v2, v5, v4
	v_div_fmas_f32 v2, v2, v3, v5
	v_div_fixup_f32 v2, v2, v1, 1.0
	v_ashrrev_i32_e32 v1, 31, v0
	s_cbranch_scc0 .LBB8_15
; %bb.12:
	v_lshlrev_b64 v[4:5], 2, v[0:1]
	v_mov_b32_e32 v6, s13
	v_add_co_u32_e32 v4, vcc, s12, v4
	v_addc_co_u32_e32 v5, vcc, v5, v6, vcc
	s_and_b32 s4, s8, 0x7ffffffc
	v_add_co_u32_e32 v4, vcc, 8, v4
	v_mov_b32_e32 v3, v2
	v_addc_co_u32_e32 v5, vcc, 0, v5, vcc
	s_mov_b32 s0, s4
.LBB8_13:                               ; =>This Inner Loop Header: Depth=1
	global_load_dwordx4 v[6:9], v[4:5], off offset:-8
	s_add_i32 s0, s0, -4
	s_cmp_lg_u32 s0, 0
	s_waitcnt vmcnt(0)
	v_pk_mul_f32 v[6:7], v[2:3], v[6:7]
	v_pk_mul_f32 v[8:9], v[2:3], v[8:9]
	global_store_dwordx4 v[4:5], v[6:9], off offset:-8
	v_add_co_u32_e32 v4, vcc, 16, v4
	v_addc_co_u32_e32 v5, vcc, 0, v5, vcc
	s_cbranch_scc1 .LBB8_13
; %bb.14:
	s_cmp_lg_u32 s4, s8
	s_cselect_b64 s[0:1], -1, 0
	s_branch .LBB8_17
.LBB8_15:
	s_mov_b64 s[0:1], 0
                                        ; implicit-def: $sgpr4
	s_cbranch_execz .LBB8_17
; %bb.16:
	s_mov_b64 s[0:1], -1
	s_mov_b32 s4, 0
.LBB8_17:
	s_andn2_b64 vcc, exec, s[0:1]
	s_cbranch_vccnz .LBB8_20
; %bb.18:
	v_add_co_u32_e32 v0, vcc, s4, v0
	v_addc_co_u32_e32 v1, vcc, 0, v1, vcc
	v_lshlrev_b64 v[0:1], 2, v[0:1]
	v_mov_b32_e32 v3, s13
	v_add_co_u32_e32 v0, vcc, s12, v0
	s_sub_i32 s0, s8, s4
	v_addc_co_u32_e32 v1, vcc, v3, v1, vcc
.LBB8_19:                               ; =>This Inner Loop Header: Depth=1
	global_load_dword v3, v[0:1], off
	s_add_i32 s0, s0, -1
	s_cmp_lg_u32 s0, 0
	s_waitcnt vmcnt(0)
	v_mul_f32_e32 v3, v2, v3
	global_store_dword v[0:1], v3, off
	v_add_co_u32_e32 v0, vcc, 4, v0
	v_addc_co_u32_e32 v1, vcc, 0, v1, vcc
	s_cbranch_scc1 .LBB8_19
.LBB8_20:
	s_endpgm
	.section	.rodata,"a",@progbits
	.p2align	6, 0x0
	.amdhsa_kernel _ZN4vllm3moe17topkGatingSoftmaxIfLi1ELi1ELi8ELi4ELb0ELi4ELNS0_23SharedExpertScoringFuncE1EEEvPKT_PKbPfiPiS9_iiiiii
		.amdhsa_group_segment_fixed_size 0
		.amdhsa_private_segment_fixed_size 0
		.amdhsa_kernarg_size 72
		.amdhsa_user_sgpr_count 6
		.amdhsa_user_sgpr_private_segment_buffer 1
		.amdhsa_user_sgpr_dispatch_ptr 0
		.amdhsa_user_sgpr_queue_ptr 0
		.amdhsa_user_sgpr_kernarg_segment_ptr 1
		.amdhsa_user_sgpr_dispatch_id 0
		.amdhsa_user_sgpr_flat_scratch_init 0
		.amdhsa_user_sgpr_kernarg_preload_length 0
		.amdhsa_user_sgpr_kernarg_preload_offset 0
		.amdhsa_user_sgpr_private_segment_size 0
		.amdhsa_uses_dynamic_stack 0
		.amdhsa_system_sgpr_private_segment_wavefront_offset 0
		.amdhsa_system_sgpr_workgroup_id_x 1
		.amdhsa_system_sgpr_workgroup_id_y 0
		.amdhsa_system_sgpr_workgroup_id_z 0
		.amdhsa_system_sgpr_workgroup_info 0
		.amdhsa_system_vgpr_workitem_id 1
		.amdhsa_next_free_vgpr 18
		.amdhsa_next_free_sgpr 22
		.amdhsa_accum_offset 20
		.amdhsa_reserve_vcc 1
		.amdhsa_reserve_flat_scratch 0
		.amdhsa_float_round_mode_32 0
		.amdhsa_float_round_mode_16_64 0
		.amdhsa_float_denorm_mode_32 3
		.amdhsa_float_denorm_mode_16_64 3
		.amdhsa_dx10_clamp 1
		.amdhsa_ieee_mode 1
		.amdhsa_fp16_overflow 0
		.amdhsa_tg_split 0
		.amdhsa_exception_fp_ieee_invalid_op 0
		.amdhsa_exception_fp_denorm_src 0
		.amdhsa_exception_fp_ieee_div_zero 0
		.amdhsa_exception_fp_ieee_overflow 0
		.amdhsa_exception_fp_ieee_underflow 0
		.amdhsa_exception_fp_ieee_inexact 0
		.amdhsa_exception_int_div_zero 0
	.end_amdhsa_kernel
	.section	.text._ZN4vllm3moe17topkGatingSoftmaxIfLi1ELi1ELi8ELi4ELb0ELi4ELNS0_23SharedExpertScoringFuncE1EEEvPKT_PKbPfiPiS9_iiiiii,"axG",@progbits,_ZN4vllm3moe17topkGatingSoftmaxIfLi1ELi1ELi8ELi4ELb0ELi4ELNS0_23SharedExpertScoringFuncE1EEEvPKT_PKbPfiPiS9_iiiiii,comdat
.Lfunc_end8:
	.size	_ZN4vllm3moe17topkGatingSoftmaxIfLi1ELi1ELi8ELi4ELb0ELi4ELNS0_23SharedExpertScoringFuncE1EEEvPKT_PKbPfiPiS9_iiiiii, .Lfunc_end8-_ZN4vllm3moe17topkGatingSoftmaxIfLi1ELi1ELi8ELi4ELb0ELi4ELNS0_23SharedExpertScoringFuncE1EEEvPKT_PKbPfiPiS9_iiiiii
                                        ; -- End function
	.section	.AMDGPU.csdata,"",@progbits
; Kernel info:
; codeLenInByte = 1924
; NumSgprs: 26
; NumVgprs: 18
; NumAgprs: 0
; TotalNumVgprs: 18
; ScratchSize: 0
; MemoryBound: 0
; FloatMode: 240
; IeeeMode: 1
; LDSByteSize: 0 bytes/workgroup (compile time only)
; SGPRBlocks: 3
; VGPRBlocks: 2
; NumSGPRsForWavesPerEU: 26
; NumVGPRsForWavesPerEU: 18
; AccumOffset: 20
; Occupancy: 8
; WaveLimiterHint : 0
; COMPUTE_PGM_RSRC2:SCRATCH_EN: 0
; COMPUTE_PGM_RSRC2:USER_SGPR: 6
; COMPUTE_PGM_RSRC2:TRAP_HANDLER: 0
; COMPUTE_PGM_RSRC2:TGID_X_EN: 1
; COMPUTE_PGM_RSRC2:TGID_Y_EN: 0
; COMPUTE_PGM_RSRC2:TGID_Z_EN: 0
; COMPUTE_PGM_RSRC2:TIDIG_COMP_CNT: 1
; COMPUTE_PGM_RSRC3_GFX90A:ACCUM_OFFSET: 4
; COMPUTE_PGM_RSRC3_GFX90A:TG_SPLIT: 0
	.section	.text._ZN4vllm3moe17topkGatingSoftmaxIfLi1ELi1ELi8ELi4ELb1ELi8ELNS0_23SharedExpertScoringFuncE1EEEvPKT_PKbPfiPiS9_iiiiii,"axG",@progbits,_ZN4vllm3moe17topkGatingSoftmaxIfLi1ELi1ELi8ELi4ELb1ELi8ELNS0_23SharedExpertScoringFuncE1EEEvPKT_PKbPfiPiS9_iiiiii,comdat
	.protected	_ZN4vllm3moe17topkGatingSoftmaxIfLi1ELi1ELi8ELi4ELb1ELi8ELNS0_23SharedExpertScoringFuncE1EEEvPKT_PKbPfiPiS9_iiiiii ; -- Begin function _ZN4vllm3moe17topkGatingSoftmaxIfLi1ELi1ELi8ELi4ELb1ELi8ELNS0_23SharedExpertScoringFuncE1EEEvPKT_PKbPfiPiS9_iiiiii
	.globl	_ZN4vllm3moe17topkGatingSoftmaxIfLi1ELi1ELi8ELi4ELb1ELi8ELNS0_23SharedExpertScoringFuncE1EEEvPKT_PKbPfiPiS9_iiiiii
	.p2align	8
	.type	_ZN4vllm3moe17topkGatingSoftmaxIfLi1ELi1ELi8ELi4ELb1ELi8ELNS0_23SharedExpertScoringFuncE1EEEvPKT_PKbPfiPiS9_iiiiii,@function
_ZN4vllm3moe17topkGatingSoftmaxIfLi1ELi1ELi8ELi4ELb1ELi8ELNS0_23SharedExpertScoringFuncE1EEEvPKT_PKbPfiPiS9_iiiiii: ; @_ZN4vllm3moe17topkGatingSoftmaxIfLi1ELi1ELi8ELi4ELb1ELi8ELNS0_23SharedExpertScoringFuncE1EEEvPKT_PKbPfiPiS9_iiiiii
; %bb.0:
	s_load_dword s18, s[4:5], 0x18
	v_bfe_u32 v1, v0, 10, 10
	s_lshl_b32 s19, s6, 9
	v_lshlrev_b32_e32 v12, 6, v1
	v_and_b32_e32 v13, 0x3ff, v0
	v_add3_u32 v14, v12, v13, s19
	s_waitcnt lgkmcnt(0)
	v_cmp_gt_i32_e32 vcc, s18, v14
	s_and_saveexec_b64 s[0:1], vcc
	s_cbranch_execz .LBB9_19
; %bb.1:
	s_load_dwordx4 s[0:3], s[4:5], 0x0
	s_load_dwordx2 s[12:13], s[4:5], 0x10
	s_waitcnt lgkmcnt(0)
	s_cmp_eq_u64 s[2:3], 0
	s_cbranch_scc1 .LBB9_3
; %bb.2:
	v_ashrrev_i32_e32 v1, 31, v14
	v_mov_b32_e32 v2, s3
	v_add_co_u32_e32 v0, vcc, s2, v14
	v_addc_co_u32_e32 v1, vcc, v2, v1, vcc
	global_load_ubyte v0, v[0:1], off
	s_waitcnt vmcnt(0)
	v_and_b32_e32 v0, 1, v0
	v_cmp_eq_u32_e32 vcc, 1, v0
	s_xor_b64 s[2:3], vcc, -1
	s_orn2_b64 s[2:3], s[2:3], exec
	s_branch .LBB9_4
.LBB9_3:
	s_mov_b64 s[2:3], -1
.LBB9_4:
	s_load_dwordx2 s[14:15], s[4:5], 0x40
	s_load_dwordx4 s[8:11], s[4:5], 0x30
	v_mov_b32_e32 v2, s1
	s_mov_b32 s6, 0xbfb8aa3b
	s_mov_b32 s1, 0xc2b17218
	s_waitcnt lgkmcnt(0)
	v_mul_lo_u32 v0, v14, s15
	v_ashrrev_i32_e32 v1, 31, v0
	v_lshlrev_b64 v[0:1], 2, v[0:1]
	v_add_co_u32_e32 v4, vcc, s0, v0
	v_addc_co_u32_e32 v5, vcc, v2, v1, vcc
	global_load_dwordx2 v[2:3], v[4:5], off
	s_mov_b32 s0, 0x42ce8ed0
	v_mov_b32_e32 v1, 0x7f800000
	v_mul_lo_u32 v0, v14, s11
	v_mov_b32_e32 v8, s13
	s_cmp_gt_i32 s8, 0
	s_waitcnt vmcnt(0)
	v_mul_f32_e32 v6, 0xbfb8aa3b, v3
	v_fma_f32 v7, v3, s6, -v6
	v_rndne_f32_e32 v9, v6
	v_fmac_f32_e32 v7, 0xb2a5705f, v3
	v_sub_f32_e32 v6, v6, v9
	v_add_f32_e32 v6, v6, v7
	v_cvt_i32_f32_e32 v9, v9
	v_exp_f32_e32 v10, v6
	v_cmp_nlt_f32_e32 vcc, s0, v3
	v_add_u32_e32 v6, s8, v0
	v_ashrrev_i32_e32 v7, 31, v6
	v_ldexp_f32 v9, v10, v9
	v_cndmask_b32_e32 v9, 0, v9, vcc
	v_cmp_ngt_f32_e32 vcc, s1, v3
	v_cndmask_b32_e32 v3, v1, v9, vcc
	v_add_f32_e32 v3, 1.0, v3
	v_div_scale_f32 v9, s[16:17], v3, v3, 1.0
	v_rcp_f32_e32 v10, v9
	v_lshlrev_b64 v[6:7], 2, v[6:7]
	v_add_co_u32_e32 v6, vcc, s12, v6
	v_addc_co_u32_e32 v7, vcc, v8, v7, vcc
	v_fma_f32 v11, -v9, v10, 1.0
	v_div_scale_f32 v8, vcc, 1.0, v3, 1.0
	v_fmac_f32_e32 v10, v11, v10
	v_mul_f32_e32 v11, v8, v10
	v_fma_f32 v15, -v9, v11, v8
	v_fmac_f32_e32 v11, v15, v10
	v_fma_f32 v8, -v9, v11, v8
	v_div_fmas_f32 v8, v8, v10, v11
	v_div_fixup_f32 v3, v8, v3, 1.0
	global_store_dword v[6:7], v3, off
	global_load_dword v3, v[4:5], off offset:8
	s_waitcnt vmcnt(0)
	v_mul_f32_e32 v8, 0xbfb8aa3b, v3
	v_fma_f32 v9, v3, s6, -v8
	v_rndne_f32_e32 v10, v8
	v_fmac_f32_e32 v9, 0xb2a5705f, v3
	v_sub_f32_e32 v8, v8, v10
	v_add_f32_e32 v8, v8, v9
	v_cvt_i32_f32_e32 v10, v10
	v_exp_f32_e32 v8, v8
	v_cmp_nlt_f32_e32 vcc, s0, v3
	v_ldexp_f32 v8, v8, v10
	v_cndmask_b32_e32 v8, 0, v8, vcc
	v_cmp_ngt_f32_e32 vcc, s1, v3
	v_cndmask_b32_e32 v3, v1, v8, vcc
	v_add_f32_e32 v3, 1.0, v3
	v_div_scale_f32 v8, s[16:17], v3, v3, 1.0
	v_rcp_f32_e32 v9, v8
	v_div_scale_f32 v10, vcc, 1.0, v3, 1.0
	v_fma_f32 v11, -v8, v9, 1.0
	v_fmac_f32_e32 v9, v11, v9
	v_mul_f32_e32 v11, v10, v9
	v_fma_f32 v15, -v8, v11, v10
	v_fmac_f32_e32 v11, v15, v9
	v_fma_f32 v8, -v8, v11, v10
	v_div_fmas_f32 v8, v8, v9, v11
	v_div_fixup_f32 v3, v8, v3, 1.0
	global_store_dword v[6:7], v3, off offset:4
	global_load_dword v3, v[4:5], off offset:12
	s_waitcnt vmcnt(0)
	v_mul_f32_e32 v8, 0xbfb8aa3b, v3
	v_fma_f32 v9, v3, s6, -v8
	v_rndne_f32_e32 v10, v8
	v_fmac_f32_e32 v9, 0xb2a5705f, v3
	v_sub_f32_e32 v8, v8, v10
	v_add_f32_e32 v8, v8, v9
	v_cvt_i32_f32_e32 v10, v10
	v_exp_f32_e32 v8, v8
	v_cmp_nlt_f32_e32 vcc, s0, v3
	v_ldexp_f32 v8, v8, v10
	v_cndmask_b32_e32 v8, 0, v8, vcc
	v_cmp_ngt_f32_e32 vcc, s1, v3
	v_cndmask_b32_e32 v3, v1, v8, vcc
	v_add_f32_e32 v3, 1.0, v3
	v_div_scale_f32 v8, s[16:17], v3, v3, 1.0
	v_rcp_f32_e32 v9, v8
	v_div_scale_f32 v10, vcc, 1.0, v3, 1.0
	v_fma_f32 v11, -v8, v9, 1.0
	v_fmac_f32_e32 v9, v11, v9
	v_mul_f32_e32 v11, v10, v9
	v_fma_f32 v15, -v8, v11, v10
	v_fmac_f32_e32 v11, v15, v9
	v_fma_f32 v8, -v8, v11, v10
	v_div_fmas_f32 v8, v8, v9, v11
	v_div_fixup_f32 v3, v8, v3, 1.0
	global_store_dword v[6:7], v3, off offset:8
	;; [unrolled: 28-line block ×5, first 2 shown]
	global_load_dword v3, v[4:5], off offset:28
	s_waitcnt vmcnt(0)
	v_mul_f32_e32 v8, 0xbfb8aa3b, v3
	v_fma_f32 v9, v3, s6, -v8
	v_rndne_f32_e32 v10, v8
	v_fmac_f32_e32 v9, 0xb2a5705f, v3
	v_sub_f32_e32 v8, v8, v10
	v_add_f32_e32 v8, v8, v9
	v_cvt_i32_f32_e32 v10, v10
	v_exp_f32_e32 v8, v8
	v_cmp_nlt_f32_e32 vcc, s0, v3
	v_ldexp_f32 v8, v8, v10
	v_cndmask_b32_e32 v8, 0, v8, vcc
	v_cmp_ngt_f32_e32 vcc, s1, v3
	v_cndmask_b32_e32 v3, v1, v8, vcc
	v_add_f32_e32 v3, 1.0, v3
	v_div_scale_f32 v8, s[16:17], v3, v3, 1.0
	v_rcp_f32_e32 v9, v8
	v_div_scale_f32 v10, vcc, 1.0, v3, 1.0
	s_cselect_b64 s[16:17], -1, 0
	v_fma_f32 v11, -v8, v9, 1.0
	v_fmac_f32_e32 v9, v11, v9
	v_mul_f32_e32 v11, v10, v9
	v_fma_f32 v15, -v8, v11, v10
	v_fmac_f32_e32 v11, v15, v9
	v_fma_f32 v8, -v8, v11, v10
	v_div_fmas_f32 v8, v8, v9, v11
	v_div_fixup_f32 v3, v8, v3, 1.0
	global_store_dword v[6:7], v3, off offset:24
	global_load_dword v3, v[4:5], off offset:32
	v_mov_b32_e32 v15, 0
	s_cmp_lt_i32 s8, 1
	s_waitcnt vmcnt(0)
	v_mul_f32_e32 v4, 0xbfb8aa3b, v3
	v_fma_f32 v5, v3, s6, -v4
	v_rndne_f32_e32 v8, v4
	v_fmac_f32_e32 v5, 0xb2a5705f, v3
	v_sub_f32_e32 v4, v4, v8
	v_add_f32_e32 v4, v4, v5
	v_cvt_i32_f32_e32 v8, v8
	v_exp_f32_e32 v4, v4
	v_cmp_nlt_f32_e32 vcc, s0, v3
	v_ldexp_f32 v4, v4, v8
	v_cndmask_b32_e32 v4, 0, v4, vcc
	v_cmp_ngt_f32_e32 vcc, s1, v3
	v_cndmask_b32_e32 v3, v1, v4, vcc
	v_add_f32_e32 v3, 1.0, v3
	v_div_scale_f32 v4, s[0:1], v3, v3, 1.0
	v_rcp_f32_e32 v5, v4
	v_div_scale_f32 v8, vcc, 1.0, v3, 1.0
	v_fma_f32 v9, -v4, v5, 1.0
	v_fmac_f32_e32 v5, v9, v5
	v_mul_f32_e32 v9, v8, v5
	v_fma_f32 v10, -v4, v9, v8
	v_fmac_f32_e32 v9, v10, v5
	v_fma_f32 v4, -v4, v9, v8
	v_div_fmas_f32 v4, v4, v5, v9
	v_div_fixup_f32 v3, v4, v3, 1.0
	global_store_dword v[6:7], v3, off offset:28
	s_cbranch_scc1 .LBB9_8
; %bb.5:
	v_sub_f32_e32 v3, v2, v2
	v_mul_f32_e32 v4, 0x3fb8aa3b, v3
	s_mov_b32 s11, 0x3fb8aa3b
	v_rndne_f32_e32 v5, v4
	v_sub_f32_e32 v6, v4, v5
	v_fma_f32 v4, v3, s11, -v4
	v_fmac_f32_e32 v4, 0x32a5705f, v3
	v_add_f32_e32 v4, v6, v4
	s_cmp_lt_i32 s9, 1
	v_exp_f32_e32 v4, v4
	v_cvt_i32_f32_e32 v5, v5
	s_cselect_b64 s[0:1], -1, 0
	s_cmp_gt_i32 s10, 0
	v_mul_lo_u32 v8, v14, s14
	s_cselect_b64 s[14:15], -1, 0
	s_and_b64 s[20:21], s[0:1], s[14:15]
	s_mov_b32 s14, 0xc2ce8ed0
	v_ldexp_f32 v4, v4, v5
	v_cmp_ngt_f32_e32 vcc, s14, v3
	s_mov_b32 s10, 0x42b17218
	v_cndmask_b32_e32 v4, 0, v4, vcc
	v_cmp_nlt_f32_e32 vcc, s10, v3
	v_cndmask_b32_e32 v15, v1, v4, vcc
	v_ashrrev_i32_e32 v1, 31, v0
	s_load_dwordx4 s[4:7], s[4:5], 0x20
	v_lshlrev_b64 v[4:5], 2, v[0:1]
	v_mov_b32_e32 v1, s13
	v_add_co_u32_e32 v6, vcc, s12, v4
	v_addc_co_u32_e64 v7, s[0:1], v1, v5, vcc
	s_sub_i32 s0, 0, s9
	v_ashrrev_i32_e32 v9, 31, v8
	v_mul_lo_u32 v10, v14, s8
	v_mov_b32_e32 v1, s0
	s_and_b64 s[0:1], s[2:3], s[20:21]
	v_lshlrev_b64 v[8:9], 2, v[8:9]
	v_cndmask_b32_e64 v1, 1, v1, s[0:1]
	s_waitcnt lgkmcnt(0)
	v_mov_b32_e32 v3, s5
	v_add_co_u32_e64 v16, s[0:1], s4, v8
	v_ashrrev_i32_e32 v11, 31, v10
	v_addc_co_u32_e64 v17, s[0:1], v3, v9, s[0:1]
	v_lshlrev_b64 v[10:11], 2, v[10:11]
	global_store_dword v[16:17], v1, off
	v_mov_b32_e32 v3, s7
	v_add_co_u32_e64 v16, s[0:1], s6, v10
	v_addc_co_u32_e64 v17, s[0:1], v3, v11, s[0:1]
	s_cmp_eq_u32 s8, 1
	global_store_dword v[6:7], v15, off
	global_store_dword v[16:17], v14, off
	s_cbranch_scc1 .LBB9_8
; %bb.6:
	v_sub_f32_e32 v2, 0xff800000, v2
	v_mul_f32_e32 v3, 0x3fb8aa3b, v2
	v_fma_f32 v4, v2, s11, -v3
	v_rndne_f32_e32 v7, v3
	v_fmac_f32_e32 v4, 0x32a5705f, v2
	v_sub_f32_e32 v3, v3, v7
	v_add_f32_e32 v3, v3, v4
	v_cvt_i32_f32_e32 v4, v7
	v_exp_f32_e32 v3, v3
	v_cmp_ngt_f32_e64 s[0:1], s14, v2
	s_add_i32 s19, s19, s18
	v_ldexp_f32 v3, v3, v4
	v_cndmask_b32_e64 v3, 0, v3, s[0:1]
	v_mov_b32_e32 v4, 0x7f800000
	v_cmp_nlt_f32_e64 s[0:1], s10, v2
	v_cndmask_b32_e64 v7, v4, v3, s[0:1]
	v_mov_b32_e32 v2, s7
	v_add_co_u32_e64 v3, s[0:1], s6, v10
	v_addc_co_u32_e64 v4, s[0:1], v11, v2, s[0:1]
	v_add_co_u32_e64 v2, s[0:1], 4, v3
	v_addc_co_u32_e64 v3, s[0:1], 0, v4, s[0:1]
	v_mov_b32_e32 v4, s5
	v_add_co_u32_e64 v8, s[0:1], s4, v8
	v_addc_co_u32_e64 v4, s[0:1], v9, v4, s[0:1]
	v_add_co_u32_e64 v8, s[0:1], 4, v8
	v_addc_co_u32_e64 v9, s[0:1], 0, v4, s[0:1]
	v_mov_b32_e32 v4, s13
	v_addc_co_u32_e32 v5, vcc, v5, v4, vcc
	v_add_co_u32_e32 v4, vcc, 4, v6
	v_addc_co_u32_e32 v5, vcc, 0, v5, vcc
	s_add_i32 s0, s8, -1
	v_add3_u32 v6, s19, v13, v12
.LBB9_7:                                ; =>This Inner Loop Header: Depth=1
	global_store_dword v[4:5], v7, off
	global_store_dword v[8:9], v1, off
	;; [unrolled: 1-line block ×3, first 2 shown]
	v_add_co_u32_e32 v2, vcc, 4, v2
	v_addc_co_u32_e32 v3, vcc, 0, v3, vcc
	v_add_co_u32_e32 v8, vcc, 4, v8
	v_addc_co_u32_e32 v9, vcc, 0, v9, vcc
	v_add_co_u32_e32 v4, vcc, 4, v4
	s_add_i32 s0, s0, -1
	v_add_f32_e32 v15, v15, v7
	v_addc_co_u32_e32 v5, vcc, 0, v5, vcc
	s_cmp_eq_u32 s0, 0
	v_add_u32_e32 v6, s18, v6
	s_cbranch_scc0 .LBB9_7
.LBB9_8:
	v_cmp_neq_f32_e32 vcc, 0, v15
	s_and_b64 exec, exec, vcc
	s_cbranch_execz .LBB9_19
; %bb.9:
	s_andn2_b64 vcc, exec, s[16:17]
	s_cbranch_vccnz .LBB9_19
; %bb.10:
	v_div_scale_f32 v1, s[0:1], v15, v15, 1.0
	v_rcp_f32_e32 v2, v1
	v_div_scale_f32 v3, vcc, 1.0, v15, 1.0
	s_cmp_gt_u32 s8, 3
	v_fma_f32 v4, -v1, v2, 1.0
	v_fmac_f32_e32 v2, v4, v2
	v_mul_f32_e32 v4, v3, v2
	v_fma_f32 v5, -v1, v4, v3
	v_fmac_f32_e32 v4, v5, v2
	v_fma_f32 v1, -v1, v4, v3
	v_div_fmas_f32 v1, v1, v2, v4
	v_div_fixup_f32 v2, v1, v15, 1.0
	v_ashrrev_i32_e32 v1, 31, v0
	s_cbranch_scc0 .LBB9_14
; %bb.11:
	v_lshlrev_b64 v[4:5], 2, v[0:1]
	v_mov_b32_e32 v6, s13
	v_add_co_u32_e32 v4, vcc, s12, v4
	v_addc_co_u32_e32 v5, vcc, v5, v6, vcc
	s_and_b32 s4, s8, 0x7ffffffc
	v_add_co_u32_e32 v4, vcc, 8, v4
	v_mov_b32_e32 v3, v2
	v_addc_co_u32_e32 v5, vcc, 0, v5, vcc
	s_mov_b32 s0, s4
.LBB9_12:                               ; =>This Inner Loop Header: Depth=1
	global_load_dwordx4 v[6:9], v[4:5], off offset:-8
	s_add_i32 s0, s0, -4
	s_cmp_lg_u32 s0, 0
	s_waitcnt vmcnt(0)
	v_pk_mul_f32 v[6:7], v[2:3], v[6:7]
	v_pk_mul_f32 v[8:9], v[2:3], v[8:9]
	global_store_dwordx4 v[4:5], v[6:9], off offset:-8
	v_add_co_u32_e32 v4, vcc, 16, v4
	v_addc_co_u32_e32 v5, vcc, 0, v5, vcc
	s_cbranch_scc1 .LBB9_12
; %bb.13:
	s_cmp_lg_u32 s4, s8
	s_cselect_b64 s[0:1], -1, 0
	s_branch .LBB9_16
.LBB9_14:
	s_mov_b64 s[0:1], 0
                                        ; implicit-def: $sgpr4
	s_cbranch_execz .LBB9_16
; %bb.15:
	s_mov_b64 s[0:1], -1
	s_mov_b32 s4, 0
.LBB9_16:
	s_andn2_b64 vcc, exec, s[0:1]
	s_cbranch_vccnz .LBB9_19
; %bb.17:
	v_add_co_u32_e32 v0, vcc, s4, v0
	v_addc_co_u32_e32 v1, vcc, 0, v1, vcc
	v_lshlrev_b64 v[0:1], 2, v[0:1]
	v_mov_b32_e32 v3, s13
	v_add_co_u32_e32 v0, vcc, s12, v0
	s_sub_i32 s0, s8, s4
	v_addc_co_u32_e32 v1, vcc, v3, v1, vcc
.LBB9_18:                               ; =>This Inner Loop Header: Depth=1
	global_load_dword v3, v[0:1], off
	s_add_i32 s0, s0, -1
	s_cmp_lg_u32 s0, 0
	s_waitcnt vmcnt(0)
	v_mul_f32_e32 v3, v2, v3
	global_store_dword v[0:1], v3, off
	v_add_co_u32_e32 v0, vcc, 4, v0
	v_addc_co_u32_e32 v1, vcc, 0, v1, vcc
	s_cbranch_scc1 .LBB9_18
.LBB9_19:
	s_endpgm
	.section	.rodata,"a",@progbits
	.p2align	6, 0x0
	.amdhsa_kernel _ZN4vllm3moe17topkGatingSoftmaxIfLi1ELi1ELi8ELi4ELb1ELi8ELNS0_23SharedExpertScoringFuncE1EEEvPKT_PKbPfiPiS9_iiiiii
		.amdhsa_group_segment_fixed_size 0
		.amdhsa_private_segment_fixed_size 0
		.amdhsa_kernarg_size 72
		.amdhsa_user_sgpr_count 6
		.amdhsa_user_sgpr_private_segment_buffer 1
		.amdhsa_user_sgpr_dispatch_ptr 0
		.amdhsa_user_sgpr_queue_ptr 0
		.amdhsa_user_sgpr_kernarg_segment_ptr 1
		.amdhsa_user_sgpr_dispatch_id 0
		.amdhsa_user_sgpr_flat_scratch_init 0
		.amdhsa_user_sgpr_kernarg_preload_length 0
		.amdhsa_user_sgpr_kernarg_preload_offset 0
		.amdhsa_user_sgpr_private_segment_size 0
		.amdhsa_uses_dynamic_stack 0
		.amdhsa_system_sgpr_private_segment_wavefront_offset 0
		.amdhsa_system_sgpr_workgroup_id_x 1
		.amdhsa_system_sgpr_workgroup_id_y 0
		.amdhsa_system_sgpr_workgroup_id_z 0
		.amdhsa_system_sgpr_workgroup_info 0
		.amdhsa_system_vgpr_workitem_id 1
		.amdhsa_next_free_vgpr 18
		.amdhsa_next_free_sgpr 22
		.amdhsa_accum_offset 20
		.amdhsa_reserve_vcc 1
		.amdhsa_reserve_flat_scratch 0
		.amdhsa_float_round_mode_32 0
		.amdhsa_float_round_mode_16_64 0
		.amdhsa_float_denorm_mode_32 3
		.amdhsa_float_denorm_mode_16_64 3
		.amdhsa_dx10_clamp 1
		.amdhsa_ieee_mode 1
		.amdhsa_fp16_overflow 0
		.amdhsa_tg_split 0
		.amdhsa_exception_fp_ieee_invalid_op 0
		.amdhsa_exception_fp_denorm_src 0
		.amdhsa_exception_fp_ieee_div_zero 0
		.amdhsa_exception_fp_ieee_overflow 0
		.amdhsa_exception_fp_ieee_underflow 0
		.amdhsa_exception_fp_ieee_inexact 0
		.amdhsa_exception_int_div_zero 0
	.end_amdhsa_kernel
	.section	.text._ZN4vllm3moe17topkGatingSoftmaxIfLi1ELi1ELi8ELi4ELb1ELi8ELNS0_23SharedExpertScoringFuncE1EEEvPKT_PKbPfiPiS9_iiiiii,"axG",@progbits,_ZN4vllm3moe17topkGatingSoftmaxIfLi1ELi1ELi8ELi4ELb1ELi8ELNS0_23SharedExpertScoringFuncE1EEEvPKT_PKbPfiPiS9_iiiiii,comdat
.Lfunc_end9:
	.size	_ZN4vllm3moe17topkGatingSoftmaxIfLi1ELi1ELi8ELi4ELb1ELi8ELNS0_23SharedExpertScoringFuncE1EEEvPKT_PKbPfiPiS9_iiiiii, .Lfunc_end9-_ZN4vllm3moe17topkGatingSoftmaxIfLi1ELi1ELi8ELi4ELb1ELi8ELNS0_23SharedExpertScoringFuncE1EEEvPKT_PKbPfiPiS9_iiiiii
                                        ; -- End function
	.section	.AMDGPU.csdata,"",@progbits
; Kernel info:
; codeLenInByte = 2468
; NumSgprs: 26
; NumVgprs: 18
; NumAgprs: 0
; TotalNumVgprs: 18
; ScratchSize: 0
; MemoryBound: 0
; FloatMode: 240
; IeeeMode: 1
; LDSByteSize: 0 bytes/workgroup (compile time only)
; SGPRBlocks: 3
; VGPRBlocks: 2
; NumSGPRsForWavesPerEU: 26
; NumVGPRsForWavesPerEU: 18
; AccumOffset: 20
; Occupancy: 8
; WaveLimiterHint : 0
; COMPUTE_PGM_RSRC2:SCRATCH_EN: 0
; COMPUTE_PGM_RSRC2:USER_SGPR: 6
; COMPUTE_PGM_RSRC2:TRAP_HANDLER: 0
; COMPUTE_PGM_RSRC2:TGID_X_EN: 1
; COMPUTE_PGM_RSRC2:TGID_Y_EN: 0
; COMPUTE_PGM_RSRC2:TGID_Z_EN: 0
; COMPUTE_PGM_RSRC2:TIDIG_COMP_CNT: 1
; COMPUTE_PGM_RSRC3_GFX90A:ACCUM_OFFSET: 4
; COMPUTE_PGM_RSRC3_GFX90A:TG_SPLIT: 0
	.section	.text._ZN4vllm3moe17topkGatingSoftmaxIfLi1ELi1ELi8ELi4ELb0ELi8ELNS0_23SharedExpertScoringFuncE1EEEvPKT_PKbPfiPiS9_iiiiii,"axG",@progbits,_ZN4vllm3moe17topkGatingSoftmaxIfLi1ELi1ELi8ELi4ELb0ELi8ELNS0_23SharedExpertScoringFuncE1EEEvPKT_PKbPfiPiS9_iiiiii,comdat
	.protected	_ZN4vllm3moe17topkGatingSoftmaxIfLi1ELi1ELi8ELi4ELb0ELi8ELNS0_23SharedExpertScoringFuncE1EEEvPKT_PKbPfiPiS9_iiiiii ; -- Begin function _ZN4vllm3moe17topkGatingSoftmaxIfLi1ELi1ELi8ELi4ELb0ELi8ELNS0_23SharedExpertScoringFuncE1EEEvPKT_PKbPfiPiS9_iiiiii
	.globl	_ZN4vllm3moe17topkGatingSoftmaxIfLi1ELi1ELi8ELi4ELb0ELi8ELNS0_23SharedExpertScoringFuncE1EEEvPKT_PKbPfiPiS9_iiiiii
	.p2align	8
	.type	_ZN4vllm3moe17topkGatingSoftmaxIfLi1ELi1ELi8ELi4ELb0ELi8ELNS0_23SharedExpertScoringFuncE1EEEvPKT_PKbPfiPiS9_iiiiii,@function
_ZN4vllm3moe17topkGatingSoftmaxIfLi1ELi1ELi8ELi4ELb0ELi8ELNS0_23SharedExpertScoringFuncE1EEEvPKT_PKbPfiPiS9_iiiiii: ; @_ZN4vllm3moe17topkGatingSoftmaxIfLi1ELi1ELi8ELi4ELb0ELi8ELNS0_23SharedExpertScoringFuncE1EEEvPKT_PKbPfiPiS9_iiiiii
; %bb.0:
	s_load_dword s18, s[4:5], 0x18
	v_bfe_u32 v1, v0, 10, 10
	s_lshl_b32 s19, s6, 9
	v_lshlrev_b32_e32 v12, 6, v1
	v_and_b32_e32 v13, 0x3ff, v0
	v_add3_u32 v15, v12, v13, s19
	s_waitcnt lgkmcnt(0)
	v_cmp_gt_i32_e32 vcc, s18, v15
	s_and_saveexec_b64 s[0:1], vcc
	s_cbranch_execz .LBB10_20
; %bb.1:
	s_load_dwordx4 s[0:3], s[4:5], 0x0
	s_load_dwordx2 s[12:13], s[4:5], 0x10
	s_waitcnt lgkmcnt(0)
	s_cmp_eq_u64 s[2:3], 0
	s_cbranch_scc1 .LBB10_3
; %bb.2:
	v_ashrrev_i32_e32 v1, 31, v15
	v_mov_b32_e32 v2, s3
	v_add_co_u32_e32 v0, vcc, s2, v15
	v_addc_co_u32_e32 v1, vcc, v2, v1, vcc
	global_load_ubyte v0, v[0:1], off
	s_waitcnt vmcnt(0)
	v_and_b32_e32 v0, 1, v0
	v_cmp_eq_u32_e32 vcc, 1, v0
	s_xor_b64 s[2:3], vcc, -1
	s_orn2_b64 s[2:3], s[2:3], exec
	s_branch .LBB10_4
.LBB10_3:
	s_mov_b64 s[2:3], -1
.LBB10_4:
	s_load_dwordx2 s[14:15], s[4:5], 0x40
	s_load_dwordx4 s[8:11], s[4:5], 0x30
	v_mov_b32_e32 v2, s1
	s_mov_b32 s6, 0xbfb8aa3b
	s_mov_b32 s1, 0xc2b17218
	s_waitcnt lgkmcnt(0)
	v_mul_lo_u32 v0, v15, s15
	v_ashrrev_i32_e32 v1, 31, v0
	v_lshlrev_b64 v[0:1], 2, v[0:1]
	v_add_co_u32_e32 v4, vcc, s0, v0
	v_addc_co_u32_e32 v5, vcc, v2, v1, vcc
	global_load_dwordx2 v[2:3], v[4:5], off
	s_mov_b32 s0, 0x42ce8ed0
	v_mov_b32_e32 v14, 0x7f800000
	v_mul_lo_u32 v0, v15, s11
	v_mov_b32_e32 v1, s13
	s_cmp_gt_i32 s8, 0
	s_waitcnt vmcnt(0)
	v_mul_f32_e32 v6, 0xbfb8aa3b, v3
	v_fma_f32 v7, v3, s6, -v6
	v_rndne_f32_e32 v8, v6
	v_fmac_f32_e32 v7, 0xb2a5705f, v3
	v_sub_f32_e32 v6, v6, v8
	v_add_f32_e32 v6, v6, v7
	v_cvt_i32_f32_e32 v8, v8
	v_exp_f32_e32 v9, v6
	v_cmp_nlt_f32_e32 vcc, s0, v3
	v_add_u32_e32 v6, s8, v0
	v_ashrrev_i32_e32 v7, 31, v6
	v_ldexp_f32 v8, v9, v8
	v_cndmask_b32_e32 v8, 0, v8, vcc
	v_cmp_ngt_f32_e32 vcc, s1, v3
	v_cndmask_b32_e32 v3, v14, v8, vcc
	v_add_f32_e32 v3, 1.0, v3
	v_div_scale_f32 v8, s[16:17], v3, v3, 1.0
	v_rcp_f32_e32 v9, v8
	v_lshlrev_b64 v[6:7], 2, v[6:7]
	v_add_co_u32_e32 v6, vcc, s12, v6
	v_addc_co_u32_e32 v7, vcc, v1, v7, vcc
	v_fma_f32 v10, -v8, v9, 1.0
	v_div_scale_f32 v1, vcc, 1.0, v3, 1.0
	v_fmac_f32_e32 v9, v10, v9
	v_mul_f32_e32 v10, v1, v9
	v_fma_f32 v11, -v8, v10, v1
	v_fmac_f32_e32 v10, v11, v9
	v_fma_f32 v1, -v8, v10, v1
	v_div_fmas_f32 v1, v1, v9, v10
	v_div_fixup_f32 v1, v1, v3, 1.0
	global_store_dword v[6:7], v1, off
	global_load_dword v1, v[4:5], off offset:8
	s_waitcnt vmcnt(0)
	v_mul_f32_e32 v3, 0xbfb8aa3b, v1
	v_fma_f32 v8, v1, s6, -v3
	v_rndne_f32_e32 v9, v3
	v_fmac_f32_e32 v8, 0xb2a5705f, v1
	v_sub_f32_e32 v3, v3, v9
	v_add_f32_e32 v3, v3, v8
	v_cvt_i32_f32_e32 v9, v9
	v_exp_f32_e32 v3, v3
	v_cmp_nlt_f32_e32 vcc, s0, v1
	v_ldexp_f32 v3, v3, v9
	v_cndmask_b32_e32 v3, 0, v3, vcc
	v_cmp_ngt_f32_e32 vcc, s1, v1
	v_cndmask_b32_e32 v1, v14, v3, vcc
	v_add_f32_e32 v1, 1.0, v1
	v_div_scale_f32 v3, s[16:17], v1, v1, 1.0
	v_rcp_f32_e32 v8, v3
	v_div_scale_f32 v9, vcc, 1.0, v1, 1.0
	v_fma_f32 v10, -v3, v8, 1.0
	v_fmac_f32_e32 v8, v10, v8
	v_mul_f32_e32 v10, v9, v8
	v_fma_f32 v11, -v3, v10, v9
	v_fmac_f32_e32 v10, v11, v8
	v_fma_f32 v3, -v3, v10, v9
	v_div_fmas_f32 v3, v3, v8, v10
	v_div_fixup_f32 v1, v3, v1, 1.0
	global_store_dword v[6:7], v1, off offset:4
	global_load_dword v1, v[4:5], off offset:12
	s_waitcnt vmcnt(0)
	v_mul_f32_e32 v3, 0xbfb8aa3b, v1
	v_fma_f32 v8, v1, s6, -v3
	v_rndne_f32_e32 v9, v3
	v_fmac_f32_e32 v8, 0xb2a5705f, v1
	v_sub_f32_e32 v3, v3, v9
	v_add_f32_e32 v3, v3, v8
	v_cvt_i32_f32_e32 v9, v9
	v_exp_f32_e32 v3, v3
	v_cmp_nlt_f32_e32 vcc, s0, v1
	v_ldexp_f32 v3, v3, v9
	v_cndmask_b32_e32 v3, 0, v3, vcc
	v_cmp_ngt_f32_e32 vcc, s1, v1
	v_cndmask_b32_e32 v1, v14, v3, vcc
	v_add_f32_e32 v1, 1.0, v1
	v_div_scale_f32 v3, s[16:17], v1, v1, 1.0
	v_rcp_f32_e32 v8, v3
	v_div_scale_f32 v9, vcc, 1.0, v1, 1.0
	v_fma_f32 v10, -v3, v8, 1.0
	v_fmac_f32_e32 v8, v10, v8
	v_mul_f32_e32 v10, v9, v8
	v_fma_f32 v11, -v3, v10, v9
	v_fmac_f32_e32 v10, v11, v8
	v_fma_f32 v3, -v3, v10, v9
	v_div_fmas_f32 v3, v3, v8, v10
	v_div_fixup_f32 v1, v3, v1, 1.0
	global_store_dword v[6:7], v1, off offset:8
	;; [unrolled: 28-line block ×5, first 2 shown]
	global_load_dword v1, v[4:5], off offset:28
	s_waitcnt vmcnt(0)
	v_mul_f32_e32 v3, 0xbfb8aa3b, v1
	v_fma_f32 v8, v1, s6, -v3
	v_rndne_f32_e32 v9, v3
	v_fmac_f32_e32 v8, 0xb2a5705f, v1
	v_sub_f32_e32 v3, v3, v9
	v_add_f32_e32 v3, v3, v8
	v_cvt_i32_f32_e32 v9, v9
	v_exp_f32_e32 v3, v3
	v_cmp_nlt_f32_e32 vcc, s0, v1
	v_ldexp_f32 v3, v3, v9
	v_cndmask_b32_e32 v3, 0, v3, vcc
	v_cmp_ngt_f32_e32 vcc, s1, v1
	v_cndmask_b32_e32 v1, v14, v3, vcc
	v_add_f32_e32 v1, 1.0, v1
	v_div_scale_f32 v3, s[16:17], v1, v1, 1.0
	v_rcp_f32_e32 v8, v3
	v_div_scale_f32 v9, vcc, 1.0, v1, 1.0
	s_cselect_b64 s[16:17], -1, 0
	v_fma_f32 v10, -v3, v8, 1.0
	v_fmac_f32_e32 v8, v10, v8
	v_mul_f32_e32 v10, v9, v8
	v_fma_f32 v11, -v3, v10, v9
	v_fmac_f32_e32 v10, v11, v8
	v_fma_f32 v3, -v3, v10, v9
	v_div_fmas_f32 v3, v3, v8, v10
	v_div_fixup_f32 v1, v3, v1, 1.0
	global_store_dword v[6:7], v1, off offset:24
	global_load_dword v1, v[4:5], off offset:32
	s_cmp_lt_i32 s8, 1
	s_waitcnt vmcnt(0)
	v_mul_f32_e32 v3, 0xbfb8aa3b, v1
	v_fma_f32 v4, v1, s6, -v3
	v_rndne_f32_e32 v5, v3
	v_fmac_f32_e32 v4, 0xb2a5705f, v1
	v_sub_f32_e32 v3, v3, v5
	v_add_f32_e32 v3, v3, v4
	v_cvt_i32_f32_e32 v5, v5
	v_exp_f32_e32 v4, v3
	v_cmp_nlt_f32_e32 vcc, s0, v1
	v_mov_b32_e32 v3, 0
	v_ldexp_f32 v4, v4, v5
	v_cndmask_b32_e32 v4, 0, v4, vcc
	v_cmp_ngt_f32_e32 vcc, s1, v1
	v_cndmask_b32_e32 v1, v14, v4, vcc
	v_add_f32_e32 v1, 1.0, v1
	v_div_scale_f32 v4, s[0:1], v1, v1, 1.0
	v_rcp_f32_e32 v5, v4
	v_div_scale_f32 v8, vcc, 1.0, v1, 1.0
	v_fma_f32 v9, -v4, v5, 1.0
	v_fmac_f32_e32 v5, v9, v5
	v_mul_f32_e32 v9, v8, v5
	v_fma_f32 v10, -v4, v9, v8
	v_fmac_f32_e32 v9, v10, v5
	v_fma_f32 v4, -v4, v9, v8
	v_div_fmas_f32 v4, v4, v5, v9
	v_div_fixup_f32 v1, v4, v1, 1.0
	global_store_dword v[6:7], v1, off offset:28
	v_mov_b32_e32 v1, v2
	s_cbranch_scc1 .LBB10_9
; %bb.5:
	v_sub_f32_e32 v1, v2, v2
	v_mul_f32_e32 v3, 0x3fb8aa3b, v1
	s_mov_b32 s11, 0x3fb8aa3b
	v_rndne_f32_e32 v4, v3
	v_sub_f32_e32 v5, v3, v4
	v_fma_f32 v3, v1, s11, -v3
	v_fmac_f32_e32 v3, 0x32a5705f, v1
	v_add_f32_e32 v3, v5, v3
	s_cmp_lt_i32 s9, 1
	v_exp_f32_e32 v3, v3
	v_cvt_i32_f32_e32 v4, v4
	s_cselect_b64 s[0:1], -1, 0
	s_cmp_gt_i32 s10, 0
	v_mul_lo_u32 v8, v15, s14
	s_cselect_b64 s[14:15], -1, 0
	s_and_b64 s[20:21], s[0:1], s[14:15]
	s_mov_b32 s14, 0xc2ce8ed0
	v_ldexp_f32 v3, v3, v4
	v_cmp_ngt_f32_e32 vcc, s14, v1
	s_mov_b32 s10, 0x42b17218
	v_cndmask_b32_e32 v3, 0, v3, vcc
	v_cmp_nlt_f32_e32 vcc, s10, v1
	v_ashrrev_i32_e32 v1, 31, v0
	s_load_dwordx4 s[4:7], s[4:5], 0x20
	v_lshlrev_b64 v[4:5], 2, v[0:1]
	v_cndmask_b32_e32 v3, v14, v3, vcc
	v_mov_b32_e32 v1, s13
	v_add_co_u32_e32 v6, vcc, s12, v4
	v_addc_co_u32_e64 v7, s[0:1], v1, v5, vcc
	s_sub_i32 s0, 0, s9
	v_ashrrev_i32_e32 v9, 31, v8
	v_mov_b32_e32 v1, s0
	s_and_b64 s[0:1], s[2:3], s[20:21]
	v_lshlrev_b64 v[10:11], 2, v[8:9]
	v_mul_lo_u32 v16, v15, s8
	v_cndmask_b32_e64 v1, 1, v1, s[0:1]
	s_waitcnt lgkmcnt(0)
	v_mov_b32_e32 v4, s5
	v_add_co_u32_e64 v8, s[0:1], s4, v10
	v_addc_co_u32_e64 v9, s[0:1], v4, v11, s[0:1]
	v_ashrrev_i32_e32 v17, 31, v16
	global_store_dword v[8:9], v1, off
	v_lshlrev_b64 v[8:9], 2, v[16:17]
	v_mov_b32_e32 v4, s7
	v_add_co_u32_e64 v16, s[0:1], s6, v8
	v_addc_co_u32_e64 v17, s[0:1], v4, v9, s[0:1]
	s_cmp_eq_u32 s8, 1
	global_store_dword v[6:7], v3, off
	global_store_dword v[16:17], v15, off
	s_cbranch_scc1 .LBB10_8
; %bb.6:
	v_sub_f32_e32 v4, 0xff800000, v2
	v_mul_f32_e32 v7, 0x3fb8aa3b, v4
	v_fma_f32 v15, v4, s11, -v7
	v_rndne_f32_e32 v16, v7
	v_fmac_f32_e32 v15, 0x32a5705f, v4
	v_sub_f32_e32 v7, v7, v16
	v_add_f32_e32 v7, v7, v15
	v_cvt_i32_f32_e32 v15, v16
	v_exp_f32_e32 v7, v7
	v_cmp_ngt_f32_e64 s[0:1], s14, v4
	s_add_i32 s19, s19, s18
	v_ldexp_f32 v7, v7, v15
	v_cndmask_b32_e64 v7, 0, v7, s[0:1]
	v_mov_b32_e32 v15, 0x7f800000
	v_cmp_nlt_f32_e64 s[0:1], s10, v4
	v_cndmask_b32_e64 v7, v15, v7, s[0:1]
	v_mov_b32_e32 v4, s7
	v_add_co_u32_e64 v8, s[0:1], s6, v8
	v_addc_co_u32_e64 v4, s[0:1], v9, v4, s[0:1]
	v_add_co_u32_e64 v8, s[0:1], 4, v8
	v_addc_co_u32_e64 v9, s[0:1], 0, v4, s[0:1]
	v_mov_b32_e32 v4, s5
	v_add_co_u32_e64 v10, s[0:1], s4, v10
	v_addc_co_u32_e64 v4, s[0:1], v11, v4, s[0:1]
	v_add_co_u32_e64 v10, s[0:1], 4, v10
	v_addc_co_u32_e64 v11, s[0:1], 0, v4, s[0:1]
	v_mov_b32_e32 v4, s13
	v_addc_co_u32_e32 v5, vcc, v5, v4, vcc
	v_add_co_u32_e32 v4, vcc, 4, v6
	v_addc_co_u32_e32 v5, vcc, 0, v5, vcc
	s_add_i32 s0, s8, -1
	v_add3_u32 v6, s19, v13, v12
.LBB10_7:                               ; =>This Inner Loop Header: Depth=1
	global_store_dword v[4:5], v7, off
	global_store_dword v[10:11], v1, off
	;; [unrolled: 1-line block ×3, first 2 shown]
	v_add_co_u32_e32 v8, vcc, 4, v8
	v_addc_co_u32_e32 v9, vcc, 0, v9, vcc
	v_add_co_u32_e32 v10, vcc, 4, v10
	v_addc_co_u32_e32 v11, vcc, 0, v11, vcc
	v_add_co_u32_e32 v4, vcc, 4, v4
	s_add_i32 s0, s0, -1
	v_add_f32_e32 v3, v3, v7
	v_addc_co_u32_e32 v5, vcc, 0, v5, vcc
	s_cmp_eq_u32 s0, 0
	v_add_u32_e32 v6, s18, v6
	s_cbranch_scc0 .LBB10_7
.LBB10_8:
	v_mov_b32_e32 v1, 0xff800000
.LBB10_9:
	v_sub_f32_e32 v1, v1, v2
	s_mov_b32 s0, 0x3fb8aa3b
	v_mul_f32_e32 v2, 0x3fb8aa3b, v1
	v_fma_f32 v4, v1, s0, -v2
	v_rndne_f32_e32 v5, v2
	v_fmac_f32_e32 v4, 0x32a5705f, v1
	v_sub_f32_e32 v2, v2, v5
	v_add_f32_e32 v2, v2, v4
	v_exp_f32_e32 v2, v2
	v_cvt_i32_f32_e32 v4, v5
	s_mov_b32 s0, 0xc2ce8ed0
	v_cmp_ngt_f32_e32 vcc, s0, v1
	s_mov_b32 s0, 0x42b17218
	v_ldexp_f32 v2, v2, v4
	v_cndmask_b32_e32 v2, 0, v2, vcc
	v_cmp_nlt_f32_e32 vcc, s0, v1
	v_cndmask_b32_e32 v1, v14, v2, vcc
	v_add_f32_e32 v1, v3, v1
	v_cmp_neq_f32_e32 vcc, 0, v1
	s_and_b64 exec, exec, vcc
	s_cbranch_execz .LBB10_20
; %bb.10:
	s_andn2_b64 vcc, exec, s[16:17]
	s_cbranch_vccnz .LBB10_20
; %bb.11:
	v_div_scale_f32 v2, s[0:1], v1, v1, 1.0
	v_rcp_f32_e32 v3, v2
	v_div_scale_f32 v4, vcc, 1.0, v1, 1.0
	s_cmp_gt_u32 s8, 3
	v_fma_f32 v5, -v2, v3, 1.0
	v_fmac_f32_e32 v3, v5, v3
	v_mul_f32_e32 v5, v4, v3
	v_fma_f32 v6, -v2, v5, v4
	v_fmac_f32_e32 v5, v6, v3
	v_fma_f32 v2, -v2, v5, v4
	v_div_fmas_f32 v2, v2, v3, v5
	v_div_fixup_f32 v2, v2, v1, 1.0
	v_ashrrev_i32_e32 v1, 31, v0
	s_cbranch_scc0 .LBB10_15
; %bb.12:
	v_lshlrev_b64 v[4:5], 2, v[0:1]
	v_mov_b32_e32 v6, s13
	v_add_co_u32_e32 v4, vcc, s12, v4
	v_addc_co_u32_e32 v5, vcc, v5, v6, vcc
	s_and_b32 s4, s8, 0x7ffffffc
	v_add_co_u32_e32 v4, vcc, 8, v4
	v_mov_b32_e32 v3, v2
	v_addc_co_u32_e32 v5, vcc, 0, v5, vcc
	s_mov_b32 s0, s4
.LBB10_13:                              ; =>This Inner Loop Header: Depth=1
	global_load_dwordx4 v[6:9], v[4:5], off offset:-8
	s_add_i32 s0, s0, -4
	s_cmp_lg_u32 s0, 0
	s_waitcnt vmcnt(0)
	v_pk_mul_f32 v[6:7], v[2:3], v[6:7]
	v_pk_mul_f32 v[8:9], v[2:3], v[8:9]
	global_store_dwordx4 v[4:5], v[6:9], off offset:-8
	v_add_co_u32_e32 v4, vcc, 16, v4
	v_addc_co_u32_e32 v5, vcc, 0, v5, vcc
	s_cbranch_scc1 .LBB10_13
; %bb.14:
	s_cmp_lg_u32 s4, s8
	s_cselect_b64 s[0:1], -1, 0
	s_branch .LBB10_17
.LBB10_15:
	s_mov_b64 s[0:1], 0
                                        ; implicit-def: $sgpr4
	s_cbranch_execz .LBB10_17
; %bb.16:
	s_mov_b64 s[0:1], -1
	s_mov_b32 s4, 0
.LBB10_17:
	s_andn2_b64 vcc, exec, s[0:1]
	s_cbranch_vccnz .LBB10_20
; %bb.18:
	v_add_co_u32_e32 v0, vcc, s4, v0
	v_addc_co_u32_e32 v1, vcc, 0, v1, vcc
	v_lshlrev_b64 v[0:1], 2, v[0:1]
	v_mov_b32_e32 v3, s13
	v_add_co_u32_e32 v0, vcc, s12, v0
	s_sub_i32 s0, s8, s4
	v_addc_co_u32_e32 v1, vcc, v3, v1, vcc
.LBB10_19:                              ; =>This Inner Loop Header: Depth=1
	global_load_dword v3, v[0:1], off
	s_add_i32 s0, s0, -1
	s_cmp_lg_u32 s0, 0
	s_waitcnt vmcnt(0)
	v_mul_f32_e32 v3, v2, v3
	global_store_dword v[0:1], v3, off
	v_add_co_u32_e32 v0, vcc, 4, v0
	v_addc_co_u32_e32 v1, vcc, 0, v1, vcc
	s_cbranch_scc1 .LBB10_19
.LBB10_20:
	s_endpgm
	.section	.rodata,"a",@progbits
	.p2align	6, 0x0
	.amdhsa_kernel _ZN4vllm3moe17topkGatingSoftmaxIfLi1ELi1ELi8ELi4ELb0ELi8ELNS0_23SharedExpertScoringFuncE1EEEvPKT_PKbPfiPiS9_iiiiii
		.amdhsa_group_segment_fixed_size 0
		.amdhsa_private_segment_fixed_size 0
		.amdhsa_kernarg_size 72
		.amdhsa_user_sgpr_count 6
		.amdhsa_user_sgpr_private_segment_buffer 1
		.amdhsa_user_sgpr_dispatch_ptr 0
		.amdhsa_user_sgpr_queue_ptr 0
		.amdhsa_user_sgpr_kernarg_segment_ptr 1
		.amdhsa_user_sgpr_dispatch_id 0
		.amdhsa_user_sgpr_flat_scratch_init 0
		.amdhsa_user_sgpr_kernarg_preload_length 0
		.amdhsa_user_sgpr_kernarg_preload_offset 0
		.amdhsa_user_sgpr_private_segment_size 0
		.amdhsa_uses_dynamic_stack 0
		.amdhsa_system_sgpr_private_segment_wavefront_offset 0
		.amdhsa_system_sgpr_workgroup_id_x 1
		.amdhsa_system_sgpr_workgroup_id_y 0
		.amdhsa_system_sgpr_workgroup_id_z 0
		.amdhsa_system_sgpr_workgroup_info 0
		.amdhsa_system_vgpr_workitem_id 1
		.amdhsa_next_free_vgpr 18
		.amdhsa_next_free_sgpr 22
		.amdhsa_accum_offset 20
		.amdhsa_reserve_vcc 1
		.amdhsa_reserve_flat_scratch 0
		.amdhsa_float_round_mode_32 0
		.amdhsa_float_round_mode_16_64 0
		.amdhsa_float_denorm_mode_32 3
		.amdhsa_float_denorm_mode_16_64 3
		.amdhsa_dx10_clamp 1
		.amdhsa_ieee_mode 1
		.amdhsa_fp16_overflow 0
		.amdhsa_tg_split 0
		.amdhsa_exception_fp_ieee_invalid_op 0
		.amdhsa_exception_fp_denorm_src 0
		.amdhsa_exception_fp_ieee_div_zero 0
		.amdhsa_exception_fp_ieee_overflow 0
		.amdhsa_exception_fp_ieee_underflow 0
		.amdhsa_exception_fp_ieee_inexact 0
		.amdhsa_exception_int_div_zero 0
	.end_amdhsa_kernel
	.section	.text._ZN4vllm3moe17topkGatingSoftmaxIfLi1ELi1ELi8ELi4ELb0ELi8ELNS0_23SharedExpertScoringFuncE1EEEvPKT_PKbPfiPiS9_iiiiii,"axG",@progbits,_ZN4vllm3moe17topkGatingSoftmaxIfLi1ELi1ELi8ELi4ELb0ELi8ELNS0_23SharedExpertScoringFuncE1EEEvPKT_PKbPfiPiS9_iiiiii,comdat
.Lfunc_end10:
	.size	_ZN4vllm3moe17topkGatingSoftmaxIfLi1ELi1ELi8ELi4ELb0ELi8ELNS0_23SharedExpertScoringFuncE1EEEvPKT_PKbPfiPiS9_iiiiii, .Lfunc_end10-_ZN4vllm3moe17topkGatingSoftmaxIfLi1ELi1ELi8ELi4ELb0ELi8ELNS0_23SharedExpertScoringFuncE1EEEvPKT_PKbPfiPiS9_iiiiii
                                        ; -- End function
	.section	.AMDGPU.csdata,"",@progbits
; Kernel info:
; codeLenInByte = 2580
; NumSgprs: 26
; NumVgprs: 18
; NumAgprs: 0
; TotalNumVgprs: 18
; ScratchSize: 0
; MemoryBound: 0
; FloatMode: 240
; IeeeMode: 1
; LDSByteSize: 0 bytes/workgroup (compile time only)
; SGPRBlocks: 3
; VGPRBlocks: 2
; NumSGPRsForWavesPerEU: 26
; NumVGPRsForWavesPerEU: 18
; AccumOffset: 20
; Occupancy: 8
; WaveLimiterHint : 0
; COMPUTE_PGM_RSRC2:SCRATCH_EN: 0
; COMPUTE_PGM_RSRC2:USER_SGPR: 6
; COMPUTE_PGM_RSRC2:TRAP_HANDLER: 0
; COMPUTE_PGM_RSRC2:TGID_X_EN: 1
; COMPUTE_PGM_RSRC2:TGID_Y_EN: 0
; COMPUTE_PGM_RSRC2:TGID_Z_EN: 0
; COMPUTE_PGM_RSRC2:TIDIG_COMP_CNT: 1
; COMPUTE_PGM_RSRC3_GFX90A:ACCUM_OFFSET: 4
; COMPUTE_PGM_RSRC3_GFX90A:TG_SPLIT: 0
	.section	.text._ZN4vllm3moe17topkGatingSoftmaxIfLi2ELi2ELi8ELi8ELb1ELi0ELNS0_23SharedExpertScoringFuncE0EEEvPKT_PKbPfiPiS9_iiiiii,"axG",@progbits,_ZN4vllm3moe17topkGatingSoftmaxIfLi2ELi2ELi8ELi8ELb1ELi0ELNS0_23SharedExpertScoringFuncE0EEEvPKT_PKbPfiPiS9_iiiiii,comdat
	.protected	_ZN4vllm3moe17topkGatingSoftmaxIfLi2ELi2ELi8ELi8ELb1ELi0ELNS0_23SharedExpertScoringFuncE0EEEvPKT_PKbPfiPiS9_iiiiii ; -- Begin function _ZN4vllm3moe17topkGatingSoftmaxIfLi2ELi2ELi8ELi8ELb1ELi0ELNS0_23SharedExpertScoringFuncE0EEEvPKT_PKbPfiPiS9_iiiiii
	.globl	_ZN4vllm3moe17topkGatingSoftmaxIfLi2ELi2ELi8ELi8ELb1ELi0ELNS0_23SharedExpertScoringFuncE0EEEvPKT_PKbPfiPiS9_iiiiii
	.p2align	8
	.type	_ZN4vllm3moe17topkGatingSoftmaxIfLi2ELi2ELi8ELi8ELb1ELi0ELNS0_23SharedExpertScoringFuncE0EEEvPKT_PKbPfiPiS9_iiiiii,@function
_ZN4vllm3moe17topkGatingSoftmaxIfLi2ELi2ELi8ELi8ELb1ELi0ELNS0_23SharedExpertScoringFuncE0EEEvPKT_PKbPfiPiS9_iiiiii: ; @_ZN4vllm3moe17topkGatingSoftmaxIfLi2ELi2ELi8ELi8ELb1ELi0ELNS0_23SharedExpertScoringFuncE0EEEvPKT_PKbPfiPiS9_iiiiii
; %bb.0:
	s_load_dword s20, s[4:5], 0x18
	v_bfe_u32 v1, v0, 10, 10
	s_lshl_b32 s24, s6, 9
	v_lshlrev_b32_e32 v12, 6, v1
	v_and_b32_e32 v13, 0x3ff, v0
	v_add3_u32 v10, v12, v13, s24
	s_waitcnt lgkmcnt(0)
	v_cmp_gt_i32_e32 vcc, s20, v10
	s_and_saveexec_b64 s[0:1], vcc
	s_cbranch_execz .LBB11_20
; %bb.1:
	s_load_dwordx4 s[0:3], s[4:5], 0x0
	s_load_dwordx2 s[6:7], s[4:5], 0x10
	s_waitcnt lgkmcnt(0)
	s_cmp_eq_u64 s[2:3], 0
	s_cbranch_scc1 .LBB11_3
; %bb.2:
	v_ashrrev_i32_e32 v1, 31, v10
	v_mov_b32_e32 v2, s3
	v_add_co_u32_e32 v0, vcc, s2, v10
	v_addc_co_u32_e32 v1, vcc, v2, v1, vcc
	global_load_ubyte v0, v[0:1], off
	s_waitcnt vmcnt(0)
	v_and_b32_e32 v0, 1, v0
	v_cmp_eq_u32_e32 vcc, 1, v0
	s_xor_b64 s[2:3], vcc, -1
	s_orn2_b64 s[18:19], s[2:3], exec
	s_branch .LBB11_4
.LBB11_3:
	s_mov_b64 s[18:19], -1
.LBB11_4:
	s_load_dwordx4 s[8:11], s[4:5], 0x30
	s_waitcnt lgkmcnt(0)
	s_cmp_gt_i32 s8, 0
	s_cselect_b64 s[16:17], -1, 0
	s_cmp_lt_i32 s8, 1
	s_cbranch_scc1 .LBB11_9
; %bb.5:
	s_load_dwordx2 s[2:3], s[4:5], 0x40
	s_load_dwordx4 s[12:15], s[4:5], 0x20
	v_mov_b32_e32 v2, s1
	v_mul_lo_u32 v4, v10, s8
	v_mov_b32_e32 v9, s7
	s_waitcnt lgkmcnt(0)
	v_mul_lo_u32 v0, v10, s3
	v_ashrrev_i32_e32 v1, 31, v0
	v_lshlrev_b64 v[0:1], 2, v[0:1]
	v_add_co_u32_e32 v0, vcc, s0, v0
	v_addc_co_u32_e32 v1, vcc, v2, v1, vcc
	global_load_dwordx2 v[0:1], v[0:1], off
	v_mul_lo_u32 v2, v10, s11
	v_ashrrev_i32_e32 v3, 31, v2
	v_lshlrev_b64 v[6:7], 2, v[2:3]
	v_ashrrev_i32_e32 v5, 31, v4
	v_add_co_u32_e32 v8, vcc, s6, v6
	v_lshlrev_b64 v[2:3], 2, v[4:5]
	v_addc_co_u32_e64 v9, s[0:1], v9, v7, vcc
	v_mul_lo_u32 v4, v10, s2
	v_mov_b32_e32 v14, s15
	v_ashrrev_i32_e32 v5, 31, v4
	v_add_co_u32_e64 v16, s[0:1], s14, v2
	v_addc_co_u32_e64 v17, s[0:1], v14, v3, s[0:1]
	v_lshlrev_b64 v[4:5], 2, v[4:5]
	v_mov_b32_e32 v6, s13
	v_add_co_u32_e64 v18, s[0:1], s12, v4
	v_addc_co_u32_e64 v19, s[0:1], v6, v5, s[0:1]
	s_mov_b32 s21, 0x3fb8aa3b
	s_mov_b32 s22, 0xc2ce8ed0
	;; [unrolled: 1-line block ×3, first 2 shown]
	v_mov_b32_e32 v11, 0x7f800000
	s_waitcnt vmcnt(0)
	v_cmp_lt_f32_e64 s[0:1], v0, v1
	v_cndmask_b32_e64 v15, v0, v1, s[0:1]
	v_sub_f32_e32 v14, v15, v15
	v_mul_f32_e32 v20, 0x3fb8aa3b, v14
	v_fma_f32 v22, v14, s21, -v20
	v_rndne_f32_e32 v23, v20
	v_fmac_f32_e32 v22, 0x32a5705f, v14
	v_sub_f32_e32 v20, v20, v23
	v_cndmask_b32_e64 v6, 0, 1, s[0:1]
	v_add_f32_e32 v20, v20, v22
	v_cmp_le_i32_e64 s[2:3], s9, v6
	v_cmp_gt_i32_e64 s[4:5], s10, v6
	v_cvt_i32_f32_e32 v23, v23
	v_exp_f32_e32 v20, v20
	s_and_b64 s[2:3], s[2:3], s[4:5]
	v_subrev_u32_e32 v21, s9, v6
	s_and_b64 s[2:3], s[18:19], s[2:3]
	v_cndmask_b32_e64 v21, 2, v21, s[2:3]
	global_store_dword v[18:19], v21, off
	v_ldexp_f32 v18, v20, v23
	v_cmp_ngt_f32_e64 s[2:3], s22, v14
	v_cndmask_b32_e64 v18, 0, v18, s[2:3]
	v_cmp_nlt_f32_e64 s[2:3], s23, v14
	s_cmp_eq_u32 s8, 1
	v_cndmask_b32_e64 v14, v11, v18, s[2:3]
	global_store_dword v[8:9], v14, off
	global_store_dword v[16:17], v10, off
	s_cbranch_scc1 .LBB11_8
; %bb.6:
	v_mov_b32_e32 v9, 0xff800000
	v_cndmask_b32_e64 v0, v9, v0, s[0:1]
	v_cmp_ne_u32_e64 s[0:1], 1, v6
	v_cndmask_b32_e64 v1, v9, v1, s[0:1]
	v_mov_b32_e32 v6, s15
	v_add_co_u32_e64 v2, s[0:1], s14, v2
	v_addc_co_u32_e64 v3, s[0:1], v3, v6, s[0:1]
	v_add_co_u32_e64 v2, s[0:1], 4, v2
	v_addc_co_u32_e64 v3, s[0:1], 0, v3, s[0:1]
	v_mov_b32_e32 v6, s13
	v_add_co_u32_e64 v4, s[0:1], s12, v4
	v_addc_co_u32_e64 v5, s[0:1], v5, v6, s[0:1]
	v_mov_b32_e32 v6, s7
	v_addc_co_u32_e32 v7, vcc, v7, v6, vcc
	v_add_co_u32_e64 v4, s[0:1], 4, v4
	v_add_co_u32_e32 v6, vcc, 4, v8
	s_add_i32 s24, s24, s20
	v_addc_co_u32_e64 v5, s[0:1], 0, v5, s[0:1]
	v_addc_co_u32_e32 v7, vcc, 0, v7, vcc
	s_add_i32 s2, s8, -1
	v_add3_u32 v8, s24, v13, v12
.LBB11_7:                               ; =>This Inner Loop Header: Depth=1
	v_cmp_gt_f32_e32 vcc, v1, v0
	v_cndmask_b32_e32 v12, v0, v1, vcc
	v_cndmask_b32_e64 v13, 0, 1, vcc
	v_sub_f32_e32 v12, v12, v15
	v_cndmask_b32_e32 v1, v1, v9, vcc
	v_cndmask_b32_e32 v0, v9, v0, vcc
	v_cmp_le_i32_e32 vcc, s9, v13
	v_cmp_gt_i32_e64 s[0:1], s10, v13
	v_mul_f32_e32 v16, 0x3fb8aa3b, v12
	s_and_b64 s[0:1], vcc, s[0:1]
	v_fma_f32 v17, v12, s21, -v16
	v_rndne_f32_e32 v18, v16
	v_subrev_u32_e32 v13, s9, v13
	v_fmac_f32_e32 v17, 0x32a5705f, v12
	v_sub_f32_e32 v16, v16, v18
	s_and_b64 vcc, s[18:19], s[0:1]
	v_cndmask_b32_e32 v13, 2, v13, vcc
	v_add_f32_e32 v16, v16, v17
	v_cvt_i32_f32_e32 v18, v18
	global_store_dword v[4:5], v13, off
	global_store_dword v[2:3], v8, off
	v_add_co_u32_e32 v2, vcc, 4, v2
	v_exp_f32_e32 v13, v16
	v_addc_co_u32_e32 v3, vcc, 0, v3, vcc
	v_add_co_u32_e32 v4, vcc, 4, v4
	v_addc_co_u32_e32 v5, vcc, 0, v5, vcc
	v_ldexp_f32 v13, v13, v18
	v_cmp_ngt_f32_e32 vcc, s22, v12
	v_cndmask_b32_e32 v13, 0, v13, vcc
	v_cmp_nlt_f32_e32 vcc, s23, v12
	v_cndmask_b32_e32 v12, v11, v13, vcc
	s_add_i32 s2, s2, -1
	global_store_dword v[6:7], v12, off
	v_add_co_u32_e32 v6, vcc, 4, v6
	v_add_u32_e32 v8, s20, v8
	s_cmp_eq_u32 s2, 0
	v_add_f32_e32 v14, v14, v12
	v_addc_co_u32_e32 v7, vcc, 0, v7, vcc
	s_cbranch_scc0 .LBB11_7
.LBB11_8:
	v_cmp_neq_f32_e32 vcc, 0, v14
	s_and_b64 exec, exec, vcc
	s_cbranch_execnz .LBB11_10
	s_branch .LBB11_20
.LBB11_9:
	v_mov_b32_e32 v14, 0
	v_cmp_neq_f32_e32 vcc, 0, v14
	s_and_b64 exec, exec, vcc
	s_cbranch_execz .LBB11_20
.LBB11_10:
	s_andn2_b64 vcc, exec, s[16:17]
	s_cbranch_vccnz .LBB11_20
; %bb.11:
	v_div_scale_f32 v0, s[0:1], v14, v14, 1.0
	v_rcp_f32_e32 v1, v0
	v_div_scale_f32 v2, vcc, 1.0, v14, 1.0
	s_cmp_gt_u32 s8, 3
	v_fma_f32 v3, -v0, v1, 1.0
	v_fmac_f32_e32 v1, v3, v1
	v_mul_f32_e32 v3, v2, v1
	v_fma_f32 v4, -v0, v3, v2
	v_fmac_f32_e32 v3, v4, v1
	v_fma_f32 v0, -v0, v3, v2
	v_div_fmas_f32 v0, v0, v1, v3
	v_mul_lo_u32 v2, v10, s11
	v_div_fixup_f32 v0, v0, v14, 1.0
	v_ashrrev_i32_e32 v3, 31, v2
	s_cbranch_scc0 .LBB11_15
; %bb.12:
	v_lshlrev_b64 v[4:5], 2, v[2:3]
	v_mov_b32_e32 v6, s7
	v_add_co_u32_e32 v4, vcc, s6, v4
	v_addc_co_u32_e32 v5, vcc, v5, v6, vcc
	s_and_b32 s4, s8, 0x7ffffffc
	v_add_co_u32_e32 v4, vcc, 8, v4
	v_mov_b32_e32 v1, v0
	v_addc_co_u32_e32 v5, vcc, 0, v5, vcc
	s_mov_b32 s0, s4
.LBB11_13:                              ; =>This Inner Loop Header: Depth=1
	global_load_dwordx4 v[6:9], v[4:5], off offset:-8
	s_add_i32 s0, s0, -4
	s_cmp_lg_u32 s0, 0
	s_waitcnt vmcnt(0)
	v_pk_mul_f32 v[6:7], v[0:1], v[6:7]
	v_pk_mul_f32 v[8:9], v[0:1], v[8:9]
	global_store_dwordx4 v[4:5], v[6:9], off offset:-8
	v_add_co_u32_e32 v4, vcc, 16, v4
	v_addc_co_u32_e32 v5, vcc, 0, v5, vcc
	s_cbranch_scc1 .LBB11_13
; %bb.14:
	s_cmp_lg_u32 s4, s8
	s_cselect_b64 s[0:1], -1, 0
	s_branch .LBB11_17
.LBB11_15:
	s_mov_b64 s[0:1], 0
                                        ; implicit-def: $sgpr4
	s_cbranch_execz .LBB11_17
; %bb.16:
	s_mov_b64 s[0:1], -1
	s_mov_b32 s4, 0
.LBB11_17:
	s_andn2_b64 vcc, exec, s[0:1]
	s_cbranch_vccnz .LBB11_20
; %bb.18:
	v_add_co_u32_e32 v2, vcc, s4, v2
	v_addc_co_u32_e32 v3, vcc, 0, v3, vcc
	v_lshlrev_b64 v[2:3], 2, v[2:3]
	v_mov_b32_e32 v1, s7
	v_add_co_u32_e32 v2, vcc, s6, v2
	s_sub_i32 s0, s8, s4
	v_addc_co_u32_e32 v3, vcc, v1, v3, vcc
.LBB11_19:                              ; =>This Inner Loop Header: Depth=1
	global_load_dword v1, v[2:3], off
	s_add_i32 s0, s0, -1
	s_cmp_lg_u32 s0, 0
	s_waitcnt vmcnt(0)
	v_mul_f32_e32 v1, v0, v1
	global_store_dword v[2:3], v1, off
	v_add_co_u32_e32 v2, vcc, 4, v2
	v_addc_co_u32_e32 v3, vcc, 0, v3, vcc
	s_cbranch_scc1 .LBB11_19
.LBB11_20:
	s_endpgm
	.section	.rodata,"a",@progbits
	.p2align	6, 0x0
	.amdhsa_kernel _ZN4vllm3moe17topkGatingSoftmaxIfLi2ELi2ELi8ELi8ELb1ELi0ELNS0_23SharedExpertScoringFuncE0EEEvPKT_PKbPfiPiS9_iiiiii
		.amdhsa_group_segment_fixed_size 0
		.amdhsa_private_segment_fixed_size 0
		.amdhsa_kernarg_size 72
		.amdhsa_user_sgpr_count 6
		.amdhsa_user_sgpr_private_segment_buffer 1
		.amdhsa_user_sgpr_dispatch_ptr 0
		.amdhsa_user_sgpr_queue_ptr 0
		.amdhsa_user_sgpr_kernarg_segment_ptr 1
		.amdhsa_user_sgpr_dispatch_id 0
		.amdhsa_user_sgpr_flat_scratch_init 0
		.amdhsa_user_sgpr_kernarg_preload_length 0
		.amdhsa_user_sgpr_kernarg_preload_offset 0
		.amdhsa_user_sgpr_private_segment_size 0
		.amdhsa_uses_dynamic_stack 0
		.amdhsa_system_sgpr_private_segment_wavefront_offset 0
		.amdhsa_system_sgpr_workgroup_id_x 1
		.amdhsa_system_sgpr_workgroup_id_y 0
		.amdhsa_system_sgpr_workgroup_id_z 0
		.amdhsa_system_sgpr_workgroup_info 0
		.amdhsa_system_vgpr_workitem_id 1
		.amdhsa_next_free_vgpr 24
		.amdhsa_next_free_sgpr 25
		.amdhsa_accum_offset 24
		.amdhsa_reserve_vcc 1
		.amdhsa_reserve_flat_scratch 0
		.amdhsa_float_round_mode_32 0
		.amdhsa_float_round_mode_16_64 0
		.amdhsa_float_denorm_mode_32 3
		.amdhsa_float_denorm_mode_16_64 3
		.amdhsa_dx10_clamp 1
		.amdhsa_ieee_mode 1
		.amdhsa_fp16_overflow 0
		.amdhsa_tg_split 0
		.amdhsa_exception_fp_ieee_invalid_op 0
		.amdhsa_exception_fp_denorm_src 0
		.amdhsa_exception_fp_ieee_div_zero 0
		.amdhsa_exception_fp_ieee_overflow 0
		.amdhsa_exception_fp_ieee_underflow 0
		.amdhsa_exception_fp_ieee_inexact 0
		.amdhsa_exception_int_div_zero 0
	.end_amdhsa_kernel
	.section	.text._ZN4vllm3moe17topkGatingSoftmaxIfLi2ELi2ELi8ELi8ELb1ELi0ELNS0_23SharedExpertScoringFuncE0EEEvPKT_PKbPfiPiS9_iiiiii,"axG",@progbits,_ZN4vllm3moe17topkGatingSoftmaxIfLi2ELi2ELi8ELi8ELb1ELi0ELNS0_23SharedExpertScoringFuncE0EEEvPKT_PKbPfiPiS9_iiiiii,comdat
.Lfunc_end11:
	.size	_ZN4vllm3moe17topkGatingSoftmaxIfLi2ELi2ELi8ELi8ELb1ELi0ELNS0_23SharedExpertScoringFuncE0EEEvPKT_PKbPfiPiS9_iiiiii, .Lfunc_end11-_ZN4vllm3moe17topkGatingSoftmaxIfLi2ELi2ELi8ELi8ELb1ELi0ELNS0_23SharedExpertScoringFuncE0EEEvPKT_PKbPfiPiS9_iiiiii
                                        ; -- End function
	.section	.AMDGPU.csdata,"",@progbits
; Kernel info:
; codeLenInByte = 1232
; NumSgprs: 29
; NumVgprs: 24
; NumAgprs: 0
; TotalNumVgprs: 24
; ScratchSize: 0
; MemoryBound: 0
; FloatMode: 240
; IeeeMode: 1
; LDSByteSize: 0 bytes/workgroup (compile time only)
; SGPRBlocks: 3
; VGPRBlocks: 2
; NumSGPRsForWavesPerEU: 29
; NumVGPRsForWavesPerEU: 24
; AccumOffset: 24
; Occupancy: 8
; WaveLimiterHint : 0
; COMPUTE_PGM_RSRC2:SCRATCH_EN: 0
; COMPUTE_PGM_RSRC2:USER_SGPR: 6
; COMPUTE_PGM_RSRC2:TRAP_HANDLER: 0
; COMPUTE_PGM_RSRC2:TGID_X_EN: 1
; COMPUTE_PGM_RSRC2:TGID_Y_EN: 0
; COMPUTE_PGM_RSRC2:TGID_Z_EN: 0
; COMPUTE_PGM_RSRC2:TIDIG_COMP_CNT: 1
; COMPUTE_PGM_RSRC3_GFX90A:ACCUM_OFFSET: 5
; COMPUTE_PGM_RSRC3_GFX90A:TG_SPLIT: 0
	.section	.text._ZN4vllm3moe17topkGatingSoftmaxIfLi2ELi2ELi8ELi8ELb0ELi0ELNS0_23SharedExpertScoringFuncE0EEEvPKT_PKbPfiPiS9_iiiiii,"axG",@progbits,_ZN4vllm3moe17topkGatingSoftmaxIfLi2ELi2ELi8ELi8ELb0ELi0ELNS0_23SharedExpertScoringFuncE0EEEvPKT_PKbPfiPiS9_iiiiii,comdat
	.protected	_ZN4vllm3moe17topkGatingSoftmaxIfLi2ELi2ELi8ELi8ELb0ELi0ELNS0_23SharedExpertScoringFuncE0EEEvPKT_PKbPfiPiS9_iiiiii ; -- Begin function _ZN4vllm3moe17topkGatingSoftmaxIfLi2ELi2ELi8ELi8ELb0ELi0ELNS0_23SharedExpertScoringFuncE0EEEvPKT_PKbPfiPiS9_iiiiii
	.globl	_ZN4vllm3moe17topkGatingSoftmaxIfLi2ELi2ELi8ELi8ELb0ELi0ELNS0_23SharedExpertScoringFuncE0EEEvPKT_PKbPfiPiS9_iiiiii
	.p2align	8
	.type	_ZN4vllm3moe17topkGatingSoftmaxIfLi2ELi2ELi8ELi8ELb0ELi0ELNS0_23SharedExpertScoringFuncE0EEEvPKT_PKbPfiPiS9_iiiiii,@function
_ZN4vllm3moe17topkGatingSoftmaxIfLi2ELi2ELi8ELi8ELb0ELi0ELNS0_23SharedExpertScoringFuncE0EEEvPKT_PKbPfiPiS9_iiiiii: ; @_ZN4vllm3moe17topkGatingSoftmaxIfLi2ELi2ELi8ELi8ELb0ELi0ELNS0_23SharedExpertScoringFuncE0EEEvPKT_PKbPfiPiS9_iiiiii
; %bb.0:
	s_load_dword s18, s[4:5], 0x18
	v_bfe_u32 v1, v0, 10, 10
	s_lshl_b32 s22, s6, 9
	v_lshlrev_b32_e32 v14, 6, v1
	v_and_b32_e32 v15, 0x3ff, v0
	v_add3_u32 v3, v14, v15, s22
	s_waitcnt lgkmcnt(0)
	v_cmp_gt_i32_e32 vcc, s18, v3
	s_and_saveexec_b64 s[0:1], vcc
	s_cbranch_execz .LBB12_20
; %bb.1:
	s_load_dwordx4 s[0:3], s[4:5], 0x0
	s_load_dwordx2 s[12:13], s[4:5], 0x10
	s_waitcnt lgkmcnt(0)
	s_cmp_eq_u64 s[2:3], 0
	s_cbranch_scc1 .LBB12_3
; %bb.2:
	v_ashrrev_i32_e32 v1, 31, v3
	v_mov_b32_e32 v2, s3
	v_add_co_u32_e32 v0, vcc, s2, v3
	v_addc_co_u32_e32 v1, vcc, v2, v1, vcc
	global_load_ubyte v0, v[0:1], off
	s_waitcnt vmcnt(0)
	v_and_b32_e32 v0, 1, v0
	v_cmp_eq_u32_e32 vcc, 1, v0
	s_xor_b64 s[2:3], vcc, -1
	s_orn2_b64 s[16:17], s[2:3], exec
	s_branch .LBB12_4
.LBB12_3:
	s_mov_b64 s[16:17], -1
.LBB12_4:
	s_load_dwordx2 s[2:3], s[4:5], 0x40
	s_load_dwordx4 s[8:11], s[4:5], 0x30
	v_mov_b32_e32 v2, s1
	s_waitcnt lgkmcnt(0)
	v_mul_lo_u32 v0, v3, s3
	v_ashrrev_i32_e32 v1, 31, v0
	v_lshlrev_b64 v[0:1], 2, v[0:1]
	v_add_co_u32_e32 v0, vcc, s0, v0
	v_addc_co_u32_e32 v1, vcc, v2, v1, vcc
	global_load_dwordx2 v[0:1], v[0:1], off
	s_cmp_gt_i32 s8, 0
	s_cselect_b64 s[14:15], -1, 0
	s_cmp_lt_i32 s8, 1
	s_waitcnt vmcnt(0)
	v_cmp_lt_f32_e32 vcc, v0, v1
	v_cndmask_b32_e32 v2, v0, v1, vcc
	s_cbranch_scc1 .LBB12_8
; %bb.5:
	v_sub_f32_e32 v5, v2, v2
	v_mul_f32_e32 v7, 0x3fb8aa3b, v5
	s_mov_b32 s19, 0x3fb8aa3b
	v_rndne_f32_e32 v8, v7
	v_sub_f32_e32 v9, v7, v8
	v_fma_f32 v7, v5, s19, -v7
	v_fmac_f32_e32 v7, 0x32a5705f, v5
	v_add_f32_e32 v7, v9, v7
	v_exp_f32_e32 v7, v7
	v_cvt_i32_f32_e32 v8, v8
	v_cndmask_b32_e64 v18, 0, 1, vcc
	v_mul_lo_u32 v6, v3, s2
	v_cmp_le_i32_e64 s[0:1], s9, v18
	v_cmp_gt_i32_e64 s[2:3], s10, v18
	s_mov_b32 s20, 0xc2ce8ed0
	v_mul_lo_u32 v4, v3, s11
	s_and_b64 s[24:25], s[0:1], s[2:3]
	v_ldexp_f32 v7, v7, v8
	v_cmp_ngt_f32_e64 s[0:1], s20, v5
	s_mov_b32 s21, 0x42b17218
	s_load_dwordx4 s[4:7], s[4:5], 0x20
	v_cndmask_b32_e64 v7, 0, v7, s[0:1]
	v_cmp_nlt_f32_e64 s[0:1], s21, v5
	v_ashrrev_i32_e32 v5, 31, v4
	v_mov_b32_e32 v13, 0x7f800000
	v_lshlrev_b64 v[8:9], 2, v[4:5]
	v_cndmask_b32_e64 v12, v13, v7, s[0:1]
	v_mov_b32_e32 v4, s13
	v_add_co_u32_e64 v10, s[0:1], s12, v8
	v_addc_co_u32_e64 v11, s[2:3], v4, v9, s[0:1]
	v_ashrrev_i32_e32 v7, 31, v6
	v_subrev_u32_e32 v4, s9, v18
	s_and_b64 s[2:3], s[16:17], s[24:25]
	v_lshlrev_b64 v[6:7], 2, v[6:7]
	v_mul_lo_u32 v16, v3, s8
	v_cndmask_b32_e64 v8, 2, v4, s[2:3]
	s_waitcnt lgkmcnt(0)
	v_mov_b32_e32 v5, s5
	v_add_co_u32_e64 v4, s[2:3], s4, v6
	v_addc_co_u32_e64 v5, s[2:3], v5, v7, s[2:3]
	v_ashrrev_i32_e32 v17, 31, v16
	global_store_dword v[10:11], v12, off
	global_store_dword v[4:5], v8, off
	v_lshlrev_b64 v[4:5], 2, v[16:17]
	v_mov_b32_e32 v11, 0xff800000
	v_mov_b32_e32 v8, s7
	v_add_co_u32_e64 v16, s[2:3], s6, v4
	v_cndmask_b32_e32 v0, v11, v0, vcc
	v_cmp_ne_u32_e32 vcc, 1, v18
	v_addc_co_u32_e64 v17, s[2:3], v8, v5, s[2:3]
	s_cmp_eq_u32 s8, 1
	v_cndmask_b32_e32 v1, v11, v1, vcc
	global_store_dword v[16:17], v3, off
	s_cbranch_scc1 .LBB12_9
; %bb.6:
	v_mov_b32_e32 v8, s7
	v_add_co_u32_e32 v4, vcc, s6, v4
	v_addc_co_u32_e32 v5, vcc, v5, v8, vcc
	v_add_co_u32_e32 v4, vcc, 4, v4
	v_addc_co_u32_e32 v5, vcc, 0, v5, vcc
	v_mov_b32_e32 v8, s5
	v_add_co_u32_e32 v6, vcc, s4, v6
	v_addc_co_u32_e32 v7, vcc, v7, v8, vcc
	v_add_co_u32_e32 v6, vcc, 4, v6
	v_mov_b32_e32 v8, s13
	v_addc_co_u32_e32 v7, vcc, 0, v7, vcc
	v_addc_co_u32_e64 v9, vcc, v9, v8, s[0:1]
	v_add_co_u32_e32 v8, vcc, 4, v10
	s_add_i32 s22, s22, s18
	v_addc_co_u32_e32 v9, vcc, 0, v9, vcc
	s_add_i32 s2, s8, -1
	v_add3_u32 v10, s22, v15, v14
.LBB12_7:                               ; =>This Inner Loop Header: Depth=1
	v_cmp_gt_f32_e32 vcc, v1, v0
	v_cndmask_b32_e32 v14, v0, v1, vcc
	v_cndmask_b32_e64 v15, 0, 1, vcc
	v_sub_f32_e32 v14, v14, v2
	v_cndmask_b32_e32 v1, v1, v11, vcc
	v_cndmask_b32_e32 v0, v11, v0, vcc
	v_cmp_le_i32_e32 vcc, s9, v15
	v_cmp_gt_i32_e64 s[0:1], s10, v15
	v_mul_f32_e32 v16, 0x3fb8aa3b, v14
	s_and_b64 s[0:1], vcc, s[0:1]
	v_fma_f32 v17, v14, s19, -v16
	v_rndne_f32_e32 v18, v16
	v_subrev_u32_e32 v15, s9, v15
	v_fmac_f32_e32 v17, 0x32a5705f, v14
	v_sub_f32_e32 v16, v16, v18
	s_and_b64 vcc, s[16:17], s[0:1]
	v_cndmask_b32_e32 v15, 2, v15, vcc
	v_add_f32_e32 v16, v16, v17
	v_cvt_i32_f32_e32 v18, v18
	global_store_dword v[6:7], v15, off
	global_store_dword v[4:5], v10, off
	v_add_co_u32_e32 v4, vcc, 4, v4
	v_exp_f32_e32 v15, v16
	v_addc_co_u32_e32 v5, vcc, 0, v5, vcc
	v_add_co_u32_e32 v6, vcc, 4, v6
	v_addc_co_u32_e32 v7, vcc, 0, v7, vcc
	v_ldexp_f32 v15, v15, v18
	v_cmp_ngt_f32_e32 vcc, s20, v14
	v_cndmask_b32_e32 v15, 0, v15, vcc
	v_cmp_nlt_f32_e32 vcc, s21, v14
	v_cndmask_b32_e32 v14, v13, v15, vcc
	s_add_i32 s2, s2, -1
	global_store_dword v[8:9], v14, off
	v_add_co_u32_e32 v8, vcc, 4, v8
	v_add_u32_e32 v10, s18, v10
	s_cmp_eq_u32 s2, 0
	v_add_f32_e32 v12, v12, v14
	v_addc_co_u32_e32 v9, vcc, 0, v9, vcc
	s_cbranch_scc0 .LBB12_7
	s_branch .LBB12_9
.LBB12_8:
	v_mov_b32_e32 v12, 0
.LBB12_9:
	v_pk_add_f32 v[0:1], v[0:1], v[2:3] op_sel_hi:[1,0] neg_lo:[0,1] neg_hi:[0,1]
	s_mov_b32 s0, 0x3fb8aa3b
	v_mul_f32_e32 v2, 0x3fb8aa3b, v1
	v_fma_f32 v4, v1, s0, -v2
	v_rndne_f32_e32 v5, v2
	v_fmac_f32_e32 v4, 0x32a5705f, v1
	v_sub_f32_e32 v2, v2, v5
	v_add_f32_e32 v2, v2, v4
	v_exp_f32_e32 v2, v2
	v_cvt_i32_f32_e32 v4, v5
	s_mov_b32 s1, 0xc2ce8ed0
	v_cmp_ngt_f32_e32 vcc, s1, v1
	s_mov_b32 s2, 0x42b17218
	v_ldexp_f32 v2, v2, v4
	v_mul_f32_e32 v4, 0x3fb8aa3b, v0
	v_fma_f32 v5, v0, s0, -v4
	v_rndne_f32_e32 v6, v4
	v_fmac_f32_e32 v5, 0x32a5705f, v0
	v_sub_f32_e32 v4, v4, v6
	v_add_f32_e32 v4, v4, v5
	v_exp_f32_e32 v4, v4
	v_cvt_i32_f32_e32 v5, v6
	v_cndmask_b32_e32 v2, 0, v2, vcc
	v_mov_b32_e32 v6, 0x7f800000
	v_cmp_nlt_f32_e32 vcc, s2, v1
	v_cndmask_b32_e32 v1, v6, v2, vcc
	v_ldexp_f32 v2, v4, v5
	v_cmp_ngt_f32_e32 vcc, s1, v0
	v_cndmask_b32_e32 v2, 0, v2, vcc
	v_cmp_nlt_f32_e32 vcc, s2, v0
	v_cndmask_b32_e32 v0, v6, v2, vcc
	v_add_f32_e32 v0, v0, v1
	v_add_f32_e32 v0, v12, v0
	v_cmp_neq_f32_e32 vcc, 0, v0
	s_and_b64 exec, exec, vcc
	s_cbranch_execz .LBB12_20
; %bb.10:
	s_andn2_b64 vcc, exec, s[14:15]
	s_cbranch_vccnz .LBB12_20
; %bb.11:
	v_div_scale_f32 v1, s[0:1], v0, v0, 1.0
	v_rcp_f32_e32 v2, v1
	v_div_scale_f32 v4, vcc, 1.0, v0, 1.0
	s_cmp_gt_u32 s8, 3
	v_fma_f32 v5, -v1, v2, 1.0
	v_fmac_f32_e32 v2, v5, v2
	v_mul_f32_e32 v5, v4, v2
	v_fma_f32 v6, -v1, v5, v4
	v_fmac_f32_e32 v5, v6, v2
	v_fma_f32 v1, -v1, v5, v4
	v_div_fmas_f32 v1, v1, v2, v5
	v_mul_lo_u32 v2, v3, s11
	v_div_fixup_f32 v0, v1, v0, 1.0
	v_ashrrev_i32_e32 v3, 31, v2
	s_cbranch_scc0 .LBB12_15
; %bb.12:
	v_lshlrev_b64 v[4:5], 2, v[2:3]
	v_mov_b32_e32 v6, s13
	v_add_co_u32_e32 v4, vcc, s12, v4
	v_addc_co_u32_e32 v5, vcc, v5, v6, vcc
	s_and_b32 s4, s8, 0x7ffffffc
	v_add_co_u32_e32 v4, vcc, 8, v4
	v_mov_b32_e32 v1, v0
	v_addc_co_u32_e32 v5, vcc, 0, v5, vcc
	s_mov_b32 s0, s4
.LBB12_13:                              ; =>This Inner Loop Header: Depth=1
	global_load_dwordx4 v[6:9], v[4:5], off offset:-8
	s_add_i32 s0, s0, -4
	s_cmp_lg_u32 s0, 0
	s_waitcnt vmcnt(0)
	v_pk_mul_f32 v[6:7], v[0:1], v[6:7]
	v_pk_mul_f32 v[8:9], v[0:1], v[8:9]
	global_store_dwordx4 v[4:5], v[6:9], off offset:-8
	v_add_co_u32_e32 v4, vcc, 16, v4
	v_addc_co_u32_e32 v5, vcc, 0, v5, vcc
	s_cbranch_scc1 .LBB12_13
; %bb.14:
	s_cmp_lg_u32 s4, s8
	s_cselect_b64 s[0:1], -1, 0
	s_branch .LBB12_17
.LBB12_15:
	s_mov_b64 s[0:1], 0
                                        ; implicit-def: $sgpr4
	s_cbranch_execz .LBB12_17
; %bb.16:
	s_mov_b64 s[0:1], -1
	s_mov_b32 s4, 0
.LBB12_17:
	s_andn2_b64 vcc, exec, s[0:1]
	s_cbranch_vccnz .LBB12_20
; %bb.18:
	v_add_co_u32_e32 v2, vcc, s4, v2
	v_addc_co_u32_e32 v3, vcc, 0, v3, vcc
	v_lshlrev_b64 v[2:3], 2, v[2:3]
	v_mov_b32_e32 v1, s13
	v_add_co_u32_e32 v2, vcc, s12, v2
	s_sub_i32 s0, s8, s4
	v_addc_co_u32_e32 v3, vcc, v1, v3, vcc
.LBB12_19:                              ; =>This Inner Loop Header: Depth=1
	global_load_dword v1, v[2:3], off
	s_add_i32 s0, s0, -1
	s_cmp_lg_u32 s0, 0
	s_waitcnt vmcnt(0)
	v_mul_f32_e32 v1, v0, v1
	global_store_dword v[2:3], v1, off
	v_add_co_u32_e32 v2, vcc, 4, v2
	v_addc_co_u32_e32 v3, vcc, 0, v3, vcc
	s_cbranch_scc1 .LBB12_19
.LBB12_20:
	s_endpgm
	.section	.rodata,"a",@progbits
	.p2align	6, 0x0
	.amdhsa_kernel _ZN4vllm3moe17topkGatingSoftmaxIfLi2ELi2ELi8ELi8ELb0ELi0ELNS0_23SharedExpertScoringFuncE0EEEvPKT_PKbPfiPiS9_iiiiii
		.amdhsa_group_segment_fixed_size 0
		.amdhsa_private_segment_fixed_size 0
		.amdhsa_kernarg_size 72
		.amdhsa_user_sgpr_count 6
		.amdhsa_user_sgpr_private_segment_buffer 1
		.amdhsa_user_sgpr_dispatch_ptr 0
		.amdhsa_user_sgpr_queue_ptr 0
		.amdhsa_user_sgpr_kernarg_segment_ptr 1
		.amdhsa_user_sgpr_dispatch_id 0
		.amdhsa_user_sgpr_flat_scratch_init 0
		.amdhsa_user_sgpr_kernarg_preload_length 0
		.amdhsa_user_sgpr_kernarg_preload_offset 0
		.amdhsa_user_sgpr_private_segment_size 0
		.amdhsa_uses_dynamic_stack 0
		.amdhsa_system_sgpr_private_segment_wavefront_offset 0
		.amdhsa_system_sgpr_workgroup_id_x 1
		.amdhsa_system_sgpr_workgroup_id_y 0
		.amdhsa_system_sgpr_workgroup_id_z 0
		.amdhsa_system_sgpr_workgroup_info 0
		.amdhsa_system_vgpr_workitem_id 1
		.amdhsa_next_free_vgpr 19
		.amdhsa_next_free_sgpr 26
		.amdhsa_accum_offset 20
		.amdhsa_reserve_vcc 1
		.amdhsa_reserve_flat_scratch 0
		.amdhsa_float_round_mode_32 0
		.amdhsa_float_round_mode_16_64 0
		.amdhsa_float_denorm_mode_32 3
		.amdhsa_float_denorm_mode_16_64 3
		.amdhsa_dx10_clamp 1
		.amdhsa_ieee_mode 1
		.amdhsa_fp16_overflow 0
		.amdhsa_tg_split 0
		.amdhsa_exception_fp_ieee_invalid_op 0
		.amdhsa_exception_fp_denorm_src 0
		.amdhsa_exception_fp_ieee_div_zero 0
		.amdhsa_exception_fp_ieee_overflow 0
		.amdhsa_exception_fp_ieee_underflow 0
		.amdhsa_exception_fp_ieee_inexact 0
		.amdhsa_exception_int_div_zero 0
	.end_amdhsa_kernel
	.section	.text._ZN4vllm3moe17topkGatingSoftmaxIfLi2ELi2ELi8ELi8ELb0ELi0ELNS0_23SharedExpertScoringFuncE0EEEvPKT_PKbPfiPiS9_iiiiii,"axG",@progbits,_ZN4vllm3moe17topkGatingSoftmaxIfLi2ELi2ELi8ELi8ELb0ELi0ELNS0_23SharedExpertScoringFuncE0EEEvPKT_PKbPfiPiS9_iiiiii,comdat
.Lfunc_end12:
	.size	_ZN4vllm3moe17topkGatingSoftmaxIfLi2ELi2ELi8ELi8ELb0ELi0ELNS0_23SharedExpertScoringFuncE0EEEvPKT_PKbPfiPiS9_iiiiii, .Lfunc_end12-_ZN4vllm3moe17topkGatingSoftmaxIfLi2ELi2ELi8ELi8ELb0ELi0ELNS0_23SharedExpertScoringFuncE0EEEvPKT_PKbPfiPiS9_iiiiii
                                        ; -- End function
	.section	.AMDGPU.csdata,"",@progbits
; Kernel info:
; codeLenInByte = 1360
; NumSgprs: 30
; NumVgprs: 19
; NumAgprs: 0
; TotalNumVgprs: 19
; ScratchSize: 0
; MemoryBound: 0
; FloatMode: 240
; IeeeMode: 1
; LDSByteSize: 0 bytes/workgroup (compile time only)
; SGPRBlocks: 3
; VGPRBlocks: 2
; NumSGPRsForWavesPerEU: 30
; NumVGPRsForWavesPerEU: 19
; AccumOffset: 20
; Occupancy: 8
; WaveLimiterHint : 0
; COMPUTE_PGM_RSRC2:SCRATCH_EN: 0
; COMPUTE_PGM_RSRC2:USER_SGPR: 6
; COMPUTE_PGM_RSRC2:TRAP_HANDLER: 0
; COMPUTE_PGM_RSRC2:TGID_X_EN: 1
; COMPUTE_PGM_RSRC2:TGID_Y_EN: 0
; COMPUTE_PGM_RSRC2:TGID_Z_EN: 0
; COMPUTE_PGM_RSRC2:TIDIG_COMP_CNT: 1
; COMPUTE_PGM_RSRC3_GFX90A:ACCUM_OFFSET: 4
; COMPUTE_PGM_RSRC3_GFX90A:TG_SPLIT: 0
	.section	.text._ZN4vllm3moe17topkGatingSoftmaxIfLi2ELi2ELi8ELi8ELb1ELi1ELNS0_23SharedExpertScoringFuncE1EEEvPKT_PKbPfiPiS9_iiiiii,"axG",@progbits,_ZN4vllm3moe17topkGatingSoftmaxIfLi2ELi2ELi8ELi8ELb1ELi1ELNS0_23SharedExpertScoringFuncE1EEEvPKT_PKbPfiPiS9_iiiiii,comdat
	.protected	_ZN4vllm3moe17topkGatingSoftmaxIfLi2ELi2ELi8ELi8ELb1ELi1ELNS0_23SharedExpertScoringFuncE1EEEvPKT_PKbPfiPiS9_iiiiii ; -- Begin function _ZN4vllm3moe17topkGatingSoftmaxIfLi2ELi2ELi8ELi8ELb1ELi1ELNS0_23SharedExpertScoringFuncE1EEEvPKT_PKbPfiPiS9_iiiiii
	.globl	_ZN4vllm3moe17topkGatingSoftmaxIfLi2ELi2ELi8ELi8ELb1ELi1ELNS0_23SharedExpertScoringFuncE1EEEvPKT_PKbPfiPiS9_iiiiii
	.p2align	8
	.type	_ZN4vllm3moe17topkGatingSoftmaxIfLi2ELi2ELi8ELi8ELb1ELi1ELNS0_23SharedExpertScoringFuncE1EEEvPKT_PKbPfiPiS9_iiiiii,@function
_ZN4vllm3moe17topkGatingSoftmaxIfLi2ELi2ELi8ELi8ELb1ELi1ELNS0_23SharedExpertScoringFuncE1EEEvPKT_PKbPfiPiS9_iiiiii: ; @_ZN4vllm3moe17topkGatingSoftmaxIfLi2ELi2ELi8ELi8ELb1ELi1ELNS0_23SharedExpertScoringFuncE1EEEvPKT_PKbPfiPiS9_iiiiii
; %bb.0:
	s_load_dword s18, s[4:5], 0x18
	v_bfe_u32 v1, v0, 10, 10
	s_lshl_b32 s19, s6, 9
	v_lshlrev_b32_e32 v13, 6, v1
	v_and_b32_e32 v14, 0x3ff, v0
	v_add3_u32 v15, v13, v14, s19
	s_waitcnt lgkmcnt(0)
	v_cmp_gt_i32_e32 vcc, s18, v15
	s_and_saveexec_b64 s[0:1], vcc
	s_cbranch_execz .LBB13_19
; %bb.1:
	s_load_dwordx4 s[0:3], s[4:5], 0x0
	s_load_dwordx2 s[12:13], s[4:5], 0x10
	s_waitcnt lgkmcnt(0)
	s_cmp_eq_u64 s[2:3], 0
	s_cbranch_scc1 .LBB13_3
; %bb.2:
	v_ashrrev_i32_e32 v1, 31, v15
	v_mov_b32_e32 v2, s3
	v_add_co_u32_e32 v0, vcc, s2, v15
	v_addc_co_u32_e32 v1, vcc, v2, v1, vcc
	global_load_ubyte v0, v[0:1], off
	s_waitcnt vmcnt(0)
	v_and_b32_e32 v0, 1, v0
	v_cmp_eq_u32_e32 vcc, 1, v0
	s_xor_b64 s[2:3], vcc, -1
	s_orn2_b64 s[14:15], s[2:3], exec
	s_branch .LBB13_4
.LBB13_3:
	s_mov_b64 s[14:15], -1
.LBB13_4:
	s_load_dwordx2 s[2:3], s[4:5], 0x40
	s_load_dwordx4 s[8:11], s[4:5], 0x30
	v_mov_b32_e32 v2, s1
	s_mov_b32 s1, 0x42ce8ed0
	v_mov_b32_e32 v3, 0x7f800000
	s_waitcnt lgkmcnt(0)
	v_mul_lo_u32 v0, v15, s3
	v_ashrrev_i32_e32 v1, 31, v0
	v_lshlrev_b64 v[0:1], 2, v[0:1]
	v_add_co_u32_e32 v0, vcc, s0, v0
	v_addc_co_u32_e32 v1, vcc, v2, v1, vcc
	global_load_dwordx3 v[0:2], v[0:1], off
	s_mov_b32 s0, 0xbfb8aa3b
	s_mov_b32 s3, 0xc2b17218
	v_mul_lo_u32 v4, v15, s11
	v_add_u32_e32 v6, s8, v4
	v_mov_b32_e32 v5, s13
	s_cmp_gt_i32 s8, 0
	v_mov_b32_e32 v12, 0
	s_cselect_b64 s[16:17], -1, 0
	s_cmp_lt_i32 s8, 1
	s_waitcnt vmcnt(0)
	v_mul_f32_e32 v7, 0xbfb8aa3b, v2
	v_fma_f32 v8, v2, s0, -v7
	v_rndne_f32_e32 v9, v7
	v_fmac_f32_e32 v8, 0xb2a5705f, v2
	v_sub_f32_e32 v7, v7, v9
	v_add_f32_e32 v7, v7, v8
	v_cvt_i32_f32_e32 v9, v9
	v_exp_f32_e32 v8, v7
	v_cmp_nlt_f32_e32 vcc, s1, v2
	v_ashrrev_i32_e32 v7, 31, v6
	v_lshlrev_b64 v[6:7], 2, v[6:7]
	v_ldexp_f32 v8, v8, v9
	v_cndmask_b32_e32 v8, 0, v8, vcc
	v_cmp_ngt_f32_e32 vcc, s3, v2
	v_cndmask_b32_e32 v2, v3, v8, vcc
	v_add_f32_e32 v2, 1.0, v2
	v_div_scale_f32 v8, s[0:1], v2, v2, 1.0
	v_rcp_f32_e32 v9, v8
	v_add_co_u32_e32 v6, vcc, s12, v6
	v_addc_co_u32_e32 v7, vcc, v5, v7, vcc
	v_fma_f32 v10, -v8, v9, 1.0
	v_div_scale_f32 v5, vcc, 1.0, v2, 1.0
	v_fmac_f32_e32 v9, v10, v9
	v_mul_f32_e32 v10, v5, v9
	v_fma_f32 v11, -v8, v10, v5
	v_fmac_f32_e32 v10, v11, v9
	v_fma_f32 v5, -v8, v10, v5
	v_div_fmas_f32 v5, v5, v9, v10
	v_div_fixup_f32 v2, v5, v2, 1.0
	global_store_dword v[6:7], v2, off
	s_cbranch_scc1 .LBB13_8
; %bb.5:
	v_cmp_lt_f32_e32 vcc, v0, v1
	v_cndmask_b32_e32 v16, v0, v1, vcc
	v_sub_f32_e32 v5, v16, v16
	s_mov_b32 s11, 0x3fb8aa3b
	v_mul_f32_e32 v6, 0x3fb8aa3b, v5
	v_fma_f32 v7, v5, s11, -v6
	v_rndne_f32_e32 v8, v6
	v_fmac_f32_e32 v7, 0x32a5705f, v5
	v_sub_f32_e32 v6, v6, v8
	v_add_f32_e32 v6, v6, v7
	v_exp_f32_e32 v6, v6
	v_cvt_i32_f32_e32 v7, v8
	v_cndmask_b32_e64 v17, 0, 1, vcc
	v_mul_lo_u32 v2, v15, s2
	v_cmp_le_i32_e64 s[0:1], s9, v17
	v_cmp_gt_i32_e64 s[2:3], s10, v17
	s_mov_b32 s20, 0xc2ce8ed0
	s_and_b64 s[22:23], s[0:1], s[2:3]
	v_ldexp_f32 v6, v6, v7
	v_cmp_ngt_f32_e64 s[0:1], s20, v5
	s_mov_b32 s21, 0x42b17218
	v_cndmask_b32_e64 v6, 0, v6, s[0:1]
	v_cmp_nlt_f32_e64 s[0:1], s21, v5
	v_ashrrev_i32_e32 v5, 31, v4
	v_lshlrev_b64 v[8:9], 2, v[4:5]
	s_load_dwordx4 s[4:7], s[4:5], 0x20
	v_cndmask_b32_e64 v12, v3, v6, s[0:1]
	v_mov_b32_e32 v3, s13
	v_add_co_u32_e64 v10, s[0:1], s12, v8
	v_addc_co_u32_e64 v11, s[2:3], v3, v9, s[0:1]
	v_subrev_u32_e32 v3, s9, v17
	s_and_b64 s[2:3], s[14:15], s[22:23]
	v_cndmask_b32_e64 v5, 2, v3, s[2:3]
	v_ashrrev_i32_e32 v3, 31, v2
	v_lshlrev_b64 v[6:7], 2, v[2:3]
	v_mul_lo_u32 v18, v15, s8
	s_waitcnt lgkmcnt(0)
	v_mov_b32_e32 v3, s5
	v_add_co_u32_e64 v2, s[2:3], s4, v6
	v_addc_co_u32_e64 v3, s[2:3], v3, v7, s[2:3]
	v_ashrrev_i32_e32 v19, 31, v18
	global_store_dword v[2:3], v5, off
	v_lshlrev_b64 v[2:3], 2, v[18:19]
	v_mov_b32_e32 v5, s7
	v_add_co_u32_e64 v18, s[2:3], s6, v2
	v_addc_co_u32_e64 v19, s[2:3], v5, v3, s[2:3]
	s_cmp_eq_u32 s8, 1
	global_store_dword v[10:11], v12, off
	global_store_dword v[18:19], v15, off
	s_cbranch_scc1 .LBB13_8
; %bb.6:
	v_mov_b32_e32 v5, 0xff800000
	v_cndmask_b32_e32 v0, v5, v0, vcc
	v_cmp_ne_u32_e32 vcc, 1, v17
	v_cndmask_b32_e32 v1, v5, v1, vcc
	v_mov_b32_e32 v8, s7
	v_add_co_u32_e32 v2, vcc, s6, v2
	v_addc_co_u32_e32 v3, vcc, v3, v8, vcc
	v_add_co_u32_e32 v2, vcc, 4, v2
	v_addc_co_u32_e32 v3, vcc, 0, v3, vcc
	v_mov_b32_e32 v8, s5
	v_add_co_u32_e32 v6, vcc, s4, v6
	v_addc_co_u32_e32 v7, vcc, v7, v8, vcc
	v_add_co_u32_e32 v6, vcc, 4, v6
	v_mov_b32_e32 v8, s13
	v_addc_co_u32_e32 v7, vcc, 0, v7, vcc
	v_addc_co_u32_e64 v9, vcc, v9, v8, s[0:1]
	v_add_co_u32_e32 v8, vcc, 4, v10
	s_add_i32 s19, s19, s18
	v_addc_co_u32_e32 v9, vcc, 0, v9, vcc
	s_add_i32 s2, s8, -1
	v_add3_u32 v10, s19, v14, v13
	v_mov_b32_e32 v11, 0x7f800000
.LBB13_7:                               ; =>This Inner Loop Header: Depth=1
	v_cmp_gt_f32_e32 vcc, v1, v0
	v_cndmask_b32_e32 v13, v0, v1, vcc
	v_cndmask_b32_e64 v14, 0, 1, vcc
	v_sub_f32_e32 v13, v13, v16
	v_cndmask_b32_e32 v1, v1, v5, vcc
	v_cndmask_b32_e32 v0, v5, v0, vcc
	v_cmp_le_i32_e32 vcc, s9, v14
	v_cmp_gt_i32_e64 s[0:1], s10, v14
	v_mul_f32_e32 v15, 0x3fb8aa3b, v13
	s_and_b64 s[0:1], vcc, s[0:1]
	v_fma_f32 v17, v13, s11, -v15
	v_rndne_f32_e32 v18, v15
	v_subrev_u32_e32 v14, s9, v14
	v_fmac_f32_e32 v17, 0x32a5705f, v13
	v_sub_f32_e32 v15, v15, v18
	s_and_b64 vcc, s[14:15], s[0:1]
	v_cndmask_b32_e32 v14, 2, v14, vcc
	v_add_f32_e32 v15, v15, v17
	v_cvt_i32_f32_e32 v18, v18
	global_store_dword v[6:7], v14, off
	global_store_dword v[2:3], v10, off
	v_add_co_u32_e32 v2, vcc, 4, v2
	v_exp_f32_e32 v14, v15
	v_addc_co_u32_e32 v3, vcc, 0, v3, vcc
	v_add_co_u32_e32 v6, vcc, 4, v6
	v_addc_co_u32_e32 v7, vcc, 0, v7, vcc
	v_ldexp_f32 v14, v14, v18
	v_cmp_ngt_f32_e32 vcc, s20, v13
	v_cndmask_b32_e32 v14, 0, v14, vcc
	v_cmp_nlt_f32_e32 vcc, s21, v13
	v_cndmask_b32_e32 v13, v11, v14, vcc
	s_add_i32 s2, s2, -1
	global_store_dword v[8:9], v13, off
	v_add_co_u32_e32 v8, vcc, 4, v8
	v_add_u32_e32 v10, s18, v10
	s_cmp_eq_u32 s2, 0
	v_add_f32_e32 v12, v12, v13
	v_addc_co_u32_e32 v9, vcc, 0, v9, vcc
	s_cbranch_scc0 .LBB13_7
.LBB13_8:
	v_cmp_neq_f32_e32 vcc, 0, v12
	s_and_b64 exec, exec, vcc
	s_cbranch_execz .LBB13_19
; %bb.9:
	s_andn2_b64 vcc, exec, s[16:17]
	s_cbranch_vccnz .LBB13_19
; %bb.10:
	v_div_scale_f32 v0, s[0:1], v12, v12, 1.0
	v_rcp_f32_e32 v1, v0
	v_div_scale_f32 v2, vcc, 1.0, v12, 1.0
	s_cmp_gt_u32 s8, 3
	v_fma_f32 v3, -v0, v1, 1.0
	v_fmac_f32_e32 v1, v3, v1
	v_mul_f32_e32 v3, v2, v1
	v_fma_f32 v5, -v0, v3, v2
	v_fmac_f32_e32 v3, v5, v1
	v_fma_f32 v0, -v0, v3, v2
	v_div_fmas_f32 v0, v0, v1, v3
	v_div_fixup_f32 v0, v0, v12, 1.0
	v_ashrrev_i32_e32 v5, 31, v4
	s_cbranch_scc0 .LBB13_14
; %bb.11:
	v_lshlrev_b64 v[2:3], 2, v[4:5]
	v_mov_b32_e32 v6, s13
	v_add_co_u32_e32 v2, vcc, s12, v2
	v_addc_co_u32_e32 v3, vcc, v3, v6, vcc
	s_and_b32 s4, s8, 0x7ffffffc
	v_add_co_u32_e32 v2, vcc, 8, v2
	v_mov_b32_e32 v1, v0
	v_addc_co_u32_e32 v3, vcc, 0, v3, vcc
	s_mov_b32 s0, s4
.LBB13_12:                              ; =>This Inner Loop Header: Depth=1
	global_load_dwordx4 v[6:9], v[2:3], off offset:-8
	s_add_i32 s0, s0, -4
	s_cmp_lg_u32 s0, 0
	s_waitcnt vmcnt(0)
	v_pk_mul_f32 v[6:7], v[0:1], v[6:7]
	v_pk_mul_f32 v[8:9], v[0:1], v[8:9]
	global_store_dwordx4 v[2:3], v[6:9], off offset:-8
	v_add_co_u32_e32 v2, vcc, 16, v2
	v_addc_co_u32_e32 v3, vcc, 0, v3, vcc
	s_cbranch_scc1 .LBB13_12
; %bb.13:
	s_cmp_lg_u32 s4, s8
	s_cselect_b64 s[0:1], -1, 0
	s_branch .LBB13_16
.LBB13_14:
	s_mov_b64 s[0:1], 0
                                        ; implicit-def: $sgpr4
	s_cbranch_execz .LBB13_16
; %bb.15:
	s_mov_b64 s[0:1], -1
	s_mov_b32 s4, 0
.LBB13_16:
	s_andn2_b64 vcc, exec, s[0:1]
	s_cbranch_vccnz .LBB13_19
; %bb.17:
	v_add_co_u32_e32 v2, vcc, s4, v4
	v_addc_co_u32_e32 v3, vcc, 0, v5, vcc
	v_lshlrev_b64 v[2:3], 2, v[2:3]
	v_mov_b32_e32 v1, s13
	v_add_co_u32_e32 v2, vcc, s12, v2
	s_sub_i32 s0, s8, s4
	v_addc_co_u32_e32 v3, vcc, v1, v3, vcc
.LBB13_18:                              ; =>This Inner Loop Header: Depth=1
	global_load_dword v1, v[2:3], off
	s_add_i32 s0, s0, -1
	s_cmp_lg_u32 s0, 0
	s_waitcnt vmcnt(0)
	v_mul_f32_e32 v1, v0, v1
	global_store_dword v[2:3], v1, off
	v_add_co_u32_e32 v2, vcc, 4, v2
	v_addc_co_u32_e32 v3, vcc, 0, v3, vcc
	s_cbranch_scc1 .LBB13_18
.LBB13_19:
	s_endpgm
	.section	.rodata,"a",@progbits
	.p2align	6, 0x0
	.amdhsa_kernel _ZN4vllm3moe17topkGatingSoftmaxIfLi2ELi2ELi8ELi8ELb1ELi1ELNS0_23SharedExpertScoringFuncE1EEEvPKT_PKbPfiPiS9_iiiiii
		.amdhsa_group_segment_fixed_size 0
		.amdhsa_private_segment_fixed_size 0
		.amdhsa_kernarg_size 72
		.amdhsa_user_sgpr_count 6
		.amdhsa_user_sgpr_private_segment_buffer 1
		.amdhsa_user_sgpr_dispatch_ptr 0
		.amdhsa_user_sgpr_queue_ptr 0
		.amdhsa_user_sgpr_kernarg_segment_ptr 1
		.amdhsa_user_sgpr_dispatch_id 0
		.amdhsa_user_sgpr_flat_scratch_init 0
		.amdhsa_user_sgpr_kernarg_preload_length 0
		.amdhsa_user_sgpr_kernarg_preload_offset 0
		.amdhsa_user_sgpr_private_segment_size 0
		.amdhsa_uses_dynamic_stack 0
		.amdhsa_system_sgpr_private_segment_wavefront_offset 0
		.amdhsa_system_sgpr_workgroup_id_x 1
		.amdhsa_system_sgpr_workgroup_id_y 0
		.amdhsa_system_sgpr_workgroup_id_z 0
		.amdhsa_system_sgpr_workgroup_info 0
		.amdhsa_system_vgpr_workitem_id 1
		.amdhsa_next_free_vgpr 20
		.amdhsa_next_free_sgpr 24
		.amdhsa_accum_offset 20
		.amdhsa_reserve_vcc 1
		.amdhsa_reserve_flat_scratch 0
		.amdhsa_float_round_mode_32 0
		.amdhsa_float_round_mode_16_64 0
		.amdhsa_float_denorm_mode_32 3
		.amdhsa_float_denorm_mode_16_64 3
		.amdhsa_dx10_clamp 1
		.amdhsa_ieee_mode 1
		.amdhsa_fp16_overflow 0
		.amdhsa_tg_split 0
		.amdhsa_exception_fp_ieee_invalid_op 0
		.amdhsa_exception_fp_denorm_src 0
		.amdhsa_exception_fp_ieee_div_zero 0
		.amdhsa_exception_fp_ieee_overflow 0
		.amdhsa_exception_fp_ieee_underflow 0
		.amdhsa_exception_fp_ieee_inexact 0
		.amdhsa_exception_int_div_zero 0
	.end_amdhsa_kernel
	.section	.text._ZN4vllm3moe17topkGatingSoftmaxIfLi2ELi2ELi8ELi8ELb1ELi1ELNS0_23SharedExpertScoringFuncE1EEEvPKT_PKbPfiPiS9_iiiiii,"axG",@progbits,_ZN4vllm3moe17topkGatingSoftmaxIfLi2ELi2ELi8ELi8ELb1ELi1ELNS0_23SharedExpertScoringFuncE1EEEvPKT_PKbPfiPiS9_iiiiii,comdat
.Lfunc_end13:
	.size	_ZN4vllm3moe17topkGatingSoftmaxIfLi2ELi2ELi8ELi8ELb1ELi1ELNS0_23SharedExpertScoringFuncE1EEEvPKT_PKbPfiPiS9_iiiiii, .Lfunc_end13-_ZN4vllm3moe17topkGatingSoftmaxIfLi2ELi2ELi8ELi8ELb1ELi1ELNS0_23SharedExpertScoringFuncE1EEEvPKT_PKbPfiPiS9_iiiiii
                                        ; -- End function
	.section	.AMDGPU.csdata,"",@progbits
; Kernel info:
; codeLenInByte = 1376
; NumSgprs: 28
; NumVgprs: 20
; NumAgprs: 0
; TotalNumVgprs: 20
; ScratchSize: 0
; MemoryBound: 0
; FloatMode: 240
; IeeeMode: 1
; LDSByteSize: 0 bytes/workgroup (compile time only)
; SGPRBlocks: 3
; VGPRBlocks: 2
; NumSGPRsForWavesPerEU: 28
; NumVGPRsForWavesPerEU: 20
; AccumOffset: 20
; Occupancy: 8
; WaveLimiterHint : 0
; COMPUTE_PGM_RSRC2:SCRATCH_EN: 0
; COMPUTE_PGM_RSRC2:USER_SGPR: 6
; COMPUTE_PGM_RSRC2:TRAP_HANDLER: 0
; COMPUTE_PGM_RSRC2:TGID_X_EN: 1
; COMPUTE_PGM_RSRC2:TGID_Y_EN: 0
; COMPUTE_PGM_RSRC2:TGID_Z_EN: 0
; COMPUTE_PGM_RSRC2:TIDIG_COMP_CNT: 1
; COMPUTE_PGM_RSRC3_GFX90A:ACCUM_OFFSET: 4
; COMPUTE_PGM_RSRC3_GFX90A:TG_SPLIT: 0
	.section	.text._ZN4vllm3moe17topkGatingSoftmaxIfLi2ELi2ELi8ELi8ELb0ELi1ELNS0_23SharedExpertScoringFuncE1EEEvPKT_PKbPfiPiS9_iiiiii,"axG",@progbits,_ZN4vllm3moe17topkGatingSoftmaxIfLi2ELi2ELi8ELi8ELb0ELi1ELNS0_23SharedExpertScoringFuncE1EEEvPKT_PKbPfiPiS9_iiiiii,comdat
	.protected	_ZN4vllm3moe17topkGatingSoftmaxIfLi2ELi2ELi8ELi8ELb0ELi1ELNS0_23SharedExpertScoringFuncE1EEEvPKT_PKbPfiPiS9_iiiiii ; -- Begin function _ZN4vllm3moe17topkGatingSoftmaxIfLi2ELi2ELi8ELi8ELb0ELi1ELNS0_23SharedExpertScoringFuncE1EEEvPKT_PKbPfiPiS9_iiiiii
	.globl	_ZN4vllm3moe17topkGatingSoftmaxIfLi2ELi2ELi8ELi8ELb0ELi1ELNS0_23SharedExpertScoringFuncE1EEEvPKT_PKbPfiPiS9_iiiiii
	.p2align	8
	.type	_ZN4vllm3moe17topkGatingSoftmaxIfLi2ELi2ELi8ELi8ELb0ELi1ELNS0_23SharedExpertScoringFuncE1EEEvPKT_PKbPfiPiS9_iiiiii,@function
_ZN4vllm3moe17topkGatingSoftmaxIfLi2ELi2ELi8ELi8ELb0ELi1ELNS0_23SharedExpertScoringFuncE1EEEvPKT_PKbPfiPiS9_iiiiii: ; @_ZN4vllm3moe17topkGatingSoftmaxIfLi2ELi2ELi8ELi8ELb0ELi1ELNS0_23SharedExpertScoringFuncE1EEEvPKT_PKbPfiPiS9_iiiiii
; %bb.0:
	s_load_dword s18, s[4:5], 0x18
	v_bfe_u32 v1, v0, 10, 10
	s_lshl_b32 s19, s6, 9
	v_lshlrev_b32_e32 v15, 6, v1
	v_and_b32_e32 v16, 0x3ff, v0
	v_add3_u32 v17, v15, v16, s19
	s_waitcnt lgkmcnt(0)
	v_cmp_gt_i32_e32 vcc, s18, v17
	s_and_saveexec_b64 s[0:1], vcc
	s_cbranch_execz .LBB14_19
; %bb.1:
	s_load_dwordx4 s[0:3], s[4:5], 0x0
	s_load_dwordx2 s[12:13], s[4:5], 0x10
	s_waitcnt lgkmcnt(0)
	s_cmp_eq_u64 s[2:3], 0
	s_cbranch_scc1 .LBB14_3
; %bb.2:
	v_ashrrev_i32_e32 v1, 31, v17
	v_mov_b32_e32 v2, s3
	v_add_co_u32_e32 v0, vcc, s2, v17
	v_addc_co_u32_e32 v1, vcc, v2, v1, vcc
	global_load_ubyte v0, v[0:1], off
	s_waitcnt vmcnt(0)
	v_and_b32_e32 v0, 1, v0
	v_cmp_eq_u32_e32 vcc, 1, v0
	s_xor_b64 s[2:3], vcc, -1
	s_orn2_b64 s[14:15], s[2:3], exec
	s_branch .LBB14_4
.LBB14_3:
	s_mov_b64 s[14:15], -1
.LBB14_4:
	s_load_dwordx2 s[2:3], s[4:5], 0x40
	s_load_dwordx4 s[8:11], s[4:5], 0x30
	v_mov_b32_e32 v2, s1
	s_mov_b32 s1, 0x42ce8ed0
	v_mov_b32_e32 v3, 0x7f800000
	s_waitcnt lgkmcnt(0)
	v_mul_lo_u32 v0, v17, s3
	v_ashrrev_i32_e32 v1, 31, v0
	v_lshlrev_b64 v[0:1], 2, v[0:1]
	v_add_co_u32_e32 v0, vcc, s0, v0
	v_addc_co_u32_e32 v1, vcc, v2, v1, vcc
	global_load_dwordx3 v[0:2], v[0:1], off
	s_mov_b32 s0, 0xbfb8aa3b
	s_mov_b32 s3, 0xc2b17218
	v_mul_lo_u32 v4, v17, s11
	v_add_u32_e32 v6, s8, v4
	v_mov_b32_e32 v5, s13
	s_cmp_gt_i32 s8, 0
	v_mov_b32_e32 v14, 0
	s_cselect_b64 s[16:17], -1, 0
	s_cmp_lt_i32 s8, 1
	s_waitcnt vmcnt(0)
	v_mul_f32_e32 v7, 0xbfb8aa3b, v2
	v_fma_f32 v8, v2, s0, -v7
	v_rndne_f32_e32 v9, v7
	v_fmac_f32_e32 v8, 0xb2a5705f, v2
	v_sub_f32_e32 v7, v7, v9
	v_add_f32_e32 v7, v7, v8
	v_cvt_i32_f32_e32 v9, v9
	v_exp_f32_e32 v8, v7
	v_cmp_nlt_f32_e32 vcc, s1, v2
	v_ashrrev_i32_e32 v7, 31, v6
	v_lshlrev_b64 v[6:7], 2, v[6:7]
	v_ldexp_f32 v8, v8, v9
	v_cndmask_b32_e32 v8, 0, v8, vcc
	v_cmp_ngt_f32_e32 vcc, s3, v2
	v_cndmask_b32_e32 v2, v3, v8, vcc
	v_add_f32_e32 v2, 1.0, v2
	v_div_scale_f32 v8, s[0:1], v2, v2, 1.0
	v_rcp_f32_e32 v9, v8
	v_add_co_u32_e32 v6, vcc, s12, v6
	v_addc_co_u32_e32 v7, vcc, v5, v7, vcc
	v_fma_f32 v10, -v8, v9, 1.0
	v_div_scale_f32 v5, vcc, 1.0, v2, 1.0
	v_fmac_f32_e32 v9, v10, v9
	v_mul_f32_e32 v10, v5, v9
	v_fma_f32 v11, -v8, v10, v5
	v_fmac_f32_e32 v10, v11, v9
	v_fma_f32 v5, -v8, v10, v5
	v_div_fmas_f32 v5, v5, v9, v10
	v_div_fixup_f32 v2, v5, v2, 1.0
	v_cmp_lt_f32_e32 vcc, v0, v1
	global_store_dword v[6:7], v2, off
	v_cndmask_b32_e32 v2, v0, v1, vcc
	s_cbranch_scc1 .LBB14_8
; %bb.5:
	v_sub_f32_e32 v5, v2, v2
	v_mul_f32_e32 v7, 0x3fb8aa3b, v5
	s_mov_b32 s11, 0x3fb8aa3b
	v_rndne_f32_e32 v8, v7
	v_sub_f32_e32 v9, v7, v8
	v_fma_f32 v7, v5, s11, -v7
	v_fmac_f32_e32 v7, 0x32a5705f, v5
	v_add_f32_e32 v7, v9, v7
	v_exp_f32_e32 v7, v7
	v_cvt_i32_f32_e32 v8, v8
	v_cndmask_b32_e64 v20, 0, 1, vcc
	v_mul_lo_u32 v6, v17, s2
	v_cmp_le_i32_e64 s[0:1], s9, v20
	v_cmp_gt_i32_e64 s[2:3], s10, v20
	s_mov_b32 s20, 0xc2ce8ed0
	s_and_b64 s[22:23], s[0:1], s[2:3]
	v_ldexp_f32 v7, v7, v8
	v_cmp_ngt_f32_e64 s[0:1], s20, v5
	s_mov_b32 s21, 0x42b17218
	s_load_dwordx4 s[4:7], s[4:5], 0x20
	v_cndmask_b32_e64 v7, 0, v7, s[0:1]
	v_cmp_nlt_f32_e64 s[0:1], s21, v5
	v_ashrrev_i32_e32 v5, 31, v4
	v_lshlrev_b64 v[10:11], 2, v[4:5]
	v_cndmask_b32_e64 v14, v3, v7, s[0:1]
	v_mov_b32_e32 v5, s13
	v_add_co_u32_e64 v12, s[0:1], s12, v10
	v_addc_co_u32_e64 v13, s[2:3], v5, v11, s[0:1]
	v_ashrrev_i32_e32 v7, 31, v6
	v_subrev_u32_e32 v5, s9, v20
	s_and_b64 s[2:3], s[14:15], s[22:23]
	v_lshlrev_b64 v[8:9], 2, v[6:7]
	v_mul_lo_u32 v18, v17, s8
	v_cndmask_b32_e64 v5, 2, v5, s[2:3]
	s_waitcnt lgkmcnt(0)
	v_mov_b32_e32 v7, s5
	v_add_co_u32_e64 v6, s[2:3], s4, v8
	v_addc_co_u32_e64 v7, s[2:3], v7, v9, s[2:3]
	v_ashrrev_i32_e32 v19, 31, v18
	global_store_dword v[6:7], v5, off
	v_lshlrev_b64 v[6:7], 2, v[18:19]
	v_mov_b32_e32 v5, s7
	v_add_co_u32_e64 v18, s[2:3], s6, v6
	v_addc_co_u32_e64 v19, s[2:3], v5, v7, s[2:3]
	v_mov_b32_e32 v5, 0xff800000
	v_cndmask_b32_e32 v0, v5, v0, vcc
	v_cmp_ne_u32_e32 vcc, 1, v20
	s_cmp_eq_u32 s8, 1
	v_cndmask_b32_e32 v1, v5, v1, vcc
	global_store_dword v[12:13], v14, off
	global_store_dword v[18:19], v17, off
	s_cbranch_scc1 .LBB14_8
; %bb.6:
	v_mov_b32_e32 v10, s7
	v_add_co_u32_e32 v6, vcc, s6, v6
	v_addc_co_u32_e32 v7, vcc, v7, v10, vcc
	v_add_co_u32_e32 v6, vcc, 4, v6
	v_addc_co_u32_e32 v7, vcc, 0, v7, vcc
	v_mov_b32_e32 v10, s5
	v_add_co_u32_e32 v8, vcc, s4, v8
	v_addc_co_u32_e32 v9, vcc, v9, v10, vcc
	v_add_co_u32_e32 v8, vcc, 4, v8
	v_mov_b32_e32 v10, s13
	v_addc_co_u32_e32 v9, vcc, 0, v9, vcc
	v_addc_co_u32_e64 v11, vcc, v11, v10, s[0:1]
	v_add_co_u32_e32 v10, vcc, 4, v12
	s_add_i32 s19, s19, s18
	v_addc_co_u32_e32 v11, vcc, 0, v11, vcc
	s_add_i32 s2, s8, -1
	v_add3_u32 v12, s19, v16, v15
	v_mov_b32_e32 v13, 0x7f800000
.LBB14_7:                               ; =>This Inner Loop Header: Depth=1
	v_cmp_gt_f32_e32 vcc, v1, v0
	v_cndmask_b32_e32 v15, v0, v1, vcc
	v_cndmask_b32_e64 v16, 0, 1, vcc
	v_sub_f32_e32 v15, v15, v2
	v_cndmask_b32_e32 v1, v1, v5, vcc
	v_cndmask_b32_e32 v0, v5, v0, vcc
	v_cmp_le_i32_e32 vcc, s9, v16
	v_cmp_gt_i32_e64 s[0:1], s10, v16
	v_mul_f32_e32 v17, 0x3fb8aa3b, v15
	s_and_b64 s[0:1], vcc, s[0:1]
	v_fma_f32 v18, v15, s11, -v17
	v_rndne_f32_e32 v19, v17
	v_subrev_u32_e32 v16, s9, v16
	v_fmac_f32_e32 v18, 0x32a5705f, v15
	v_sub_f32_e32 v17, v17, v19
	s_and_b64 vcc, s[14:15], s[0:1]
	v_cndmask_b32_e32 v16, 2, v16, vcc
	v_add_f32_e32 v17, v17, v18
	v_cvt_i32_f32_e32 v19, v19
	global_store_dword v[8:9], v16, off
	global_store_dword v[6:7], v12, off
	v_add_co_u32_e32 v6, vcc, 4, v6
	v_exp_f32_e32 v16, v17
	v_addc_co_u32_e32 v7, vcc, 0, v7, vcc
	v_add_co_u32_e32 v8, vcc, 4, v8
	v_addc_co_u32_e32 v9, vcc, 0, v9, vcc
	v_ldexp_f32 v16, v16, v19
	v_cmp_ngt_f32_e32 vcc, s20, v15
	v_cndmask_b32_e32 v16, 0, v16, vcc
	v_cmp_nlt_f32_e32 vcc, s21, v15
	v_cndmask_b32_e32 v15, v13, v16, vcc
	s_add_i32 s2, s2, -1
	global_store_dword v[10:11], v15, off
	v_add_co_u32_e32 v10, vcc, 4, v10
	v_add_u32_e32 v12, s18, v12
	s_cmp_eq_u32 s2, 0
	v_add_f32_e32 v14, v14, v15
	v_addc_co_u32_e32 v11, vcc, 0, v11, vcc
	s_cbranch_scc0 .LBB14_7
.LBB14_8:
	v_pk_add_f32 v[0:1], v[0:1], v[2:3] op_sel_hi:[1,0] neg_lo:[0,1] neg_hi:[0,1]
	s_mov_b32 s0, 0x3fb8aa3b
	v_mul_f32_e32 v2, 0x3fb8aa3b, v1
	v_fma_f32 v5, v1, s0, -v2
	v_rndne_f32_e32 v6, v2
	v_fmac_f32_e32 v5, 0x32a5705f, v1
	v_sub_f32_e32 v2, v2, v6
	v_add_f32_e32 v2, v2, v5
	v_exp_f32_e32 v2, v2
	v_cvt_i32_f32_e32 v5, v6
	s_mov_b32 s1, 0xc2ce8ed0
	v_cmp_ngt_f32_e32 vcc, s1, v1
	v_ldexp_f32 v2, v2, v5
	v_mul_f32_e32 v5, 0x3fb8aa3b, v0
	v_fma_f32 v6, v0, s0, -v5
	v_rndne_f32_e32 v7, v5
	v_fmac_f32_e32 v6, 0x32a5705f, v0
	v_sub_f32_e32 v5, v5, v7
	v_add_f32_e32 v5, v5, v6
	v_exp_f32_e32 v5, v5
	v_cvt_i32_f32_e32 v6, v7
	s_mov_b32 s0, 0x42b17218
	v_cndmask_b32_e32 v2, 0, v2, vcc
	v_cmp_nlt_f32_e32 vcc, s0, v1
	v_cndmask_b32_e32 v1, v3, v2, vcc
	v_ldexp_f32 v2, v5, v6
	v_cmp_ngt_f32_e32 vcc, s1, v0
	v_cndmask_b32_e32 v2, 0, v2, vcc
	v_cmp_nlt_f32_e32 vcc, s0, v0
	v_cndmask_b32_e32 v0, v3, v2, vcc
	v_add_f32_e32 v0, v0, v1
	v_add_f32_e32 v0, v14, v0
	v_cmp_neq_f32_e32 vcc, 0, v0
	s_and_b64 exec, exec, vcc
	s_cbranch_execz .LBB14_19
; %bb.9:
	s_andn2_b64 vcc, exec, s[16:17]
	s_cbranch_vccnz .LBB14_19
; %bb.10:
	v_div_scale_f32 v1, s[0:1], v0, v0, 1.0
	v_rcp_f32_e32 v2, v1
	v_div_scale_f32 v3, vcc, 1.0, v0, 1.0
	s_cmp_gt_u32 s8, 3
	v_fma_f32 v5, -v1, v2, 1.0
	v_fmac_f32_e32 v2, v5, v2
	v_mul_f32_e32 v5, v3, v2
	v_fma_f32 v6, -v1, v5, v3
	v_fmac_f32_e32 v5, v6, v2
	v_fma_f32 v1, -v1, v5, v3
	v_div_fmas_f32 v1, v1, v2, v5
	v_div_fixup_f32 v0, v1, v0, 1.0
	v_ashrrev_i32_e32 v5, 31, v4
	s_cbranch_scc0 .LBB14_14
; %bb.11:
	v_lshlrev_b64 v[2:3], 2, v[4:5]
	v_mov_b32_e32 v6, s13
	v_add_co_u32_e32 v2, vcc, s12, v2
	v_addc_co_u32_e32 v3, vcc, v3, v6, vcc
	s_and_b32 s4, s8, 0x7ffffffc
	v_add_co_u32_e32 v2, vcc, 8, v2
	v_mov_b32_e32 v1, v0
	v_addc_co_u32_e32 v3, vcc, 0, v3, vcc
	s_mov_b32 s0, s4
.LBB14_12:                              ; =>This Inner Loop Header: Depth=1
	global_load_dwordx4 v[6:9], v[2:3], off offset:-8
	s_add_i32 s0, s0, -4
	s_cmp_lg_u32 s0, 0
	s_waitcnt vmcnt(0)
	v_pk_mul_f32 v[6:7], v[0:1], v[6:7]
	v_pk_mul_f32 v[8:9], v[0:1], v[8:9]
	global_store_dwordx4 v[2:3], v[6:9], off offset:-8
	v_add_co_u32_e32 v2, vcc, 16, v2
	v_addc_co_u32_e32 v3, vcc, 0, v3, vcc
	s_cbranch_scc1 .LBB14_12
; %bb.13:
	s_cmp_lg_u32 s4, s8
	s_cselect_b64 s[0:1], -1, 0
	s_branch .LBB14_16
.LBB14_14:
	s_mov_b64 s[0:1], 0
                                        ; implicit-def: $sgpr4
	s_cbranch_execz .LBB14_16
; %bb.15:
	s_mov_b64 s[0:1], -1
	s_mov_b32 s4, 0
.LBB14_16:
	s_andn2_b64 vcc, exec, s[0:1]
	s_cbranch_vccnz .LBB14_19
; %bb.17:
	v_add_co_u32_e32 v2, vcc, s4, v4
	v_addc_co_u32_e32 v3, vcc, 0, v5, vcc
	v_lshlrev_b64 v[2:3], 2, v[2:3]
	v_mov_b32_e32 v1, s13
	v_add_co_u32_e32 v2, vcc, s12, v2
	s_sub_i32 s0, s8, s4
	v_addc_co_u32_e32 v3, vcc, v1, v3, vcc
.LBB14_18:                              ; =>This Inner Loop Header: Depth=1
	global_load_dword v1, v[2:3], off
	s_add_i32 s0, s0, -1
	s_cmp_lg_u32 s0, 0
	s_waitcnt vmcnt(0)
	v_mul_f32_e32 v1, v0, v1
	global_store_dword v[2:3], v1, off
	v_add_co_u32_e32 v2, vcc, 4, v2
	v_addc_co_u32_e32 v3, vcc, 0, v3, vcc
	s_cbranch_scc1 .LBB14_18
.LBB14_19:
	s_endpgm
	.section	.rodata,"a",@progbits
	.p2align	6, 0x0
	.amdhsa_kernel _ZN4vllm3moe17topkGatingSoftmaxIfLi2ELi2ELi8ELi8ELb0ELi1ELNS0_23SharedExpertScoringFuncE1EEEvPKT_PKbPfiPiS9_iiiiii
		.amdhsa_group_segment_fixed_size 0
		.amdhsa_private_segment_fixed_size 0
		.amdhsa_kernarg_size 72
		.amdhsa_user_sgpr_count 6
		.amdhsa_user_sgpr_private_segment_buffer 1
		.amdhsa_user_sgpr_dispatch_ptr 0
		.amdhsa_user_sgpr_queue_ptr 0
		.amdhsa_user_sgpr_kernarg_segment_ptr 1
		.amdhsa_user_sgpr_dispatch_id 0
		.amdhsa_user_sgpr_flat_scratch_init 0
		.amdhsa_user_sgpr_kernarg_preload_length 0
		.amdhsa_user_sgpr_kernarg_preload_offset 0
		.amdhsa_user_sgpr_private_segment_size 0
		.amdhsa_uses_dynamic_stack 0
		.amdhsa_system_sgpr_private_segment_wavefront_offset 0
		.amdhsa_system_sgpr_workgroup_id_x 1
		.amdhsa_system_sgpr_workgroup_id_y 0
		.amdhsa_system_sgpr_workgroup_id_z 0
		.amdhsa_system_sgpr_workgroup_info 0
		.amdhsa_system_vgpr_workitem_id 1
		.amdhsa_next_free_vgpr 21
		.amdhsa_next_free_sgpr 24
		.amdhsa_accum_offset 24
		.amdhsa_reserve_vcc 1
		.amdhsa_reserve_flat_scratch 0
		.amdhsa_float_round_mode_32 0
		.amdhsa_float_round_mode_16_64 0
		.amdhsa_float_denorm_mode_32 3
		.amdhsa_float_denorm_mode_16_64 3
		.amdhsa_dx10_clamp 1
		.amdhsa_ieee_mode 1
		.amdhsa_fp16_overflow 0
		.amdhsa_tg_split 0
		.amdhsa_exception_fp_ieee_invalid_op 0
		.amdhsa_exception_fp_denorm_src 0
		.amdhsa_exception_fp_ieee_div_zero 0
		.amdhsa_exception_fp_ieee_overflow 0
		.amdhsa_exception_fp_ieee_underflow 0
		.amdhsa_exception_fp_ieee_inexact 0
		.amdhsa_exception_int_div_zero 0
	.end_amdhsa_kernel
	.section	.text._ZN4vllm3moe17topkGatingSoftmaxIfLi2ELi2ELi8ELi8ELb0ELi1ELNS0_23SharedExpertScoringFuncE1EEEvPKT_PKbPfiPiS9_iiiiii,"axG",@progbits,_ZN4vllm3moe17topkGatingSoftmaxIfLi2ELi2ELi8ELi8ELb0ELi1ELNS0_23SharedExpertScoringFuncE1EEEvPKT_PKbPfiPiS9_iiiiii,comdat
.Lfunc_end14:
	.size	_ZN4vllm3moe17topkGatingSoftmaxIfLi2ELi2ELi8ELi8ELb0ELi1ELNS0_23SharedExpertScoringFuncE1EEEvPKT_PKbPfiPiS9_iiiiii, .Lfunc_end14-_ZN4vllm3moe17topkGatingSoftmaxIfLi2ELi2ELi8ELi8ELb0ELi1ELNS0_23SharedExpertScoringFuncE1EEEvPKT_PKbPfiPiS9_iiiiii
                                        ; -- End function
	.section	.AMDGPU.csdata,"",@progbits
; Kernel info:
; codeLenInByte = 1552
; NumSgprs: 28
; NumVgprs: 21
; NumAgprs: 0
; TotalNumVgprs: 21
; ScratchSize: 0
; MemoryBound: 0
; FloatMode: 240
; IeeeMode: 1
; LDSByteSize: 0 bytes/workgroup (compile time only)
; SGPRBlocks: 3
; VGPRBlocks: 2
; NumSGPRsForWavesPerEU: 28
; NumVGPRsForWavesPerEU: 21
; AccumOffset: 24
; Occupancy: 8
; WaveLimiterHint : 0
; COMPUTE_PGM_RSRC2:SCRATCH_EN: 0
; COMPUTE_PGM_RSRC2:USER_SGPR: 6
; COMPUTE_PGM_RSRC2:TRAP_HANDLER: 0
; COMPUTE_PGM_RSRC2:TGID_X_EN: 1
; COMPUTE_PGM_RSRC2:TGID_Y_EN: 0
; COMPUTE_PGM_RSRC2:TGID_Z_EN: 0
; COMPUTE_PGM_RSRC2:TIDIG_COMP_CNT: 1
; COMPUTE_PGM_RSRC3_GFX90A:ACCUM_OFFSET: 5
; COMPUTE_PGM_RSRC3_GFX90A:TG_SPLIT: 0
	.section	.text._ZN4vllm3moe17topkGatingSoftmaxIfLi2ELi2ELi8ELi8ELb1ELi2ELNS0_23SharedExpertScoringFuncE1EEEvPKT_PKbPfiPiS9_iiiiii,"axG",@progbits,_ZN4vllm3moe17topkGatingSoftmaxIfLi2ELi2ELi8ELi8ELb1ELi2ELNS0_23SharedExpertScoringFuncE1EEEvPKT_PKbPfiPiS9_iiiiii,comdat
	.protected	_ZN4vllm3moe17topkGatingSoftmaxIfLi2ELi2ELi8ELi8ELb1ELi2ELNS0_23SharedExpertScoringFuncE1EEEvPKT_PKbPfiPiS9_iiiiii ; -- Begin function _ZN4vllm3moe17topkGatingSoftmaxIfLi2ELi2ELi8ELi8ELb1ELi2ELNS0_23SharedExpertScoringFuncE1EEEvPKT_PKbPfiPiS9_iiiiii
	.globl	_ZN4vllm3moe17topkGatingSoftmaxIfLi2ELi2ELi8ELi8ELb1ELi2ELNS0_23SharedExpertScoringFuncE1EEEvPKT_PKbPfiPiS9_iiiiii
	.p2align	8
	.type	_ZN4vllm3moe17topkGatingSoftmaxIfLi2ELi2ELi8ELi8ELb1ELi2ELNS0_23SharedExpertScoringFuncE1EEEvPKT_PKbPfiPiS9_iiiiii,@function
_ZN4vllm3moe17topkGatingSoftmaxIfLi2ELi2ELi8ELi8ELb1ELi2ELNS0_23SharedExpertScoringFuncE1EEEvPKT_PKbPfiPiS9_iiiiii: ; @_ZN4vllm3moe17topkGatingSoftmaxIfLi2ELi2ELi8ELi8ELb1ELi2ELNS0_23SharedExpertScoringFuncE1EEEvPKT_PKbPfiPiS9_iiiiii
; %bb.0:
	s_load_dword s18, s[4:5], 0x18
	v_bfe_u32 v1, v0, 10, 10
	s_lshl_b32 s19, s6, 9
	v_lshlrev_b32_e32 v12, 6, v1
	v_and_b32_e32 v13, 0x3ff, v0
	v_add3_u32 v14, v12, v13, s19
	s_waitcnt lgkmcnt(0)
	v_cmp_gt_i32_e32 vcc, s18, v14
	s_and_saveexec_b64 s[0:1], vcc
	s_cbranch_execz .LBB15_19
; %bb.1:
	s_load_dwordx4 s[0:3], s[4:5], 0x0
	s_load_dwordx2 s[12:13], s[4:5], 0x10
	s_waitcnt lgkmcnt(0)
	s_cmp_eq_u64 s[2:3], 0
	s_cbranch_scc1 .LBB15_3
; %bb.2:
	v_ashrrev_i32_e32 v1, 31, v14
	v_mov_b32_e32 v2, s3
	v_add_co_u32_e32 v0, vcc, s2, v14
	v_addc_co_u32_e32 v1, vcc, v2, v1, vcc
	global_load_ubyte v0, v[0:1], off
	s_waitcnt vmcnt(0)
	v_and_b32_e32 v0, 1, v0
	v_cmp_eq_u32_e32 vcc, 1, v0
	s_xor_b64 s[2:3], vcc, -1
	s_orn2_b64 s[14:15], s[2:3], exec
	s_branch .LBB15_4
.LBB15_3:
	s_mov_b64 s[14:15], -1
.LBB15_4:
	s_load_dwordx2 s[2:3], s[4:5], 0x40
	s_load_dwordx4 s[8:11], s[4:5], 0x30
	v_mov_b32_e32 v2, s1
	s_mov_b32 s6, 0x42ce8ed0
	s_mov_b32 s7, 0xc2b17218
	s_waitcnt lgkmcnt(0)
	v_mul_lo_u32 v0, v14, s3
	v_ashrrev_i32_e32 v1, 31, v0
	v_lshlrev_b64 v[0:1], 2, v[0:1]
	v_add_co_u32_e32 v6, vcc, s0, v0
	v_addc_co_u32_e32 v7, vcc, v2, v1, vcc
	global_load_dwordx3 v[0:2], v[6:7], off
	s_mov_b32 s3, 0xbfb8aa3b
	v_mov_b32_e32 v3, 0x7f800000
	v_mul_lo_u32 v4, v14, s11
	v_mov_b32_e32 v5, s13
	s_cmp_gt_i32 s8, 0
	s_cselect_b64 s[16:17], -1, 0
	s_cmp_lt_i32 s8, 1
	s_waitcnt vmcnt(0)
	v_mul_f32_e32 v8, 0xbfb8aa3b, v2
	v_fma_f32 v9, v2, s3, -v8
	v_rndne_f32_e32 v10, v8
	v_fmac_f32_e32 v9, 0xb2a5705f, v2
	v_sub_f32_e32 v8, v8, v10
	v_add_f32_e32 v8, v8, v9
	v_cvt_i32_f32_e32 v10, v10
	v_exp_f32_e32 v11, v8
	v_cmp_nlt_f32_e32 vcc, s6, v2
	v_add_u32_e32 v8, s8, v4
	v_ashrrev_i32_e32 v9, 31, v8
	v_ldexp_f32 v10, v11, v10
	v_cndmask_b32_e32 v10, 0, v10, vcc
	v_cmp_ngt_f32_e32 vcc, s7, v2
	v_cndmask_b32_e32 v2, v3, v10, vcc
	v_add_f32_e32 v2, 1.0, v2
	v_div_scale_f32 v10, s[0:1], v2, v2, 1.0
	v_rcp_f32_e32 v11, v10
	v_lshlrev_b64 v[8:9], 2, v[8:9]
	v_add_co_u32_e32 v8, vcc, s12, v8
	v_addc_co_u32_e32 v9, vcc, v5, v9, vcc
	v_fma_f32 v15, -v10, v11, 1.0
	v_div_scale_f32 v5, vcc, 1.0, v2, 1.0
	v_fmac_f32_e32 v11, v15, v11
	v_mul_f32_e32 v15, v5, v11
	v_fma_f32 v16, -v10, v15, v5
	v_fmac_f32_e32 v15, v16, v11
	v_fma_f32 v5, -v10, v15, v5
	v_div_fmas_f32 v5, v5, v11, v15
	v_div_fixup_f32 v2, v5, v2, 1.0
	global_store_dword v[8:9], v2, off
	global_load_dword v2, v[6:7], off offset:12
	v_mov_b32_e32 v15, 0
	s_waitcnt vmcnt(0)
	v_mul_f32_e32 v5, 0xbfb8aa3b, v2
	v_fma_f32 v6, v2, s3, -v5
	v_rndne_f32_e32 v7, v5
	v_fmac_f32_e32 v6, 0xb2a5705f, v2
	v_sub_f32_e32 v5, v5, v7
	v_add_f32_e32 v5, v5, v6
	v_cvt_i32_f32_e32 v7, v7
	v_exp_f32_e32 v5, v5
	v_cmp_nlt_f32_e32 vcc, s6, v2
	v_ldexp_f32 v5, v5, v7
	v_cndmask_b32_e32 v5, 0, v5, vcc
	v_cmp_ngt_f32_e32 vcc, s7, v2
	v_cndmask_b32_e32 v2, v3, v5, vcc
	v_add_f32_e32 v2, 1.0, v2
	v_div_scale_f32 v5, s[0:1], v2, v2, 1.0
	v_rcp_f32_e32 v6, v5
	v_div_scale_f32 v7, vcc, 1.0, v2, 1.0
	v_fma_f32 v10, -v5, v6, 1.0
	v_fmac_f32_e32 v6, v10, v6
	v_mul_f32_e32 v10, v7, v6
	v_fma_f32 v11, -v5, v10, v7
	v_fmac_f32_e32 v10, v11, v6
	v_fma_f32 v5, -v5, v10, v7
	v_div_fmas_f32 v5, v5, v6, v10
	v_div_fixup_f32 v2, v5, v2, 1.0
	global_store_dword v[8:9], v2, off offset:4
	s_cbranch_scc1 .LBB15_8
; %bb.5:
	v_cmp_lt_f32_e32 vcc, v0, v1
	v_cndmask_b32_e32 v16, v0, v1, vcc
	v_sub_f32_e32 v5, v16, v16
	s_mov_b32 s11, 0x3fb8aa3b
	v_mul_f32_e32 v6, 0x3fb8aa3b, v5
	v_fma_f32 v7, v5, s11, -v6
	v_rndne_f32_e32 v8, v6
	v_fmac_f32_e32 v7, 0x32a5705f, v5
	v_sub_f32_e32 v6, v6, v8
	v_add_f32_e32 v6, v6, v7
	v_exp_f32_e32 v6, v6
	v_cvt_i32_f32_e32 v7, v8
	v_cndmask_b32_e64 v17, 0, 1, vcc
	v_mul_lo_u32 v2, v14, s2
	v_cmp_le_i32_e64 s[0:1], s9, v17
	v_cmp_gt_i32_e64 s[2:3], s10, v17
	s_mov_b32 s20, 0xc2ce8ed0
	s_and_b64 s[22:23], s[0:1], s[2:3]
	v_ldexp_f32 v6, v6, v7
	v_cmp_ngt_f32_e64 s[0:1], s20, v5
	s_mov_b32 s21, 0x42b17218
	v_cndmask_b32_e64 v6, 0, v6, s[0:1]
	v_cmp_nlt_f32_e64 s[0:1], s21, v5
	v_ashrrev_i32_e32 v5, 31, v4
	v_lshlrev_b64 v[8:9], 2, v[4:5]
	s_load_dwordx4 s[4:7], s[4:5], 0x20
	v_cndmask_b32_e64 v15, v3, v6, s[0:1]
	v_mov_b32_e32 v3, s13
	v_add_co_u32_e64 v10, s[0:1], s12, v8
	v_addc_co_u32_e64 v11, s[2:3], v3, v9, s[0:1]
	v_subrev_u32_e32 v3, s9, v17
	s_and_b64 s[2:3], s[14:15], s[22:23]
	v_cndmask_b32_e64 v5, 2, v3, s[2:3]
	v_ashrrev_i32_e32 v3, 31, v2
	v_lshlrev_b64 v[6:7], 2, v[2:3]
	v_mul_lo_u32 v18, v14, s8
	s_waitcnt lgkmcnt(0)
	v_mov_b32_e32 v3, s5
	v_add_co_u32_e64 v2, s[2:3], s4, v6
	v_addc_co_u32_e64 v3, s[2:3], v3, v7, s[2:3]
	v_ashrrev_i32_e32 v19, 31, v18
	global_store_dword v[2:3], v5, off
	v_lshlrev_b64 v[2:3], 2, v[18:19]
	v_mov_b32_e32 v5, s7
	v_add_co_u32_e64 v18, s[2:3], s6, v2
	v_addc_co_u32_e64 v19, s[2:3], v5, v3, s[2:3]
	s_cmp_eq_u32 s8, 1
	global_store_dword v[10:11], v15, off
	global_store_dword v[18:19], v14, off
	s_cbranch_scc1 .LBB15_8
; %bb.6:
	v_mov_b32_e32 v5, 0xff800000
	v_cndmask_b32_e32 v0, v5, v0, vcc
	v_cmp_ne_u32_e32 vcc, 1, v17
	v_cndmask_b32_e32 v1, v5, v1, vcc
	v_mov_b32_e32 v8, s7
	v_add_co_u32_e32 v2, vcc, s6, v2
	v_addc_co_u32_e32 v3, vcc, v3, v8, vcc
	v_add_co_u32_e32 v2, vcc, 4, v2
	v_addc_co_u32_e32 v3, vcc, 0, v3, vcc
	v_mov_b32_e32 v8, s5
	v_add_co_u32_e32 v6, vcc, s4, v6
	v_addc_co_u32_e32 v7, vcc, v7, v8, vcc
	v_add_co_u32_e32 v6, vcc, 4, v6
	v_mov_b32_e32 v8, s13
	v_addc_co_u32_e32 v7, vcc, 0, v7, vcc
	v_addc_co_u32_e64 v9, vcc, v9, v8, s[0:1]
	v_add_co_u32_e32 v8, vcc, 4, v10
	s_add_i32 s19, s19, s18
	v_addc_co_u32_e32 v9, vcc, 0, v9, vcc
	s_add_i32 s2, s8, -1
	v_add3_u32 v10, s19, v13, v12
	v_mov_b32_e32 v11, 0x7f800000
.LBB15_7:                               ; =>This Inner Loop Header: Depth=1
	v_cmp_gt_f32_e32 vcc, v1, v0
	v_cndmask_b32_e32 v12, v0, v1, vcc
	v_cndmask_b32_e64 v13, 0, 1, vcc
	v_sub_f32_e32 v12, v12, v16
	v_cndmask_b32_e32 v1, v1, v5, vcc
	v_cndmask_b32_e32 v0, v5, v0, vcc
	v_cmp_le_i32_e32 vcc, s9, v13
	v_cmp_gt_i32_e64 s[0:1], s10, v13
	v_mul_f32_e32 v14, 0x3fb8aa3b, v12
	s_and_b64 s[0:1], vcc, s[0:1]
	v_fma_f32 v17, v12, s11, -v14
	v_rndne_f32_e32 v18, v14
	v_subrev_u32_e32 v13, s9, v13
	v_fmac_f32_e32 v17, 0x32a5705f, v12
	v_sub_f32_e32 v14, v14, v18
	s_and_b64 vcc, s[14:15], s[0:1]
	v_cndmask_b32_e32 v13, 2, v13, vcc
	v_add_f32_e32 v14, v14, v17
	v_cvt_i32_f32_e32 v18, v18
	global_store_dword v[6:7], v13, off
	global_store_dword v[2:3], v10, off
	v_add_co_u32_e32 v2, vcc, 4, v2
	v_exp_f32_e32 v13, v14
	v_addc_co_u32_e32 v3, vcc, 0, v3, vcc
	v_add_co_u32_e32 v6, vcc, 4, v6
	v_addc_co_u32_e32 v7, vcc, 0, v7, vcc
	v_ldexp_f32 v13, v13, v18
	v_cmp_ngt_f32_e32 vcc, s20, v12
	v_cndmask_b32_e32 v13, 0, v13, vcc
	v_cmp_nlt_f32_e32 vcc, s21, v12
	v_cndmask_b32_e32 v12, v11, v13, vcc
	s_add_i32 s2, s2, -1
	global_store_dword v[8:9], v12, off
	v_add_co_u32_e32 v8, vcc, 4, v8
	v_add_u32_e32 v10, s18, v10
	s_cmp_eq_u32 s2, 0
	v_add_f32_e32 v15, v15, v12
	v_addc_co_u32_e32 v9, vcc, 0, v9, vcc
	s_cbranch_scc0 .LBB15_7
.LBB15_8:
	v_cmp_neq_f32_e32 vcc, 0, v15
	s_and_b64 exec, exec, vcc
	s_cbranch_execz .LBB15_19
; %bb.9:
	s_andn2_b64 vcc, exec, s[16:17]
	s_cbranch_vccnz .LBB15_19
; %bb.10:
	v_div_scale_f32 v0, s[0:1], v15, v15, 1.0
	v_rcp_f32_e32 v1, v0
	v_div_scale_f32 v2, vcc, 1.0, v15, 1.0
	s_cmp_gt_u32 s8, 3
	v_fma_f32 v3, -v0, v1, 1.0
	v_fmac_f32_e32 v1, v3, v1
	v_mul_f32_e32 v3, v2, v1
	v_fma_f32 v5, -v0, v3, v2
	v_fmac_f32_e32 v3, v5, v1
	v_fma_f32 v0, -v0, v3, v2
	v_div_fmas_f32 v0, v0, v1, v3
	v_div_fixup_f32 v0, v0, v15, 1.0
	v_ashrrev_i32_e32 v5, 31, v4
	s_cbranch_scc0 .LBB15_14
; %bb.11:
	v_lshlrev_b64 v[2:3], 2, v[4:5]
	v_mov_b32_e32 v6, s13
	v_add_co_u32_e32 v2, vcc, s12, v2
	v_addc_co_u32_e32 v3, vcc, v3, v6, vcc
	s_and_b32 s4, s8, 0x7ffffffc
	v_add_co_u32_e32 v2, vcc, 8, v2
	v_mov_b32_e32 v1, v0
	v_addc_co_u32_e32 v3, vcc, 0, v3, vcc
	s_mov_b32 s0, s4
.LBB15_12:                              ; =>This Inner Loop Header: Depth=1
	global_load_dwordx4 v[6:9], v[2:3], off offset:-8
	s_add_i32 s0, s0, -4
	s_cmp_lg_u32 s0, 0
	s_waitcnt vmcnt(0)
	v_pk_mul_f32 v[6:7], v[0:1], v[6:7]
	v_pk_mul_f32 v[8:9], v[0:1], v[8:9]
	global_store_dwordx4 v[2:3], v[6:9], off offset:-8
	v_add_co_u32_e32 v2, vcc, 16, v2
	v_addc_co_u32_e32 v3, vcc, 0, v3, vcc
	s_cbranch_scc1 .LBB15_12
; %bb.13:
	s_cmp_lg_u32 s4, s8
	s_cselect_b64 s[0:1], -1, 0
	s_branch .LBB15_16
.LBB15_14:
	s_mov_b64 s[0:1], 0
                                        ; implicit-def: $sgpr4
	s_cbranch_execz .LBB15_16
; %bb.15:
	s_mov_b64 s[0:1], -1
	s_mov_b32 s4, 0
.LBB15_16:
	s_andn2_b64 vcc, exec, s[0:1]
	s_cbranch_vccnz .LBB15_19
; %bb.17:
	v_add_co_u32_e32 v2, vcc, s4, v4
	v_addc_co_u32_e32 v3, vcc, 0, v5, vcc
	v_lshlrev_b64 v[2:3], 2, v[2:3]
	v_mov_b32_e32 v1, s13
	v_add_co_u32_e32 v2, vcc, s12, v2
	s_sub_i32 s0, s8, s4
	v_addc_co_u32_e32 v3, vcc, v1, v3, vcc
.LBB15_18:                              ; =>This Inner Loop Header: Depth=1
	global_load_dword v1, v[2:3], off
	s_add_i32 s0, s0, -1
	s_cmp_lg_u32 s0, 0
	s_waitcnt vmcnt(0)
	v_mul_f32_e32 v1, v0, v1
	global_store_dword v[2:3], v1, off
	v_add_co_u32_e32 v2, vcc, 4, v2
	v_addc_co_u32_e32 v3, vcc, 0, v3, vcc
	s_cbranch_scc1 .LBB15_18
.LBB15_19:
	s_endpgm
	.section	.rodata,"a",@progbits
	.p2align	6, 0x0
	.amdhsa_kernel _ZN4vllm3moe17topkGatingSoftmaxIfLi2ELi2ELi8ELi8ELb1ELi2ELNS0_23SharedExpertScoringFuncE1EEEvPKT_PKbPfiPiS9_iiiiii
		.amdhsa_group_segment_fixed_size 0
		.amdhsa_private_segment_fixed_size 0
		.amdhsa_kernarg_size 72
		.amdhsa_user_sgpr_count 6
		.amdhsa_user_sgpr_private_segment_buffer 1
		.amdhsa_user_sgpr_dispatch_ptr 0
		.amdhsa_user_sgpr_queue_ptr 0
		.amdhsa_user_sgpr_kernarg_segment_ptr 1
		.amdhsa_user_sgpr_dispatch_id 0
		.amdhsa_user_sgpr_flat_scratch_init 0
		.amdhsa_user_sgpr_kernarg_preload_length 0
		.amdhsa_user_sgpr_kernarg_preload_offset 0
		.amdhsa_user_sgpr_private_segment_size 0
		.amdhsa_uses_dynamic_stack 0
		.amdhsa_system_sgpr_private_segment_wavefront_offset 0
		.amdhsa_system_sgpr_workgroup_id_x 1
		.amdhsa_system_sgpr_workgroup_id_y 0
		.amdhsa_system_sgpr_workgroup_id_z 0
		.amdhsa_system_sgpr_workgroup_info 0
		.amdhsa_system_vgpr_workitem_id 1
		.amdhsa_next_free_vgpr 20
		.amdhsa_next_free_sgpr 24
		.amdhsa_accum_offset 20
		.amdhsa_reserve_vcc 1
		.amdhsa_reserve_flat_scratch 0
		.amdhsa_float_round_mode_32 0
		.amdhsa_float_round_mode_16_64 0
		.amdhsa_float_denorm_mode_32 3
		.amdhsa_float_denorm_mode_16_64 3
		.amdhsa_dx10_clamp 1
		.amdhsa_ieee_mode 1
		.amdhsa_fp16_overflow 0
		.amdhsa_tg_split 0
		.amdhsa_exception_fp_ieee_invalid_op 0
		.amdhsa_exception_fp_denorm_src 0
		.amdhsa_exception_fp_ieee_div_zero 0
		.amdhsa_exception_fp_ieee_overflow 0
		.amdhsa_exception_fp_ieee_underflow 0
		.amdhsa_exception_fp_ieee_inexact 0
		.amdhsa_exception_int_div_zero 0
	.end_amdhsa_kernel
	.section	.text._ZN4vllm3moe17topkGatingSoftmaxIfLi2ELi2ELi8ELi8ELb1ELi2ELNS0_23SharedExpertScoringFuncE1EEEvPKT_PKbPfiPiS9_iiiiii,"axG",@progbits,_ZN4vllm3moe17topkGatingSoftmaxIfLi2ELi2ELi8ELi8ELb1ELi2ELNS0_23SharedExpertScoringFuncE1EEEvPKT_PKbPfiPiS9_iiiiii,comdat
.Lfunc_end15:
	.size	_ZN4vllm3moe17topkGatingSoftmaxIfLi2ELi2ELi8ELi8ELb1ELi2ELNS0_23SharedExpertScoringFuncE1EEEvPKT_PKbPfiPiS9_iiiiii, .Lfunc_end15-_ZN4vllm3moe17topkGatingSoftmaxIfLi2ELi2ELi8ELi8ELb1ELi2ELNS0_23SharedExpertScoringFuncE1EEEvPKT_PKbPfiPiS9_iiiiii
                                        ; -- End function
	.section	.AMDGPU.csdata,"",@progbits
; Kernel info:
; codeLenInByte = 1540
; NumSgprs: 28
; NumVgprs: 20
; NumAgprs: 0
; TotalNumVgprs: 20
; ScratchSize: 0
; MemoryBound: 0
; FloatMode: 240
; IeeeMode: 1
; LDSByteSize: 0 bytes/workgroup (compile time only)
; SGPRBlocks: 3
; VGPRBlocks: 2
; NumSGPRsForWavesPerEU: 28
; NumVGPRsForWavesPerEU: 20
; AccumOffset: 20
; Occupancy: 8
; WaveLimiterHint : 0
; COMPUTE_PGM_RSRC2:SCRATCH_EN: 0
; COMPUTE_PGM_RSRC2:USER_SGPR: 6
; COMPUTE_PGM_RSRC2:TRAP_HANDLER: 0
; COMPUTE_PGM_RSRC2:TGID_X_EN: 1
; COMPUTE_PGM_RSRC2:TGID_Y_EN: 0
; COMPUTE_PGM_RSRC2:TGID_Z_EN: 0
; COMPUTE_PGM_RSRC2:TIDIG_COMP_CNT: 1
; COMPUTE_PGM_RSRC3_GFX90A:ACCUM_OFFSET: 4
; COMPUTE_PGM_RSRC3_GFX90A:TG_SPLIT: 0
	.section	.text._ZN4vllm3moe17topkGatingSoftmaxIfLi2ELi2ELi8ELi8ELb0ELi2ELNS0_23SharedExpertScoringFuncE1EEEvPKT_PKbPfiPiS9_iiiiii,"axG",@progbits,_ZN4vllm3moe17topkGatingSoftmaxIfLi2ELi2ELi8ELi8ELb0ELi2ELNS0_23SharedExpertScoringFuncE1EEEvPKT_PKbPfiPiS9_iiiiii,comdat
	.protected	_ZN4vllm3moe17topkGatingSoftmaxIfLi2ELi2ELi8ELi8ELb0ELi2ELNS0_23SharedExpertScoringFuncE1EEEvPKT_PKbPfiPiS9_iiiiii ; -- Begin function _ZN4vllm3moe17topkGatingSoftmaxIfLi2ELi2ELi8ELi8ELb0ELi2ELNS0_23SharedExpertScoringFuncE1EEEvPKT_PKbPfiPiS9_iiiiii
	.globl	_ZN4vllm3moe17topkGatingSoftmaxIfLi2ELi2ELi8ELi8ELb0ELi2ELNS0_23SharedExpertScoringFuncE1EEEvPKT_PKbPfiPiS9_iiiiii
	.p2align	8
	.type	_ZN4vllm3moe17topkGatingSoftmaxIfLi2ELi2ELi8ELi8ELb0ELi2ELNS0_23SharedExpertScoringFuncE1EEEvPKT_PKbPfiPiS9_iiiiii,@function
_ZN4vllm3moe17topkGatingSoftmaxIfLi2ELi2ELi8ELi8ELb0ELi2ELNS0_23SharedExpertScoringFuncE1EEEvPKT_PKbPfiPiS9_iiiiii: ; @_ZN4vllm3moe17topkGatingSoftmaxIfLi2ELi2ELi8ELi8ELb0ELi2ELNS0_23SharedExpertScoringFuncE1EEEvPKT_PKbPfiPiS9_iiiiii
; %bb.0:
	s_load_dword s18, s[4:5], 0x18
	v_bfe_u32 v1, v0, 10, 10
	s_lshl_b32 s19, s6, 9
	v_lshlrev_b32_e32 v14, 6, v1
	v_and_b32_e32 v15, 0x3ff, v0
	v_add3_u32 v17, v14, v15, s19
	s_waitcnt lgkmcnt(0)
	v_cmp_gt_i32_e32 vcc, s18, v17
	s_and_saveexec_b64 s[0:1], vcc
	s_cbranch_execz .LBB16_19
; %bb.1:
	s_load_dwordx4 s[0:3], s[4:5], 0x0
	s_load_dwordx2 s[12:13], s[4:5], 0x10
	s_waitcnt lgkmcnt(0)
	s_cmp_eq_u64 s[2:3], 0
	s_cbranch_scc1 .LBB16_3
; %bb.2:
	v_ashrrev_i32_e32 v1, 31, v17
	v_mov_b32_e32 v2, s3
	v_add_co_u32_e32 v0, vcc, s2, v17
	v_addc_co_u32_e32 v1, vcc, v2, v1, vcc
	global_load_ubyte v0, v[0:1], off
	s_waitcnt vmcnt(0)
	v_and_b32_e32 v0, 1, v0
	v_cmp_eq_u32_e32 vcc, 1, v0
	s_xor_b64 s[2:3], vcc, -1
	s_orn2_b64 s[14:15], s[2:3], exec
	s_branch .LBB16_4
.LBB16_3:
	s_mov_b64 s[14:15], -1
.LBB16_4:
	s_load_dwordx2 s[2:3], s[4:5], 0x40
	s_load_dwordx4 s[8:11], s[4:5], 0x30
	v_mov_b32_e32 v2, s1
	s_mov_b32 s6, 0x42ce8ed0
	s_mov_b32 s7, 0xc2b17218
	s_waitcnt lgkmcnt(0)
	v_mul_lo_u32 v0, v17, s3
	v_ashrrev_i32_e32 v1, 31, v0
	v_lshlrev_b64 v[0:1], 2, v[0:1]
	v_add_co_u32_e32 v6, vcc, s0, v0
	v_addc_co_u32_e32 v7, vcc, v2, v1, vcc
	global_load_dwordx3 v[0:2], v[6:7], off
	s_mov_b32 s3, 0xbfb8aa3b
	v_mov_b32_e32 v3, 0x7f800000
	v_mul_lo_u32 v4, v17, s11
	v_mov_b32_e32 v5, s13
	s_cmp_gt_i32 s8, 0
	v_mov_b32_e32 v16, 0
	s_cselect_b64 s[16:17], -1, 0
	s_cmp_lt_i32 s8, 1
	s_waitcnt vmcnt(0)
	v_mul_f32_e32 v8, 0xbfb8aa3b, v2
	v_fma_f32 v9, v2, s3, -v8
	v_rndne_f32_e32 v10, v8
	v_fmac_f32_e32 v9, 0xb2a5705f, v2
	v_sub_f32_e32 v8, v8, v10
	v_add_f32_e32 v8, v8, v9
	v_cvt_i32_f32_e32 v10, v10
	v_exp_f32_e32 v11, v8
	v_cmp_nlt_f32_e32 vcc, s6, v2
	v_add_u32_e32 v8, s8, v4
	v_ashrrev_i32_e32 v9, 31, v8
	v_ldexp_f32 v10, v11, v10
	v_cndmask_b32_e32 v10, 0, v10, vcc
	v_cmp_ngt_f32_e32 vcc, s7, v2
	v_cndmask_b32_e32 v2, v3, v10, vcc
	v_add_f32_e32 v2, 1.0, v2
	v_div_scale_f32 v10, s[0:1], v2, v2, 1.0
	v_rcp_f32_e32 v11, v10
	v_lshlrev_b64 v[8:9], 2, v[8:9]
	v_add_co_u32_e32 v8, vcc, s12, v8
	v_addc_co_u32_e32 v9, vcc, v5, v9, vcc
	v_fma_f32 v12, -v10, v11, 1.0
	v_div_scale_f32 v5, vcc, 1.0, v2, 1.0
	v_fmac_f32_e32 v11, v12, v11
	v_mul_f32_e32 v12, v5, v11
	v_fma_f32 v13, -v10, v12, v5
	v_fmac_f32_e32 v12, v13, v11
	v_fma_f32 v5, -v10, v12, v5
	v_div_fmas_f32 v5, v5, v11, v12
	v_div_fixup_f32 v2, v5, v2, 1.0
	global_store_dword v[8:9], v2, off
	global_load_dword v2, v[6:7], off offset:12
	s_waitcnt vmcnt(0)
	v_mul_f32_e32 v5, 0xbfb8aa3b, v2
	v_fma_f32 v6, v2, s3, -v5
	v_rndne_f32_e32 v7, v5
	v_fmac_f32_e32 v6, 0xb2a5705f, v2
	v_sub_f32_e32 v5, v5, v7
	v_add_f32_e32 v5, v5, v6
	v_cvt_i32_f32_e32 v7, v7
	v_exp_f32_e32 v5, v5
	v_cmp_nlt_f32_e32 vcc, s6, v2
	v_ldexp_f32 v5, v5, v7
	v_cndmask_b32_e32 v5, 0, v5, vcc
	v_cmp_ngt_f32_e32 vcc, s7, v2
	v_cndmask_b32_e32 v2, v3, v5, vcc
	v_add_f32_e32 v2, 1.0, v2
	v_div_scale_f32 v5, s[0:1], v2, v2, 1.0
	v_rcp_f32_e32 v6, v5
	v_div_scale_f32 v7, vcc, 1.0, v2, 1.0
	v_fma_f32 v10, -v5, v6, 1.0
	v_fmac_f32_e32 v6, v10, v6
	v_mul_f32_e32 v10, v7, v6
	v_fma_f32 v11, -v5, v10, v7
	v_fmac_f32_e32 v10, v11, v6
	v_fma_f32 v5, -v5, v10, v7
	v_div_fmas_f32 v5, v5, v6, v10
	v_div_fixup_f32 v2, v5, v2, 1.0
	v_cmp_lt_f32_e32 vcc, v0, v1
	global_store_dword v[8:9], v2, off offset:4
	v_cndmask_b32_e32 v2, v0, v1, vcc
	s_cbranch_scc1 .LBB16_8
; %bb.5:
	v_sub_f32_e32 v5, v2, v2
	v_mul_f32_e32 v7, 0x3fb8aa3b, v5
	s_mov_b32 s11, 0x3fb8aa3b
	v_rndne_f32_e32 v8, v7
	v_sub_f32_e32 v9, v7, v8
	v_fma_f32 v7, v5, s11, -v7
	v_fmac_f32_e32 v7, 0x32a5705f, v5
	v_add_f32_e32 v7, v9, v7
	v_exp_f32_e32 v7, v7
	v_cvt_i32_f32_e32 v8, v8
	v_cndmask_b32_e64 v20, 0, 1, vcc
	v_mul_lo_u32 v6, v17, s2
	v_cmp_le_i32_e64 s[0:1], s9, v20
	v_cmp_gt_i32_e64 s[2:3], s10, v20
	s_mov_b32 s20, 0xc2ce8ed0
	s_and_b64 s[22:23], s[0:1], s[2:3]
	v_ldexp_f32 v7, v7, v8
	v_cmp_ngt_f32_e64 s[0:1], s20, v5
	s_mov_b32 s21, 0x42b17218
	s_load_dwordx4 s[4:7], s[4:5], 0x20
	v_cndmask_b32_e64 v7, 0, v7, s[0:1]
	v_cmp_nlt_f32_e64 s[0:1], s21, v5
	v_ashrrev_i32_e32 v5, 31, v4
	v_lshlrev_b64 v[10:11], 2, v[4:5]
	v_cndmask_b32_e64 v16, v3, v7, s[0:1]
	v_mov_b32_e32 v5, s13
	v_add_co_u32_e64 v12, s[0:1], s12, v10
	v_addc_co_u32_e64 v13, s[2:3], v5, v11, s[0:1]
	v_ashrrev_i32_e32 v7, 31, v6
	v_subrev_u32_e32 v5, s9, v20
	s_and_b64 s[2:3], s[14:15], s[22:23]
	v_lshlrev_b64 v[8:9], 2, v[6:7]
	v_mul_lo_u32 v18, v17, s8
	v_cndmask_b32_e64 v5, 2, v5, s[2:3]
	s_waitcnt lgkmcnt(0)
	v_mov_b32_e32 v7, s5
	v_add_co_u32_e64 v6, s[2:3], s4, v8
	v_addc_co_u32_e64 v7, s[2:3], v7, v9, s[2:3]
	v_ashrrev_i32_e32 v19, 31, v18
	global_store_dword v[6:7], v5, off
	v_lshlrev_b64 v[6:7], 2, v[18:19]
	v_mov_b32_e32 v5, s7
	v_add_co_u32_e64 v18, s[2:3], s6, v6
	v_addc_co_u32_e64 v19, s[2:3], v5, v7, s[2:3]
	v_mov_b32_e32 v5, 0xff800000
	v_cndmask_b32_e32 v0, v5, v0, vcc
	v_cmp_ne_u32_e32 vcc, 1, v20
	s_cmp_eq_u32 s8, 1
	v_cndmask_b32_e32 v1, v5, v1, vcc
	global_store_dword v[12:13], v16, off
	global_store_dword v[18:19], v17, off
	s_cbranch_scc1 .LBB16_8
; %bb.6:
	v_mov_b32_e32 v10, s7
	v_add_co_u32_e32 v6, vcc, s6, v6
	v_addc_co_u32_e32 v7, vcc, v7, v10, vcc
	v_add_co_u32_e32 v6, vcc, 4, v6
	v_addc_co_u32_e32 v7, vcc, 0, v7, vcc
	v_mov_b32_e32 v10, s5
	v_add_co_u32_e32 v8, vcc, s4, v8
	v_addc_co_u32_e32 v9, vcc, v9, v10, vcc
	v_add_co_u32_e32 v8, vcc, 4, v8
	v_mov_b32_e32 v10, s13
	v_addc_co_u32_e32 v9, vcc, 0, v9, vcc
	v_addc_co_u32_e64 v11, vcc, v11, v10, s[0:1]
	v_add_co_u32_e32 v10, vcc, 4, v12
	s_add_i32 s19, s19, s18
	v_addc_co_u32_e32 v11, vcc, 0, v11, vcc
	s_add_i32 s2, s8, -1
	v_add3_u32 v12, s19, v15, v14
	v_mov_b32_e32 v13, 0x7f800000
.LBB16_7:                               ; =>This Inner Loop Header: Depth=1
	v_cmp_gt_f32_e32 vcc, v1, v0
	v_cndmask_b32_e32 v14, v0, v1, vcc
	v_cndmask_b32_e64 v15, 0, 1, vcc
	v_sub_f32_e32 v14, v14, v2
	v_cndmask_b32_e32 v1, v1, v5, vcc
	v_cndmask_b32_e32 v0, v5, v0, vcc
	v_cmp_le_i32_e32 vcc, s9, v15
	v_cmp_gt_i32_e64 s[0:1], s10, v15
	v_mul_f32_e32 v17, 0x3fb8aa3b, v14
	s_and_b64 s[0:1], vcc, s[0:1]
	v_fma_f32 v18, v14, s11, -v17
	v_rndne_f32_e32 v19, v17
	v_subrev_u32_e32 v15, s9, v15
	v_fmac_f32_e32 v18, 0x32a5705f, v14
	v_sub_f32_e32 v17, v17, v19
	s_and_b64 vcc, s[14:15], s[0:1]
	v_cndmask_b32_e32 v15, 2, v15, vcc
	v_add_f32_e32 v17, v17, v18
	v_cvt_i32_f32_e32 v19, v19
	global_store_dword v[8:9], v15, off
	global_store_dword v[6:7], v12, off
	v_add_co_u32_e32 v6, vcc, 4, v6
	v_exp_f32_e32 v15, v17
	v_addc_co_u32_e32 v7, vcc, 0, v7, vcc
	v_add_co_u32_e32 v8, vcc, 4, v8
	v_addc_co_u32_e32 v9, vcc, 0, v9, vcc
	v_ldexp_f32 v15, v15, v19
	v_cmp_ngt_f32_e32 vcc, s20, v14
	v_cndmask_b32_e32 v15, 0, v15, vcc
	v_cmp_nlt_f32_e32 vcc, s21, v14
	v_cndmask_b32_e32 v14, v13, v15, vcc
	s_add_i32 s2, s2, -1
	global_store_dword v[10:11], v14, off
	v_add_co_u32_e32 v10, vcc, 4, v10
	v_add_u32_e32 v12, s18, v12
	s_cmp_eq_u32 s2, 0
	v_add_f32_e32 v16, v16, v14
	v_addc_co_u32_e32 v11, vcc, 0, v11, vcc
	s_cbranch_scc0 .LBB16_7
.LBB16_8:
	v_pk_add_f32 v[0:1], v[0:1], v[2:3] op_sel_hi:[1,0] neg_lo:[0,1] neg_hi:[0,1]
	s_mov_b32 s0, 0x3fb8aa3b
	v_mul_f32_e32 v2, 0x3fb8aa3b, v1
	v_fma_f32 v5, v1, s0, -v2
	v_rndne_f32_e32 v6, v2
	v_fmac_f32_e32 v5, 0x32a5705f, v1
	v_sub_f32_e32 v2, v2, v6
	v_add_f32_e32 v2, v2, v5
	v_exp_f32_e32 v2, v2
	v_cvt_i32_f32_e32 v5, v6
	s_mov_b32 s1, 0xc2ce8ed0
	v_cmp_ngt_f32_e32 vcc, s1, v1
	v_ldexp_f32 v2, v2, v5
	v_mul_f32_e32 v5, 0x3fb8aa3b, v0
	v_fma_f32 v6, v0, s0, -v5
	v_rndne_f32_e32 v7, v5
	v_fmac_f32_e32 v6, 0x32a5705f, v0
	v_sub_f32_e32 v5, v5, v7
	v_add_f32_e32 v5, v5, v6
	v_exp_f32_e32 v5, v5
	v_cvt_i32_f32_e32 v6, v7
	s_mov_b32 s0, 0x42b17218
	v_cndmask_b32_e32 v2, 0, v2, vcc
	v_cmp_nlt_f32_e32 vcc, s0, v1
	v_cndmask_b32_e32 v1, v3, v2, vcc
	v_ldexp_f32 v2, v5, v6
	v_cmp_ngt_f32_e32 vcc, s1, v0
	v_cndmask_b32_e32 v2, 0, v2, vcc
	v_cmp_nlt_f32_e32 vcc, s0, v0
	v_cndmask_b32_e32 v0, v3, v2, vcc
	v_add_f32_e32 v0, v0, v1
	v_add_f32_e32 v0, v16, v0
	v_cmp_neq_f32_e32 vcc, 0, v0
	s_and_b64 exec, exec, vcc
	s_cbranch_execz .LBB16_19
; %bb.9:
	s_andn2_b64 vcc, exec, s[16:17]
	s_cbranch_vccnz .LBB16_19
; %bb.10:
	v_div_scale_f32 v1, s[0:1], v0, v0, 1.0
	v_rcp_f32_e32 v2, v1
	v_div_scale_f32 v3, vcc, 1.0, v0, 1.0
	s_cmp_gt_u32 s8, 3
	v_fma_f32 v5, -v1, v2, 1.0
	v_fmac_f32_e32 v2, v5, v2
	v_mul_f32_e32 v5, v3, v2
	v_fma_f32 v6, -v1, v5, v3
	v_fmac_f32_e32 v5, v6, v2
	v_fma_f32 v1, -v1, v5, v3
	v_div_fmas_f32 v1, v1, v2, v5
	v_div_fixup_f32 v0, v1, v0, 1.0
	v_ashrrev_i32_e32 v5, 31, v4
	s_cbranch_scc0 .LBB16_14
; %bb.11:
	v_lshlrev_b64 v[2:3], 2, v[4:5]
	v_mov_b32_e32 v6, s13
	v_add_co_u32_e32 v2, vcc, s12, v2
	v_addc_co_u32_e32 v3, vcc, v3, v6, vcc
	s_and_b32 s4, s8, 0x7ffffffc
	v_add_co_u32_e32 v2, vcc, 8, v2
	v_mov_b32_e32 v1, v0
	v_addc_co_u32_e32 v3, vcc, 0, v3, vcc
	s_mov_b32 s0, s4
.LBB16_12:                              ; =>This Inner Loop Header: Depth=1
	global_load_dwordx4 v[6:9], v[2:3], off offset:-8
	s_add_i32 s0, s0, -4
	s_cmp_lg_u32 s0, 0
	s_waitcnt vmcnt(0)
	v_pk_mul_f32 v[6:7], v[0:1], v[6:7]
	v_pk_mul_f32 v[8:9], v[0:1], v[8:9]
	global_store_dwordx4 v[2:3], v[6:9], off offset:-8
	v_add_co_u32_e32 v2, vcc, 16, v2
	v_addc_co_u32_e32 v3, vcc, 0, v3, vcc
	s_cbranch_scc1 .LBB16_12
; %bb.13:
	s_cmp_lg_u32 s4, s8
	s_cselect_b64 s[0:1], -1, 0
	s_branch .LBB16_16
.LBB16_14:
	s_mov_b64 s[0:1], 0
                                        ; implicit-def: $sgpr4
	s_cbranch_execz .LBB16_16
; %bb.15:
	s_mov_b64 s[0:1], -1
	s_mov_b32 s4, 0
.LBB16_16:
	s_andn2_b64 vcc, exec, s[0:1]
	s_cbranch_vccnz .LBB16_19
; %bb.17:
	v_add_co_u32_e32 v2, vcc, s4, v4
	v_addc_co_u32_e32 v3, vcc, 0, v5, vcc
	v_lshlrev_b64 v[2:3], 2, v[2:3]
	v_mov_b32_e32 v1, s13
	v_add_co_u32_e32 v2, vcc, s12, v2
	s_sub_i32 s0, s8, s4
	v_addc_co_u32_e32 v3, vcc, v1, v3, vcc
.LBB16_18:                              ; =>This Inner Loop Header: Depth=1
	global_load_dword v1, v[2:3], off
	s_add_i32 s0, s0, -1
	s_cmp_lg_u32 s0, 0
	s_waitcnt vmcnt(0)
	v_mul_f32_e32 v1, v0, v1
	global_store_dword v[2:3], v1, off
	v_add_co_u32_e32 v2, vcc, 4, v2
	v_addc_co_u32_e32 v3, vcc, 0, v3, vcc
	s_cbranch_scc1 .LBB16_18
.LBB16_19:
	s_endpgm
	.section	.rodata,"a",@progbits
	.p2align	6, 0x0
	.amdhsa_kernel _ZN4vllm3moe17topkGatingSoftmaxIfLi2ELi2ELi8ELi8ELb0ELi2ELNS0_23SharedExpertScoringFuncE1EEEvPKT_PKbPfiPiS9_iiiiii
		.amdhsa_group_segment_fixed_size 0
		.amdhsa_private_segment_fixed_size 0
		.amdhsa_kernarg_size 72
		.amdhsa_user_sgpr_count 6
		.amdhsa_user_sgpr_private_segment_buffer 1
		.amdhsa_user_sgpr_dispatch_ptr 0
		.amdhsa_user_sgpr_queue_ptr 0
		.amdhsa_user_sgpr_kernarg_segment_ptr 1
		.amdhsa_user_sgpr_dispatch_id 0
		.amdhsa_user_sgpr_flat_scratch_init 0
		.amdhsa_user_sgpr_kernarg_preload_length 0
		.amdhsa_user_sgpr_kernarg_preload_offset 0
		.amdhsa_user_sgpr_private_segment_size 0
		.amdhsa_uses_dynamic_stack 0
		.amdhsa_system_sgpr_private_segment_wavefront_offset 0
		.amdhsa_system_sgpr_workgroup_id_x 1
		.amdhsa_system_sgpr_workgroup_id_y 0
		.amdhsa_system_sgpr_workgroup_id_z 0
		.amdhsa_system_sgpr_workgroup_info 0
		.amdhsa_system_vgpr_workitem_id 1
		.amdhsa_next_free_vgpr 21
		.amdhsa_next_free_sgpr 24
		.amdhsa_accum_offset 24
		.amdhsa_reserve_vcc 1
		.amdhsa_reserve_flat_scratch 0
		.amdhsa_float_round_mode_32 0
		.amdhsa_float_round_mode_16_64 0
		.amdhsa_float_denorm_mode_32 3
		.amdhsa_float_denorm_mode_16_64 3
		.amdhsa_dx10_clamp 1
		.amdhsa_ieee_mode 1
		.amdhsa_fp16_overflow 0
		.amdhsa_tg_split 0
		.amdhsa_exception_fp_ieee_invalid_op 0
		.amdhsa_exception_fp_denorm_src 0
		.amdhsa_exception_fp_ieee_div_zero 0
		.amdhsa_exception_fp_ieee_overflow 0
		.amdhsa_exception_fp_ieee_underflow 0
		.amdhsa_exception_fp_ieee_inexact 0
		.amdhsa_exception_int_div_zero 0
	.end_amdhsa_kernel
	.section	.text._ZN4vllm3moe17topkGatingSoftmaxIfLi2ELi2ELi8ELi8ELb0ELi2ELNS0_23SharedExpertScoringFuncE1EEEvPKT_PKbPfiPiS9_iiiiii,"axG",@progbits,_ZN4vllm3moe17topkGatingSoftmaxIfLi2ELi2ELi8ELi8ELb0ELi2ELNS0_23SharedExpertScoringFuncE1EEEvPKT_PKbPfiPiS9_iiiiii,comdat
.Lfunc_end16:
	.size	_ZN4vllm3moe17topkGatingSoftmaxIfLi2ELi2ELi8ELi8ELb0ELi2ELNS0_23SharedExpertScoringFuncE1EEEvPKT_PKbPfiPiS9_iiiiii, .Lfunc_end16-_ZN4vllm3moe17topkGatingSoftmaxIfLi2ELi2ELi8ELi8ELb0ELi2ELNS0_23SharedExpertScoringFuncE1EEEvPKT_PKbPfiPiS9_iiiiii
                                        ; -- End function
	.section	.AMDGPU.csdata,"",@progbits
; Kernel info:
; codeLenInByte = 1716
; NumSgprs: 28
; NumVgprs: 21
; NumAgprs: 0
; TotalNumVgprs: 21
; ScratchSize: 0
; MemoryBound: 0
; FloatMode: 240
; IeeeMode: 1
; LDSByteSize: 0 bytes/workgroup (compile time only)
; SGPRBlocks: 3
; VGPRBlocks: 2
; NumSGPRsForWavesPerEU: 28
; NumVGPRsForWavesPerEU: 21
; AccumOffset: 24
; Occupancy: 8
; WaveLimiterHint : 0
; COMPUTE_PGM_RSRC2:SCRATCH_EN: 0
; COMPUTE_PGM_RSRC2:USER_SGPR: 6
; COMPUTE_PGM_RSRC2:TRAP_HANDLER: 0
; COMPUTE_PGM_RSRC2:TGID_X_EN: 1
; COMPUTE_PGM_RSRC2:TGID_Y_EN: 0
; COMPUTE_PGM_RSRC2:TGID_Z_EN: 0
; COMPUTE_PGM_RSRC2:TIDIG_COMP_CNT: 1
; COMPUTE_PGM_RSRC3_GFX90A:ACCUM_OFFSET: 5
; COMPUTE_PGM_RSRC3_GFX90A:TG_SPLIT: 0
	.section	.text._ZN4vllm3moe17topkGatingSoftmaxIfLi2ELi2ELi8ELi8ELb1ELi4ELNS0_23SharedExpertScoringFuncE1EEEvPKT_PKbPfiPiS9_iiiiii,"axG",@progbits,_ZN4vllm3moe17topkGatingSoftmaxIfLi2ELi2ELi8ELi8ELb1ELi4ELNS0_23SharedExpertScoringFuncE1EEEvPKT_PKbPfiPiS9_iiiiii,comdat
	.protected	_ZN4vllm3moe17topkGatingSoftmaxIfLi2ELi2ELi8ELi8ELb1ELi4ELNS0_23SharedExpertScoringFuncE1EEEvPKT_PKbPfiPiS9_iiiiii ; -- Begin function _ZN4vllm3moe17topkGatingSoftmaxIfLi2ELi2ELi8ELi8ELb1ELi4ELNS0_23SharedExpertScoringFuncE1EEEvPKT_PKbPfiPiS9_iiiiii
	.globl	_ZN4vllm3moe17topkGatingSoftmaxIfLi2ELi2ELi8ELi8ELb1ELi4ELNS0_23SharedExpertScoringFuncE1EEEvPKT_PKbPfiPiS9_iiiiii
	.p2align	8
	.type	_ZN4vllm3moe17topkGatingSoftmaxIfLi2ELi2ELi8ELi8ELb1ELi4ELNS0_23SharedExpertScoringFuncE1EEEvPKT_PKbPfiPiS9_iiiiii,@function
_ZN4vllm3moe17topkGatingSoftmaxIfLi2ELi2ELi8ELi8ELb1ELi4ELNS0_23SharedExpertScoringFuncE1EEEvPKT_PKbPfiPiS9_iiiiii: ; @_ZN4vllm3moe17topkGatingSoftmaxIfLi2ELi2ELi8ELi8ELb1ELi4ELNS0_23SharedExpertScoringFuncE1EEEvPKT_PKbPfiPiS9_iiiiii
; %bb.0:
	s_load_dword s18, s[4:5], 0x18
	v_bfe_u32 v1, v0, 10, 10
	s_lshl_b32 s19, s6, 9
	v_lshlrev_b32_e32 v12, 6, v1
	v_and_b32_e32 v13, 0x3ff, v0
	v_add3_u32 v14, v12, v13, s19
	s_waitcnt lgkmcnt(0)
	v_cmp_gt_i32_e32 vcc, s18, v14
	s_and_saveexec_b64 s[0:1], vcc
	s_cbranch_execz .LBB17_19
; %bb.1:
	s_load_dwordx4 s[0:3], s[4:5], 0x0
	s_load_dwordx2 s[12:13], s[4:5], 0x10
	s_waitcnt lgkmcnt(0)
	s_cmp_eq_u64 s[2:3], 0
	s_cbranch_scc1 .LBB17_3
; %bb.2:
	v_ashrrev_i32_e32 v1, 31, v14
	v_mov_b32_e32 v2, s3
	v_add_co_u32_e32 v0, vcc, s2, v14
	v_addc_co_u32_e32 v1, vcc, v2, v1, vcc
	global_load_ubyte v0, v[0:1], off
	s_waitcnt vmcnt(0)
	v_and_b32_e32 v0, 1, v0
	v_cmp_eq_u32_e32 vcc, 1, v0
	s_xor_b64 s[2:3], vcc, -1
	s_orn2_b64 s[14:15], s[2:3], exec
	s_branch .LBB17_4
.LBB17_3:
	s_mov_b64 s[14:15], -1
.LBB17_4:
	s_load_dwordx2 s[2:3], s[4:5], 0x40
	s_load_dwordx4 s[8:11], s[4:5], 0x30
	v_mov_b32_e32 v2, s1
	s_mov_b32 s6, 0x42ce8ed0
	s_mov_b32 s7, 0xc2b17218
	s_waitcnt lgkmcnt(0)
	v_mul_lo_u32 v0, v14, s3
	v_ashrrev_i32_e32 v1, 31, v0
	v_lshlrev_b64 v[0:1], 2, v[0:1]
	v_add_co_u32_e32 v6, vcc, s0, v0
	v_addc_co_u32_e32 v7, vcc, v2, v1, vcc
	global_load_dwordx3 v[0:2], v[6:7], off
	s_mov_b32 s3, 0xbfb8aa3b
	v_mov_b32_e32 v3, 0x7f800000
	v_mul_lo_u32 v4, v14, s11
	v_mov_b32_e32 v5, s13
	s_cmp_gt_i32 s8, 0
	s_cselect_b64 s[16:17], -1, 0
	s_cmp_lt_i32 s8, 1
	s_waitcnt vmcnt(0)
	v_mul_f32_e32 v8, 0xbfb8aa3b, v2
	v_fma_f32 v9, v2, s3, -v8
	v_rndne_f32_e32 v10, v8
	v_fmac_f32_e32 v9, 0xb2a5705f, v2
	v_sub_f32_e32 v8, v8, v10
	v_add_f32_e32 v8, v8, v9
	v_cvt_i32_f32_e32 v10, v10
	v_exp_f32_e32 v11, v8
	v_cmp_nlt_f32_e32 vcc, s6, v2
	v_add_u32_e32 v8, s8, v4
	v_ashrrev_i32_e32 v9, 31, v8
	v_ldexp_f32 v10, v11, v10
	v_cndmask_b32_e32 v10, 0, v10, vcc
	v_cmp_ngt_f32_e32 vcc, s7, v2
	v_cndmask_b32_e32 v2, v3, v10, vcc
	v_add_f32_e32 v2, 1.0, v2
	v_div_scale_f32 v10, s[0:1], v2, v2, 1.0
	v_rcp_f32_e32 v11, v10
	v_lshlrev_b64 v[8:9], 2, v[8:9]
	v_add_co_u32_e32 v8, vcc, s12, v8
	v_addc_co_u32_e32 v9, vcc, v5, v9, vcc
	v_fma_f32 v15, -v10, v11, 1.0
	v_div_scale_f32 v5, vcc, 1.0, v2, 1.0
	v_fmac_f32_e32 v11, v15, v11
	v_mul_f32_e32 v15, v5, v11
	v_fma_f32 v16, -v10, v15, v5
	v_fmac_f32_e32 v15, v16, v11
	v_fma_f32 v5, -v10, v15, v5
	v_div_fmas_f32 v5, v5, v11, v15
	v_div_fixup_f32 v2, v5, v2, 1.0
	global_store_dword v[8:9], v2, off
	global_load_dword v2, v[6:7], off offset:12
	s_waitcnt vmcnt(0)
	v_mul_f32_e32 v5, 0xbfb8aa3b, v2
	v_fma_f32 v10, v2, s3, -v5
	v_rndne_f32_e32 v11, v5
	v_fmac_f32_e32 v10, 0xb2a5705f, v2
	v_sub_f32_e32 v5, v5, v11
	v_add_f32_e32 v5, v5, v10
	v_cvt_i32_f32_e32 v11, v11
	v_exp_f32_e32 v5, v5
	v_cmp_nlt_f32_e32 vcc, s6, v2
	v_ldexp_f32 v5, v5, v11
	v_cndmask_b32_e32 v5, 0, v5, vcc
	v_cmp_ngt_f32_e32 vcc, s7, v2
	v_cndmask_b32_e32 v2, v3, v5, vcc
	v_add_f32_e32 v2, 1.0, v2
	v_div_scale_f32 v5, s[0:1], v2, v2, 1.0
	v_rcp_f32_e32 v10, v5
	v_div_scale_f32 v11, vcc, 1.0, v2, 1.0
	v_fma_f32 v15, -v5, v10, 1.0
	v_fmac_f32_e32 v10, v15, v10
	v_mul_f32_e32 v15, v11, v10
	v_fma_f32 v16, -v5, v15, v11
	v_fmac_f32_e32 v15, v16, v10
	v_fma_f32 v5, -v5, v15, v11
	v_div_fmas_f32 v5, v5, v10, v15
	v_div_fixup_f32 v2, v5, v2, 1.0
	global_store_dword v[8:9], v2, off offset:4
	global_load_dword v2, v[6:7], off offset:16
	s_waitcnt vmcnt(0)
	v_mul_f32_e32 v5, 0xbfb8aa3b, v2
	v_fma_f32 v10, v2, s3, -v5
	v_rndne_f32_e32 v11, v5
	v_fmac_f32_e32 v10, 0xb2a5705f, v2
	v_sub_f32_e32 v5, v5, v11
	v_add_f32_e32 v5, v5, v10
	v_cvt_i32_f32_e32 v11, v11
	v_exp_f32_e32 v5, v5
	v_cmp_nlt_f32_e32 vcc, s6, v2
	v_ldexp_f32 v5, v5, v11
	v_cndmask_b32_e32 v5, 0, v5, vcc
	v_cmp_ngt_f32_e32 vcc, s7, v2
	v_cndmask_b32_e32 v2, v3, v5, vcc
	v_add_f32_e32 v2, 1.0, v2
	v_div_scale_f32 v5, s[0:1], v2, v2, 1.0
	v_rcp_f32_e32 v10, v5
	v_div_scale_f32 v11, vcc, 1.0, v2, 1.0
	v_fma_f32 v15, -v5, v10, 1.0
	v_fmac_f32_e32 v10, v15, v10
	v_mul_f32_e32 v15, v11, v10
	v_fma_f32 v16, -v5, v15, v11
	v_fmac_f32_e32 v15, v16, v10
	v_fma_f32 v5, -v5, v15, v11
	v_div_fmas_f32 v5, v5, v10, v15
	v_div_fixup_f32 v2, v5, v2, 1.0
	global_store_dword v[8:9], v2, off offset:8
	global_load_dword v2, v[6:7], off offset:20
	v_mov_b32_e32 v15, 0
	s_waitcnt vmcnt(0)
	v_mul_f32_e32 v5, 0xbfb8aa3b, v2
	v_fma_f32 v6, v2, s3, -v5
	v_rndne_f32_e32 v7, v5
	v_fmac_f32_e32 v6, 0xb2a5705f, v2
	v_sub_f32_e32 v5, v5, v7
	v_add_f32_e32 v5, v5, v6
	v_cvt_i32_f32_e32 v7, v7
	v_exp_f32_e32 v5, v5
	v_cmp_nlt_f32_e32 vcc, s6, v2
	v_ldexp_f32 v5, v5, v7
	v_cndmask_b32_e32 v5, 0, v5, vcc
	v_cmp_ngt_f32_e32 vcc, s7, v2
	v_cndmask_b32_e32 v2, v3, v5, vcc
	v_add_f32_e32 v2, 1.0, v2
	v_div_scale_f32 v5, s[0:1], v2, v2, 1.0
	v_rcp_f32_e32 v6, v5
	v_div_scale_f32 v7, vcc, 1.0, v2, 1.0
	v_fma_f32 v10, -v5, v6, 1.0
	v_fmac_f32_e32 v6, v10, v6
	v_mul_f32_e32 v10, v7, v6
	v_fma_f32 v11, -v5, v10, v7
	v_fmac_f32_e32 v10, v11, v6
	v_fma_f32 v5, -v5, v10, v7
	v_div_fmas_f32 v5, v5, v6, v10
	v_div_fixup_f32 v2, v5, v2, 1.0
	global_store_dword v[8:9], v2, off offset:12
	s_cbranch_scc1 .LBB17_8
; %bb.5:
	v_cmp_lt_f32_e32 vcc, v0, v1
	v_cndmask_b32_e32 v16, v0, v1, vcc
	v_sub_f32_e32 v5, v16, v16
	s_mov_b32 s11, 0x3fb8aa3b
	v_mul_f32_e32 v6, 0x3fb8aa3b, v5
	v_fma_f32 v7, v5, s11, -v6
	v_rndne_f32_e32 v8, v6
	v_fmac_f32_e32 v7, 0x32a5705f, v5
	v_sub_f32_e32 v6, v6, v8
	v_add_f32_e32 v6, v6, v7
	v_exp_f32_e32 v6, v6
	v_cvt_i32_f32_e32 v7, v8
	v_cndmask_b32_e64 v17, 0, 1, vcc
	v_mul_lo_u32 v2, v14, s2
	v_cmp_le_i32_e64 s[0:1], s9, v17
	v_cmp_gt_i32_e64 s[2:3], s10, v17
	s_mov_b32 s20, 0xc2ce8ed0
	s_and_b64 s[22:23], s[0:1], s[2:3]
	v_ldexp_f32 v6, v6, v7
	v_cmp_ngt_f32_e64 s[0:1], s20, v5
	s_mov_b32 s21, 0x42b17218
	v_cndmask_b32_e64 v6, 0, v6, s[0:1]
	v_cmp_nlt_f32_e64 s[0:1], s21, v5
	v_ashrrev_i32_e32 v5, 31, v4
	v_lshlrev_b64 v[8:9], 2, v[4:5]
	s_load_dwordx4 s[4:7], s[4:5], 0x20
	v_cndmask_b32_e64 v15, v3, v6, s[0:1]
	v_mov_b32_e32 v3, s13
	v_add_co_u32_e64 v10, s[0:1], s12, v8
	v_addc_co_u32_e64 v11, s[2:3], v3, v9, s[0:1]
	v_subrev_u32_e32 v3, s9, v17
	s_and_b64 s[2:3], s[14:15], s[22:23]
	v_cndmask_b32_e64 v5, 2, v3, s[2:3]
	v_ashrrev_i32_e32 v3, 31, v2
	v_lshlrev_b64 v[6:7], 2, v[2:3]
	v_mul_lo_u32 v18, v14, s8
	s_waitcnt lgkmcnt(0)
	v_mov_b32_e32 v3, s5
	v_add_co_u32_e64 v2, s[2:3], s4, v6
	v_addc_co_u32_e64 v3, s[2:3], v3, v7, s[2:3]
	v_ashrrev_i32_e32 v19, 31, v18
	global_store_dword v[2:3], v5, off
	v_lshlrev_b64 v[2:3], 2, v[18:19]
	v_mov_b32_e32 v5, s7
	v_add_co_u32_e64 v18, s[2:3], s6, v2
	v_addc_co_u32_e64 v19, s[2:3], v5, v3, s[2:3]
	s_cmp_eq_u32 s8, 1
	global_store_dword v[10:11], v15, off
	global_store_dword v[18:19], v14, off
	s_cbranch_scc1 .LBB17_8
; %bb.6:
	v_mov_b32_e32 v5, 0xff800000
	v_cndmask_b32_e32 v0, v5, v0, vcc
	v_cmp_ne_u32_e32 vcc, 1, v17
	v_cndmask_b32_e32 v1, v5, v1, vcc
	v_mov_b32_e32 v8, s7
	v_add_co_u32_e32 v2, vcc, s6, v2
	v_addc_co_u32_e32 v3, vcc, v3, v8, vcc
	v_add_co_u32_e32 v2, vcc, 4, v2
	v_addc_co_u32_e32 v3, vcc, 0, v3, vcc
	v_mov_b32_e32 v8, s5
	v_add_co_u32_e32 v6, vcc, s4, v6
	v_addc_co_u32_e32 v7, vcc, v7, v8, vcc
	v_add_co_u32_e32 v6, vcc, 4, v6
	v_mov_b32_e32 v8, s13
	v_addc_co_u32_e32 v7, vcc, 0, v7, vcc
	v_addc_co_u32_e64 v9, vcc, v9, v8, s[0:1]
	v_add_co_u32_e32 v8, vcc, 4, v10
	s_add_i32 s19, s19, s18
	v_addc_co_u32_e32 v9, vcc, 0, v9, vcc
	s_add_i32 s2, s8, -1
	v_add3_u32 v10, s19, v13, v12
	v_mov_b32_e32 v11, 0x7f800000
.LBB17_7:                               ; =>This Inner Loop Header: Depth=1
	v_cmp_gt_f32_e32 vcc, v1, v0
	v_cndmask_b32_e32 v12, v0, v1, vcc
	v_cndmask_b32_e64 v13, 0, 1, vcc
	v_sub_f32_e32 v12, v12, v16
	v_cndmask_b32_e32 v1, v1, v5, vcc
	v_cndmask_b32_e32 v0, v5, v0, vcc
	v_cmp_le_i32_e32 vcc, s9, v13
	v_cmp_gt_i32_e64 s[0:1], s10, v13
	v_mul_f32_e32 v14, 0x3fb8aa3b, v12
	s_and_b64 s[0:1], vcc, s[0:1]
	v_fma_f32 v17, v12, s11, -v14
	v_rndne_f32_e32 v18, v14
	v_subrev_u32_e32 v13, s9, v13
	v_fmac_f32_e32 v17, 0x32a5705f, v12
	v_sub_f32_e32 v14, v14, v18
	s_and_b64 vcc, s[14:15], s[0:1]
	v_cndmask_b32_e32 v13, 2, v13, vcc
	v_add_f32_e32 v14, v14, v17
	v_cvt_i32_f32_e32 v18, v18
	global_store_dword v[6:7], v13, off
	global_store_dword v[2:3], v10, off
	v_add_co_u32_e32 v2, vcc, 4, v2
	v_exp_f32_e32 v13, v14
	v_addc_co_u32_e32 v3, vcc, 0, v3, vcc
	v_add_co_u32_e32 v6, vcc, 4, v6
	v_addc_co_u32_e32 v7, vcc, 0, v7, vcc
	v_ldexp_f32 v13, v13, v18
	v_cmp_ngt_f32_e32 vcc, s20, v12
	v_cndmask_b32_e32 v13, 0, v13, vcc
	v_cmp_nlt_f32_e32 vcc, s21, v12
	v_cndmask_b32_e32 v12, v11, v13, vcc
	s_add_i32 s2, s2, -1
	global_store_dword v[8:9], v12, off
	v_add_co_u32_e32 v8, vcc, 4, v8
	v_add_u32_e32 v10, s18, v10
	s_cmp_eq_u32 s2, 0
	v_add_f32_e32 v15, v15, v12
	v_addc_co_u32_e32 v9, vcc, 0, v9, vcc
	s_cbranch_scc0 .LBB17_7
.LBB17_8:
	v_cmp_neq_f32_e32 vcc, 0, v15
	s_and_b64 exec, exec, vcc
	s_cbranch_execz .LBB17_19
; %bb.9:
	s_andn2_b64 vcc, exec, s[16:17]
	s_cbranch_vccnz .LBB17_19
; %bb.10:
	v_div_scale_f32 v0, s[0:1], v15, v15, 1.0
	v_rcp_f32_e32 v1, v0
	v_div_scale_f32 v2, vcc, 1.0, v15, 1.0
	s_cmp_gt_u32 s8, 3
	v_fma_f32 v3, -v0, v1, 1.0
	v_fmac_f32_e32 v1, v3, v1
	v_mul_f32_e32 v3, v2, v1
	v_fma_f32 v5, -v0, v3, v2
	v_fmac_f32_e32 v3, v5, v1
	v_fma_f32 v0, -v0, v3, v2
	v_div_fmas_f32 v0, v0, v1, v3
	v_div_fixup_f32 v0, v0, v15, 1.0
	v_ashrrev_i32_e32 v5, 31, v4
	s_cbranch_scc0 .LBB17_14
; %bb.11:
	v_lshlrev_b64 v[2:3], 2, v[4:5]
	v_mov_b32_e32 v6, s13
	v_add_co_u32_e32 v2, vcc, s12, v2
	v_addc_co_u32_e32 v3, vcc, v3, v6, vcc
	s_and_b32 s4, s8, 0x7ffffffc
	v_add_co_u32_e32 v2, vcc, 8, v2
	v_mov_b32_e32 v1, v0
	v_addc_co_u32_e32 v3, vcc, 0, v3, vcc
	s_mov_b32 s0, s4
.LBB17_12:                              ; =>This Inner Loop Header: Depth=1
	global_load_dwordx4 v[6:9], v[2:3], off offset:-8
	s_add_i32 s0, s0, -4
	s_cmp_lg_u32 s0, 0
	s_waitcnt vmcnt(0)
	v_pk_mul_f32 v[6:7], v[0:1], v[6:7]
	v_pk_mul_f32 v[8:9], v[0:1], v[8:9]
	global_store_dwordx4 v[2:3], v[6:9], off offset:-8
	v_add_co_u32_e32 v2, vcc, 16, v2
	v_addc_co_u32_e32 v3, vcc, 0, v3, vcc
	s_cbranch_scc1 .LBB17_12
; %bb.13:
	s_cmp_lg_u32 s4, s8
	s_cselect_b64 s[0:1], -1, 0
	s_branch .LBB17_16
.LBB17_14:
	s_mov_b64 s[0:1], 0
                                        ; implicit-def: $sgpr4
	s_cbranch_execz .LBB17_16
; %bb.15:
	s_mov_b64 s[0:1], -1
	s_mov_b32 s4, 0
.LBB17_16:
	s_andn2_b64 vcc, exec, s[0:1]
	s_cbranch_vccnz .LBB17_19
; %bb.17:
	v_add_co_u32_e32 v2, vcc, s4, v4
	v_addc_co_u32_e32 v3, vcc, 0, v5, vcc
	v_lshlrev_b64 v[2:3], 2, v[2:3]
	v_mov_b32_e32 v1, s13
	v_add_co_u32_e32 v2, vcc, s12, v2
	s_sub_i32 s0, s8, s4
	v_addc_co_u32_e32 v3, vcc, v1, v3, vcc
.LBB17_18:                              ; =>This Inner Loop Header: Depth=1
	global_load_dword v1, v[2:3], off
	s_add_i32 s0, s0, -1
	s_cmp_lg_u32 s0, 0
	s_waitcnt vmcnt(0)
	v_mul_f32_e32 v1, v0, v1
	global_store_dword v[2:3], v1, off
	v_add_co_u32_e32 v2, vcc, 4, v2
	v_addc_co_u32_e32 v3, vcc, 0, v3, vcc
	s_cbranch_scc1 .LBB17_18
.LBB17_19:
	s_endpgm
	.section	.rodata,"a",@progbits
	.p2align	6, 0x0
	.amdhsa_kernel _ZN4vllm3moe17topkGatingSoftmaxIfLi2ELi2ELi8ELi8ELb1ELi4ELNS0_23SharedExpertScoringFuncE1EEEvPKT_PKbPfiPiS9_iiiiii
		.amdhsa_group_segment_fixed_size 0
		.amdhsa_private_segment_fixed_size 0
		.amdhsa_kernarg_size 72
		.amdhsa_user_sgpr_count 6
		.amdhsa_user_sgpr_private_segment_buffer 1
		.amdhsa_user_sgpr_dispatch_ptr 0
		.amdhsa_user_sgpr_queue_ptr 0
		.amdhsa_user_sgpr_kernarg_segment_ptr 1
		.amdhsa_user_sgpr_dispatch_id 0
		.amdhsa_user_sgpr_flat_scratch_init 0
		.amdhsa_user_sgpr_kernarg_preload_length 0
		.amdhsa_user_sgpr_kernarg_preload_offset 0
		.amdhsa_user_sgpr_private_segment_size 0
		.amdhsa_uses_dynamic_stack 0
		.amdhsa_system_sgpr_private_segment_wavefront_offset 0
		.amdhsa_system_sgpr_workgroup_id_x 1
		.amdhsa_system_sgpr_workgroup_id_y 0
		.amdhsa_system_sgpr_workgroup_id_z 0
		.amdhsa_system_sgpr_workgroup_info 0
		.amdhsa_system_vgpr_workitem_id 1
		.amdhsa_next_free_vgpr 20
		.amdhsa_next_free_sgpr 24
		.amdhsa_accum_offset 20
		.amdhsa_reserve_vcc 1
		.amdhsa_reserve_flat_scratch 0
		.amdhsa_float_round_mode_32 0
		.amdhsa_float_round_mode_16_64 0
		.amdhsa_float_denorm_mode_32 3
		.amdhsa_float_denorm_mode_16_64 3
		.amdhsa_dx10_clamp 1
		.amdhsa_ieee_mode 1
		.amdhsa_fp16_overflow 0
		.amdhsa_tg_split 0
		.amdhsa_exception_fp_ieee_invalid_op 0
		.amdhsa_exception_fp_denorm_src 0
		.amdhsa_exception_fp_ieee_div_zero 0
		.amdhsa_exception_fp_ieee_overflow 0
		.amdhsa_exception_fp_ieee_underflow 0
		.amdhsa_exception_fp_ieee_inexact 0
		.amdhsa_exception_int_div_zero 0
	.end_amdhsa_kernel
	.section	.text._ZN4vllm3moe17topkGatingSoftmaxIfLi2ELi2ELi8ELi8ELb1ELi4ELNS0_23SharedExpertScoringFuncE1EEEvPKT_PKbPfiPiS9_iiiiii,"axG",@progbits,_ZN4vllm3moe17topkGatingSoftmaxIfLi2ELi2ELi8ELi8ELb1ELi4ELNS0_23SharedExpertScoringFuncE1EEEvPKT_PKbPfiPiS9_iiiiii,comdat
.Lfunc_end17:
	.size	_ZN4vllm3moe17topkGatingSoftmaxIfLi2ELi2ELi8ELi8ELb1ELi4ELNS0_23SharedExpertScoringFuncE1EEEvPKT_PKbPfiPiS9_iiiiii, .Lfunc_end17-_ZN4vllm3moe17topkGatingSoftmaxIfLi2ELi2ELi8ELi8ELb1ELi4ELNS0_23SharedExpertScoringFuncE1EEEvPKT_PKbPfiPiS9_iiiiii
                                        ; -- End function
	.section	.AMDGPU.csdata,"",@progbits
; Kernel info:
; codeLenInByte = 1868
; NumSgprs: 28
; NumVgprs: 20
; NumAgprs: 0
; TotalNumVgprs: 20
; ScratchSize: 0
; MemoryBound: 0
; FloatMode: 240
; IeeeMode: 1
; LDSByteSize: 0 bytes/workgroup (compile time only)
; SGPRBlocks: 3
; VGPRBlocks: 2
; NumSGPRsForWavesPerEU: 28
; NumVGPRsForWavesPerEU: 20
; AccumOffset: 20
; Occupancy: 8
; WaveLimiterHint : 0
; COMPUTE_PGM_RSRC2:SCRATCH_EN: 0
; COMPUTE_PGM_RSRC2:USER_SGPR: 6
; COMPUTE_PGM_RSRC2:TRAP_HANDLER: 0
; COMPUTE_PGM_RSRC2:TGID_X_EN: 1
; COMPUTE_PGM_RSRC2:TGID_Y_EN: 0
; COMPUTE_PGM_RSRC2:TGID_Z_EN: 0
; COMPUTE_PGM_RSRC2:TIDIG_COMP_CNT: 1
; COMPUTE_PGM_RSRC3_GFX90A:ACCUM_OFFSET: 4
; COMPUTE_PGM_RSRC3_GFX90A:TG_SPLIT: 0
	.section	.text._ZN4vllm3moe17topkGatingSoftmaxIfLi2ELi2ELi8ELi8ELb0ELi4ELNS0_23SharedExpertScoringFuncE1EEEvPKT_PKbPfiPiS9_iiiiii,"axG",@progbits,_ZN4vllm3moe17topkGatingSoftmaxIfLi2ELi2ELi8ELi8ELb0ELi4ELNS0_23SharedExpertScoringFuncE1EEEvPKT_PKbPfiPiS9_iiiiii,comdat
	.protected	_ZN4vllm3moe17topkGatingSoftmaxIfLi2ELi2ELi8ELi8ELb0ELi4ELNS0_23SharedExpertScoringFuncE1EEEvPKT_PKbPfiPiS9_iiiiii ; -- Begin function _ZN4vllm3moe17topkGatingSoftmaxIfLi2ELi2ELi8ELi8ELb0ELi4ELNS0_23SharedExpertScoringFuncE1EEEvPKT_PKbPfiPiS9_iiiiii
	.globl	_ZN4vllm3moe17topkGatingSoftmaxIfLi2ELi2ELi8ELi8ELb0ELi4ELNS0_23SharedExpertScoringFuncE1EEEvPKT_PKbPfiPiS9_iiiiii
	.p2align	8
	.type	_ZN4vllm3moe17topkGatingSoftmaxIfLi2ELi2ELi8ELi8ELb0ELi4ELNS0_23SharedExpertScoringFuncE1EEEvPKT_PKbPfiPiS9_iiiiii,@function
_ZN4vllm3moe17topkGatingSoftmaxIfLi2ELi2ELi8ELi8ELb0ELi4ELNS0_23SharedExpertScoringFuncE1EEEvPKT_PKbPfiPiS9_iiiiii: ; @_ZN4vllm3moe17topkGatingSoftmaxIfLi2ELi2ELi8ELi8ELb0ELi4ELNS0_23SharedExpertScoringFuncE1EEEvPKT_PKbPfiPiS9_iiiiii
; %bb.0:
	s_load_dword s18, s[4:5], 0x18
	v_bfe_u32 v1, v0, 10, 10
	s_lshl_b32 s19, s6, 9
	v_lshlrev_b32_e32 v14, 6, v1
	v_and_b32_e32 v15, 0x3ff, v0
	v_add3_u32 v16, v14, v15, s19
	s_waitcnt lgkmcnt(0)
	v_cmp_gt_i32_e32 vcc, s18, v16
	s_and_saveexec_b64 s[0:1], vcc
	s_cbranch_execz .LBB18_19
; %bb.1:
	s_load_dwordx4 s[0:3], s[4:5], 0x0
	s_load_dwordx2 s[12:13], s[4:5], 0x10
	s_waitcnt lgkmcnt(0)
	s_cmp_eq_u64 s[2:3], 0
	s_cbranch_scc1 .LBB18_3
; %bb.2:
	v_ashrrev_i32_e32 v1, 31, v16
	v_mov_b32_e32 v2, s3
	v_add_co_u32_e32 v0, vcc, s2, v16
	v_addc_co_u32_e32 v1, vcc, v2, v1, vcc
	global_load_ubyte v0, v[0:1], off
	s_waitcnt vmcnt(0)
	v_and_b32_e32 v0, 1, v0
	v_cmp_eq_u32_e32 vcc, 1, v0
	s_xor_b64 s[2:3], vcc, -1
	s_orn2_b64 s[14:15], s[2:3], exec
	s_branch .LBB18_4
.LBB18_3:
	s_mov_b64 s[14:15], -1
.LBB18_4:
	s_load_dwordx2 s[2:3], s[4:5], 0x40
	s_load_dwordx4 s[8:11], s[4:5], 0x30
	v_mov_b32_e32 v2, s1
	s_mov_b32 s6, 0x42ce8ed0
	s_mov_b32 s7, 0xc2b17218
	s_waitcnt lgkmcnt(0)
	v_mul_lo_u32 v0, v16, s3
	v_ashrrev_i32_e32 v1, 31, v0
	v_lshlrev_b64 v[0:1], 2, v[0:1]
	v_add_co_u32_e32 v6, vcc, s0, v0
	v_addc_co_u32_e32 v7, vcc, v2, v1, vcc
	global_load_dwordx3 v[0:2], v[6:7], off
	s_mov_b32 s3, 0xbfb8aa3b
	v_mov_b32_e32 v3, 0x7f800000
	v_mul_lo_u32 v4, v16, s11
	v_mov_b32_e32 v5, s13
	s_cmp_gt_i32 s8, 0
	v_mov_b32_e32 v17, 0
	s_cselect_b64 s[16:17], -1, 0
	s_cmp_lt_i32 s8, 1
	s_waitcnt vmcnt(0)
	v_mul_f32_e32 v8, 0xbfb8aa3b, v2
	v_fma_f32 v9, v2, s3, -v8
	v_rndne_f32_e32 v10, v8
	v_fmac_f32_e32 v9, 0xb2a5705f, v2
	v_sub_f32_e32 v8, v8, v10
	v_add_f32_e32 v8, v8, v9
	v_cvt_i32_f32_e32 v10, v10
	v_exp_f32_e32 v11, v8
	v_cmp_nlt_f32_e32 vcc, s6, v2
	v_add_u32_e32 v8, s8, v4
	v_ashrrev_i32_e32 v9, 31, v8
	v_ldexp_f32 v10, v11, v10
	v_cndmask_b32_e32 v10, 0, v10, vcc
	v_cmp_ngt_f32_e32 vcc, s7, v2
	v_cndmask_b32_e32 v2, v3, v10, vcc
	v_add_f32_e32 v2, 1.0, v2
	v_div_scale_f32 v10, s[0:1], v2, v2, 1.0
	v_rcp_f32_e32 v11, v10
	v_lshlrev_b64 v[8:9], 2, v[8:9]
	v_add_co_u32_e32 v8, vcc, s12, v8
	v_addc_co_u32_e32 v9, vcc, v5, v9, vcc
	v_fma_f32 v12, -v10, v11, 1.0
	v_div_scale_f32 v5, vcc, 1.0, v2, 1.0
	v_fmac_f32_e32 v11, v12, v11
	v_mul_f32_e32 v12, v5, v11
	v_fma_f32 v13, -v10, v12, v5
	v_fmac_f32_e32 v12, v13, v11
	v_fma_f32 v5, -v10, v12, v5
	v_div_fmas_f32 v5, v5, v11, v12
	v_div_fixup_f32 v2, v5, v2, 1.0
	global_store_dword v[8:9], v2, off
	global_load_dword v2, v[6:7], off offset:12
	s_waitcnt vmcnt(0)
	v_mul_f32_e32 v5, 0xbfb8aa3b, v2
	v_fma_f32 v10, v2, s3, -v5
	v_rndne_f32_e32 v11, v5
	v_fmac_f32_e32 v10, 0xb2a5705f, v2
	v_sub_f32_e32 v5, v5, v11
	v_add_f32_e32 v5, v5, v10
	v_cvt_i32_f32_e32 v11, v11
	v_exp_f32_e32 v5, v5
	v_cmp_nlt_f32_e32 vcc, s6, v2
	v_ldexp_f32 v5, v5, v11
	v_cndmask_b32_e32 v5, 0, v5, vcc
	v_cmp_ngt_f32_e32 vcc, s7, v2
	v_cndmask_b32_e32 v2, v3, v5, vcc
	v_add_f32_e32 v2, 1.0, v2
	v_div_scale_f32 v5, s[0:1], v2, v2, 1.0
	v_rcp_f32_e32 v10, v5
	v_div_scale_f32 v11, vcc, 1.0, v2, 1.0
	v_fma_f32 v12, -v5, v10, 1.0
	v_fmac_f32_e32 v10, v12, v10
	v_mul_f32_e32 v12, v11, v10
	v_fma_f32 v13, -v5, v12, v11
	v_fmac_f32_e32 v12, v13, v10
	v_fma_f32 v5, -v5, v12, v11
	v_div_fmas_f32 v5, v5, v10, v12
	v_div_fixup_f32 v2, v5, v2, 1.0
	global_store_dword v[8:9], v2, off offset:4
	global_load_dword v2, v[6:7], off offset:16
	s_waitcnt vmcnt(0)
	v_mul_f32_e32 v5, 0xbfb8aa3b, v2
	v_fma_f32 v10, v2, s3, -v5
	v_rndne_f32_e32 v11, v5
	v_fmac_f32_e32 v10, 0xb2a5705f, v2
	v_sub_f32_e32 v5, v5, v11
	v_add_f32_e32 v5, v5, v10
	v_cvt_i32_f32_e32 v11, v11
	v_exp_f32_e32 v5, v5
	v_cmp_nlt_f32_e32 vcc, s6, v2
	v_ldexp_f32 v5, v5, v11
	v_cndmask_b32_e32 v5, 0, v5, vcc
	v_cmp_ngt_f32_e32 vcc, s7, v2
	v_cndmask_b32_e32 v2, v3, v5, vcc
	v_add_f32_e32 v2, 1.0, v2
	v_div_scale_f32 v5, s[0:1], v2, v2, 1.0
	v_rcp_f32_e32 v10, v5
	v_div_scale_f32 v11, vcc, 1.0, v2, 1.0
	v_fma_f32 v12, -v5, v10, 1.0
	v_fmac_f32_e32 v10, v12, v10
	v_mul_f32_e32 v12, v11, v10
	v_fma_f32 v13, -v5, v12, v11
	v_fmac_f32_e32 v12, v13, v10
	v_fma_f32 v5, -v5, v12, v11
	v_div_fmas_f32 v5, v5, v10, v12
	v_div_fixup_f32 v2, v5, v2, 1.0
	global_store_dword v[8:9], v2, off offset:8
	global_load_dword v2, v[6:7], off offset:20
	s_waitcnt vmcnt(0)
	v_mul_f32_e32 v5, 0xbfb8aa3b, v2
	v_fma_f32 v6, v2, s3, -v5
	v_rndne_f32_e32 v7, v5
	v_fmac_f32_e32 v6, 0xb2a5705f, v2
	v_sub_f32_e32 v5, v5, v7
	v_add_f32_e32 v5, v5, v6
	v_cvt_i32_f32_e32 v7, v7
	v_exp_f32_e32 v5, v5
	v_cmp_nlt_f32_e32 vcc, s6, v2
	v_ldexp_f32 v5, v5, v7
	v_cndmask_b32_e32 v5, 0, v5, vcc
	v_cmp_ngt_f32_e32 vcc, s7, v2
	v_cndmask_b32_e32 v2, v3, v5, vcc
	v_add_f32_e32 v2, 1.0, v2
	v_div_scale_f32 v5, s[0:1], v2, v2, 1.0
	v_rcp_f32_e32 v6, v5
	v_div_scale_f32 v7, vcc, 1.0, v2, 1.0
	v_fma_f32 v10, -v5, v6, 1.0
	v_fmac_f32_e32 v6, v10, v6
	v_mul_f32_e32 v10, v7, v6
	v_fma_f32 v11, -v5, v10, v7
	v_fmac_f32_e32 v10, v11, v6
	v_fma_f32 v5, -v5, v10, v7
	v_div_fmas_f32 v5, v5, v6, v10
	v_div_fixup_f32 v2, v5, v2, 1.0
	v_cmp_lt_f32_e32 vcc, v0, v1
	global_store_dword v[8:9], v2, off offset:12
	v_cndmask_b32_e32 v2, v0, v1, vcc
	s_cbranch_scc1 .LBB18_8
; %bb.5:
	v_sub_f32_e32 v5, v2, v2
	v_mul_f32_e32 v7, 0x3fb8aa3b, v5
	s_mov_b32 s11, 0x3fb8aa3b
	v_rndne_f32_e32 v8, v7
	v_sub_f32_e32 v9, v7, v8
	v_fma_f32 v7, v5, s11, -v7
	v_fmac_f32_e32 v7, 0x32a5705f, v5
	v_add_f32_e32 v7, v9, v7
	v_exp_f32_e32 v7, v7
	v_cvt_i32_f32_e32 v8, v8
	v_cndmask_b32_e64 v20, 0, 1, vcc
	v_mul_lo_u32 v6, v16, s2
	v_cmp_le_i32_e64 s[0:1], s9, v20
	v_cmp_gt_i32_e64 s[2:3], s10, v20
	s_mov_b32 s20, 0xc2ce8ed0
	s_and_b64 s[22:23], s[0:1], s[2:3]
	v_ldexp_f32 v7, v7, v8
	v_cmp_ngt_f32_e64 s[0:1], s20, v5
	s_mov_b32 s21, 0x42b17218
	s_load_dwordx4 s[4:7], s[4:5], 0x20
	v_cndmask_b32_e64 v7, 0, v7, s[0:1]
	v_cmp_nlt_f32_e64 s[0:1], s21, v5
	v_ashrrev_i32_e32 v5, 31, v4
	v_lshlrev_b64 v[10:11], 2, v[4:5]
	v_cndmask_b32_e64 v17, v3, v7, s[0:1]
	v_mov_b32_e32 v5, s13
	v_add_co_u32_e64 v12, s[0:1], s12, v10
	v_addc_co_u32_e64 v13, s[2:3], v5, v11, s[0:1]
	v_ashrrev_i32_e32 v7, 31, v6
	v_subrev_u32_e32 v5, s9, v20
	s_and_b64 s[2:3], s[14:15], s[22:23]
	v_lshlrev_b64 v[8:9], 2, v[6:7]
	v_mul_lo_u32 v18, v16, s8
	v_cndmask_b32_e64 v5, 2, v5, s[2:3]
	s_waitcnt lgkmcnt(0)
	v_mov_b32_e32 v7, s5
	v_add_co_u32_e64 v6, s[2:3], s4, v8
	v_addc_co_u32_e64 v7, s[2:3], v7, v9, s[2:3]
	v_ashrrev_i32_e32 v19, 31, v18
	global_store_dword v[6:7], v5, off
	v_lshlrev_b64 v[6:7], 2, v[18:19]
	v_mov_b32_e32 v5, s7
	v_add_co_u32_e64 v18, s[2:3], s6, v6
	v_addc_co_u32_e64 v19, s[2:3], v5, v7, s[2:3]
	v_mov_b32_e32 v5, 0xff800000
	v_cndmask_b32_e32 v0, v5, v0, vcc
	v_cmp_ne_u32_e32 vcc, 1, v20
	s_cmp_eq_u32 s8, 1
	v_cndmask_b32_e32 v1, v5, v1, vcc
	global_store_dword v[12:13], v17, off
	global_store_dword v[18:19], v16, off
	s_cbranch_scc1 .LBB18_8
; %bb.6:
	v_mov_b32_e32 v10, s7
	v_add_co_u32_e32 v6, vcc, s6, v6
	v_addc_co_u32_e32 v7, vcc, v7, v10, vcc
	v_add_co_u32_e32 v6, vcc, 4, v6
	v_addc_co_u32_e32 v7, vcc, 0, v7, vcc
	v_mov_b32_e32 v10, s5
	v_add_co_u32_e32 v8, vcc, s4, v8
	v_addc_co_u32_e32 v9, vcc, v9, v10, vcc
	v_add_co_u32_e32 v8, vcc, 4, v8
	v_mov_b32_e32 v10, s13
	v_addc_co_u32_e32 v9, vcc, 0, v9, vcc
	v_addc_co_u32_e64 v11, vcc, v11, v10, s[0:1]
	v_add_co_u32_e32 v10, vcc, 4, v12
	s_add_i32 s19, s19, s18
	v_addc_co_u32_e32 v11, vcc, 0, v11, vcc
	s_add_i32 s2, s8, -1
	v_add3_u32 v12, s19, v15, v14
	v_mov_b32_e32 v13, 0x7f800000
.LBB18_7:                               ; =>This Inner Loop Header: Depth=1
	v_cmp_gt_f32_e32 vcc, v1, v0
	v_cndmask_b32_e32 v14, v0, v1, vcc
	v_cndmask_b32_e64 v15, 0, 1, vcc
	v_sub_f32_e32 v14, v14, v2
	v_cndmask_b32_e32 v1, v1, v5, vcc
	v_cndmask_b32_e32 v0, v5, v0, vcc
	v_cmp_le_i32_e32 vcc, s9, v15
	v_cmp_gt_i32_e64 s[0:1], s10, v15
	v_mul_f32_e32 v16, 0x3fb8aa3b, v14
	s_and_b64 s[0:1], vcc, s[0:1]
	v_fma_f32 v18, v14, s11, -v16
	v_rndne_f32_e32 v19, v16
	v_subrev_u32_e32 v15, s9, v15
	v_fmac_f32_e32 v18, 0x32a5705f, v14
	v_sub_f32_e32 v16, v16, v19
	s_and_b64 vcc, s[14:15], s[0:1]
	v_cndmask_b32_e32 v15, 2, v15, vcc
	v_add_f32_e32 v16, v16, v18
	v_cvt_i32_f32_e32 v19, v19
	global_store_dword v[8:9], v15, off
	global_store_dword v[6:7], v12, off
	v_add_co_u32_e32 v6, vcc, 4, v6
	v_exp_f32_e32 v15, v16
	v_addc_co_u32_e32 v7, vcc, 0, v7, vcc
	v_add_co_u32_e32 v8, vcc, 4, v8
	v_addc_co_u32_e32 v9, vcc, 0, v9, vcc
	v_ldexp_f32 v15, v15, v19
	v_cmp_ngt_f32_e32 vcc, s20, v14
	v_cndmask_b32_e32 v15, 0, v15, vcc
	v_cmp_nlt_f32_e32 vcc, s21, v14
	v_cndmask_b32_e32 v14, v13, v15, vcc
	s_add_i32 s2, s2, -1
	global_store_dword v[10:11], v14, off
	v_add_co_u32_e32 v10, vcc, 4, v10
	v_add_u32_e32 v12, s18, v12
	s_cmp_eq_u32 s2, 0
	v_add_f32_e32 v17, v17, v14
	v_addc_co_u32_e32 v11, vcc, 0, v11, vcc
	s_cbranch_scc0 .LBB18_7
.LBB18_8:
	v_pk_add_f32 v[0:1], v[0:1], v[2:3] op_sel_hi:[1,0] neg_lo:[0,1] neg_hi:[0,1]
	s_mov_b32 s0, 0x3fb8aa3b
	v_mul_f32_e32 v2, 0x3fb8aa3b, v1
	v_fma_f32 v5, v1, s0, -v2
	v_rndne_f32_e32 v6, v2
	v_fmac_f32_e32 v5, 0x32a5705f, v1
	v_sub_f32_e32 v2, v2, v6
	v_add_f32_e32 v2, v2, v5
	v_exp_f32_e32 v2, v2
	v_cvt_i32_f32_e32 v5, v6
	s_mov_b32 s1, 0xc2ce8ed0
	v_cmp_ngt_f32_e32 vcc, s1, v1
	v_ldexp_f32 v2, v2, v5
	v_mul_f32_e32 v5, 0x3fb8aa3b, v0
	v_fma_f32 v6, v0, s0, -v5
	v_rndne_f32_e32 v7, v5
	v_fmac_f32_e32 v6, 0x32a5705f, v0
	v_sub_f32_e32 v5, v5, v7
	v_add_f32_e32 v5, v5, v6
	v_exp_f32_e32 v5, v5
	v_cvt_i32_f32_e32 v6, v7
	s_mov_b32 s0, 0x42b17218
	v_cndmask_b32_e32 v2, 0, v2, vcc
	v_cmp_nlt_f32_e32 vcc, s0, v1
	v_cndmask_b32_e32 v1, v3, v2, vcc
	v_ldexp_f32 v2, v5, v6
	v_cmp_ngt_f32_e32 vcc, s1, v0
	v_cndmask_b32_e32 v2, 0, v2, vcc
	v_cmp_nlt_f32_e32 vcc, s0, v0
	v_cndmask_b32_e32 v0, v3, v2, vcc
	v_add_f32_e32 v0, v0, v1
	v_add_f32_e32 v0, v17, v0
	v_cmp_neq_f32_e32 vcc, 0, v0
	s_and_b64 exec, exec, vcc
	s_cbranch_execz .LBB18_19
; %bb.9:
	s_andn2_b64 vcc, exec, s[16:17]
	s_cbranch_vccnz .LBB18_19
; %bb.10:
	v_div_scale_f32 v1, s[0:1], v0, v0, 1.0
	v_rcp_f32_e32 v2, v1
	v_div_scale_f32 v3, vcc, 1.0, v0, 1.0
	s_cmp_gt_u32 s8, 3
	v_fma_f32 v5, -v1, v2, 1.0
	v_fmac_f32_e32 v2, v5, v2
	v_mul_f32_e32 v5, v3, v2
	v_fma_f32 v6, -v1, v5, v3
	v_fmac_f32_e32 v5, v6, v2
	v_fma_f32 v1, -v1, v5, v3
	v_div_fmas_f32 v1, v1, v2, v5
	v_div_fixup_f32 v0, v1, v0, 1.0
	v_ashrrev_i32_e32 v5, 31, v4
	s_cbranch_scc0 .LBB18_14
; %bb.11:
	v_lshlrev_b64 v[2:3], 2, v[4:5]
	v_mov_b32_e32 v6, s13
	v_add_co_u32_e32 v2, vcc, s12, v2
	v_addc_co_u32_e32 v3, vcc, v3, v6, vcc
	s_and_b32 s4, s8, 0x7ffffffc
	v_add_co_u32_e32 v2, vcc, 8, v2
	v_mov_b32_e32 v1, v0
	v_addc_co_u32_e32 v3, vcc, 0, v3, vcc
	s_mov_b32 s0, s4
.LBB18_12:                              ; =>This Inner Loop Header: Depth=1
	global_load_dwordx4 v[6:9], v[2:3], off offset:-8
	s_add_i32 s0, s0, -4
	s_cmp_lg_u32 s0, 0
	s_waitcnt vmcnt(0)
	v_pk_mul_f32 v[6:7], v[0:1], v[6:7]
	v_pk_mul_f32 v[8:9], v[0:1], v[8:9]
	global_store_dwordx4 v[2:3], v[6:9], off offset:-8
	v_add_co_u32_e32 v2, vcc, 16, v2
	v_addc_co_u32_e32 v3, vcc, 0, v3, vcc
	s_cbranch_scc1 .LBB18_12
; %bb.13:
	s_cmp_lg_u32 s4, s8
	s_cselect_b64 s[0:1], -1, 0
	s_branch .LBB18_16
.LBB18_14:
	s_mov_b64 s[0:1], 0
                                        ; implicit-def: $sgpr4
	s_cbranch_execz .LBB18_16
; %bb.15:
	s_mov_b64 s[0:1], -1
	s_mov_b32 s4, 0
.LBB18_16:
	s_andn2_b64 vcc, exec, s[0:1]
	s_cbranch_vccnz .LBB18_19
; %bb.17:
	v_add_co_u32_e32 v2, vcc, s4, v4
	v_addc_co_u32_e32 v3, vcc, 0, v5, vcc
	v_lshlrev_b64 v[2:3], 2, v[2:3]
	v_mov_b32_e32 v1, s13
	v_add_co_u32_e32 v2, vcc, s12, v2
	s_sub_i32 s0, s8, s4
	v_addc_co_u32_e32 v3, vcc, v1, v3, vcc
.LBB18_18:                              ; =>This Inner Loop Header: Depth=1
	global_load_dword v1, v[2:3], off
	s_add_i32 s0, s0, -1
	s_cmp_lg_u32 s0, 0
	s_waitcnt vmcnt(0)
	v_mul_f32_e32 v1, v0, v1
	global_store_dword v[2:3], v1, off
	v_add_co_u32_e32 v2, vcc, 4, v2
	v_addc_co_u32_e32 v3, vcc, 0, v3, vcc
	s_cbranch_scc1 .LBB18_18
.LBB18_19:
	s_endpgm
	.section	.rodata,"a",@progbits
	.p2align	6, 0x0
	.amdhsa_kernel _ZN4vllm3moe17topkGatingSoftmaxIfLi2ELi2ELi8ELi8ELb0ELi4ELNS0_23SharedExpertScoringFuncE1EEEvPKT_PKbPfiPiS9_iiiiii
		.amdhsa_group_segment_fixed_size 0
		.amdhsa_private_segment_fixed_size 0
		.amdhsa_kernarg_size 72
		.amdhsa_user_sgpr_count 6
		.amdhsa_user_sgpr_private_segment_buffer 1
		.amdhsa_user_sgpr_dispatch_ptr 0
		.amdhsa_user_sgpr_queue_ptr 0
		.amdhsa_user_sgpr_kernarg_segment_ptr 1
		.amdhsa_user_sgpr_dispatch_id 0
		.amdhsa_user_sgpr_flat_scratch_init 0
		.amdhsa_user_sgpr_kernarg_preload_length 0
		.amdhsa_user_sgpr_kernarg_preload_offset 0
		.amdhsa_user_sgpr_private_segment_size 0
		.amdhsa_uses_dynamic_stack 0
		.amdhsa_system_sgpr_private_segment_wavefront_offset 0
		.amdhsa_system_sgpr_workgroup_id_x 1
		.amdhsa_system_sgpr_workgroup_id_y 0
		.amdhsa_system_sgpr_workgroup_id_z 0
		.amdhsa_system_sgpr_workgroup_info 0
		.amdhsa_system_vgpr_workitem_id 1
		.amdhsa_next_free_vgpr 21
		.amdhsa_next_free_sgpr 24
		.amdhsa_accum_offset 24
		.amdhsa_reserve_vcc 1
		.amdhsa_reserve_flat_scratch 0
		.amdhsa_float_round_mode_32 0
		.amdhsa_float_round_mode_16_64 0
		.amdhsa_float_denorm_mode_32 3
		.amdhsa_float_denorm_mode_16_64 3
		.amdhsa_dx10_clamp 1
		.amdhsa_ieee_mode 1
		.amdhsa_fp16_overflow 0
		.amdhsa_tg_split 0
		.amdhsa_exception_fp_ieee_invalid_op 0
		.amdhsa_exception_fp_denorm_src 0
		.amdhsa_exception_fp_ieee_div_zero 0
		.amdhsa_exception_fp_ieee_overflow 0
		.amdhsa_exception_fp_ieee_underflow 0
		.amdhsa_exception_fp_ieee_inexact 0
		.amdhsa_exception_int_div_zero 0
	.end_amdhsa_kernel
	.section	.text._ZN4vllm3moe17topkGatingSoftmaxIfLi2ELi2ELi8ELi8ELb0ELi4ELNS0_23SharedExpertScoringFuncE1EEEvPKT_PKbPfiPiS9_iiiiii,"axG",@progbits,_ZN4vllm3moe17topkGatingSoftmaxIfLi2ELi2ELi8ELi8ELb0ELi4ELNS0_23SharedExpertScoringFuncE1EEEvPKT_PKbPfiPiS9_iiiiii,comdat
.Lfunc_end18:
	.size	_ZN4vllm3moe17topkGatingSoftmaxIfLi2ELi2ELi8ELi8ELb0ELi4ELNS0_23SharedExpertScoringFuncE1EEEvPKT_PKbPfiPiS9_iiiiii, .Lfunc_end18-_ZN4vllm3moe17topkGatingSoftmaxIfLi2ELi2ELi8ELi8ELb0ELi4ELNS0_23SharedExpertScoringFuncE1EEEvPKT_PKbPfiPiS9_iiiiii
                                        ; -- End function
	.section	.AMDGPU.csdata,"",@progbits
; Kernel info:
; codeLenInByte = 2044
; NumSgprs: 28
; NumVgprs: 21
; NumAgprs: 0
; TotalNumVgprs: 21
; ScratchSize: 0
; MemoryBound: 0
; FloatMode: 240
; IeeeMode: 1
; LDSByteSize: 0 bytes/workgroup (compile time only)
; SGPRBlocks: 3
; VGPRBlocks: 2
; NumSGPRsForWavesPerEU: 28
; NumVGPRsForWavesPerEU: 21
; AccumOffset: 24
; Occupancy: 8
; WaveLimiterHint : 0
; COMPUTE_PGM_RSRC2:SCRATCH_EN: 0
; COMPUTE_PGM_RSRC2:USER_SGPR: 6
; COMPUTE_PGM_RSRC2:TRAP_HANDLER: 0
; COMPUTE_PGM_RSRC2:TGID_X_EN: 1
; COMPUTE_PGM_RSRC2:TGID_Y_EN: 0
; COMPUTE_PGM_RSRC2:TGID_Z_EN: 0
; COMPUTE_PGM_RSRC2:TIDIG_COMP_CNT: 1
; COMPUTE_PGM_RSRC3_GFX90A:ACCUM_OFFSET: 5
; COMPUTE_PGM_RSRC3_GFX90A:TG_SPLIT: 0
	.section	.text._ZN4vllm3moe17topkGatingSoftmaxIfLi2ELi2ELi8ELi8ELb1ELi8ELNS0_23SharedExpertScoringFuncE1EEEvPKT_PKbPfiPiS9_iiiiii,"axG",@progbits,_ZN4vllm3moe17topkGatingSoftmaxIfLi2ELi2ELi8ELi8ELb1ELi8ELNS0_23SharedExpertScoringFuncE1EEEvPKT_PKbPfiPiS9_iiiiii,comdat
	.protected	_ZN4vllm3moe17topkGatingSoftmaxIfLi2ELi2ELi8ELi8ELb1ELi8ELNS0_23SharedExpertScoringFuncE1EEEvPKT_PKbPfiPiS9_iiiiii ; -- Begin function _ZN4vllm3moe17topkGatingSoftmaxIfLi2ELi2ELi8ELi8ELb1ELi8ELNS0_23SharedExpertScoringFuncE1EEEvPKT_PKbPfiPiS9_iiiiii
	.globl	_ZN4vllm3moe17topkGatingSoftmaxIfLi2ELi2ELi8ELi8ELb1ELi8ELNS0_23SharedExpertScoringFuncE1EEEvPKT_PKbPfiPiS9_iiiiii
	.p2align	8
	.type	_ZN4vllm3moe17topkGatingSoftmaxIfLi2ELi2ELi8ELi8ELb1ELi8ELNS0_23SharedExpertScoringFuncE1EEEvPKT_PKbPfiPiS9_iiiiii,@function
_ZN4vllm3moe17topkGatingSoftmaxIfLi2ELi2ELi8ELi8ELb1ELi8ELNS0_23SharedExpertScoringFuncE1EEEvPKT_PKbPfiPiS9_iiiiii: ; @_ZN4vllm3moe17topkGatingSoftmaxIfLi2ELi2ELi8ELi8ELb1ELi8ELNS0_23SharedExpertScoringFuncE1EEEvPKT_PKbPfiPiS9_iiiiii
; %bb.0:
	s_load_dword s18, s[4:5], 0x18
	v_bfe_u32 v1, v0, 10, 10
	s_lshl_b32 s19, s6, 9
	v_lshlrev_b32_e32 v12, 6, v1
	v_and_b32_e32 v13, 0x3ff, v0
	v_add3_u32 v14, v12, v13, s19
	s_waitcnt lgkmcnt(0)
	v_cmp_gt_i32_e32 vcc, s18, v14
	s_and_saveexec_b64 s[0:1], vcc
	s_cbranch_execz .LBB19_19
; %bb.1:
	s_load_dwordx4 s[0:3], s[4:5], 0x0
	s_load_dwordx2 s[12:13], s[4:5], 0x10
	s_waitcnt lgkmcnt(0)
	s_cmp_eq_u64 s[2:3], 0
	s_cbranch_scc1 .LBB19_3
; %bb.2:
	v_ashrrev_i32_e32 v1, 31, v14
	v_mov_b32_e32 v2, s3
	v_add_co_u32_e32 v0, vcc, s2, v14
	v_addc_co_u32_e32 v1, vcc, v2, v1, vcc
	global_load_ubyte v0, v[0:1], off
	s_waitcnt vmcnt(0)
	v_and_b32_e32 v0, 1, v0
	v_cmp_eq_u32_e32 vcc, 1, v0
	s_xor_b64 s[2:3], vcc, -1
	s_orn2_b64 s[14:15], s[2:3], exec
	s_branch .LBB19_4
.LBB19_3:
	s_mov_b64 s[14:15], -1
.LBB19_4:
	s_load_dwordx2 s[2:3], s[4:5], 0x40
	s_load_dwordx4 s[8:11], s[4:5], 0x30
	v_mov_b32_e32 v2, s1
	s_mov_b32 s1, 0xc2b17218
	v_mov_b32_e32 v5, 0x7f800000
	s_waitcnt lgkmcnt(0)
	v_mul_lo_u32 v0, v14, s3
	v_ashrrev_i32_e32 v1, 31, v0
	v_lshlrev_b64 v[0:1], 2, v[0:1]
	v_add_co_u32_e32 v6, vcc, s0, v0
	v_addc_co_u32_e32 v7, vcc, v2, v1, vcc
	global_load_dwordx3 v[0:2], v[6:7], off
	s_mov_b32 s3, 0xbfb8aa3b
	s_mov_b32 s0, 0x42ce8ed0
	v_mul_lo_u32 v4, v14, s11
	v_mov_b32_e32 v3, s13
	s_cmp_gt_i32 s8, 0
	s_cselect_b64 s[16:17], -1, 0
	s_cmp_lt_i32 s8, 1
	s_waitcnt vmcnt(0)
	v_mul_f32_e32 v8, 0xbfb8aa3b, v2
	v_fma_f32 v9, v2, s3, -v8
	v_rndne_f32_e32 v10, v8
	v_fmac_f32_e32 v9, 0xb2a5705f, v2
	v_sub_f32_e32 v8, v8, v10
	v_add_f32_e32 v8, v8, v9
	v_cvt_i32_f32_e32 v10, v10
	v_exp_f32_e32 v11, v8
	v_cmp_nlt_f32_e32 vcc, s0, v2
	v_add_u32_e32 v8, s8, v4
	v_ashrrev_i32_e32 v9, 31, v8
	v_ldexp_f32 v10, v11, v10
	v_cndmask_b32_e32 v10, 0, v10, vcc
	v_cmp_ngt_f32_e32 vcc, s1, v2
	v_cndmask_b32_e32 v2, v5, v10, vcc
	v_add_f32_e32 v10, 1.0, v2
	v_div_scale_f32 v11, s[6:7], v10, v10, 1.0
	v_rcp_f32_e32 v15, v11
	v_lshlrev_b64 v[8:9], 2, v[8:9]
	v_add_co_u32_e32 v2, vcc, s12, v8
	v_addc_co_u32_e32 v3, vcc, v3, v9, vcc
	v_fma_f32 v9, -v11, v15, 1.0
	v_div_scale_f32 v8, vcc, 1.0, v10, 1.0
	v_fmac_f32_e32 v15, v9, v15
	v_mul_f32_e32 v9, v8, v15
	v_fma_f32 v16, -v11, v9, v8
	v_fmac_f32_e32 v9, v16, v15
	v_fma_f32 v8, -v11, v9, v8
	v_div_fmas_f32 v8, v8, v15, v9
	v_div_fixup_f32 v8, v8, v10, 1.0
	global_store_dword v[2:3], v8, off
	global_load_dword v8, v[6:7], off offset:12
	s_waitcnt vmcnt(0)
	v_mul_f32_e32 v9, 0xbfb8aa3b, v8
	v_fma_f32 v10, v8, s3, -v9
	v_rndne_f32_e32 v11, v9
	v_fmac_f32_e32 v10, 0xb2a5705f, v8
	v_sub_f32_e32 v9, v9, v11
	v_add_f32_e32 v9, v9, v10
	v_cvt_i32_f32_e32 v11, v11
	v_exp_f32_e32 v9, v9
	v_cmp_nlt_f32_e32 vcc, s0, v8
	v_ldexp_f32 v9, v9, v11
	v_cndmask_b32_e32 v9, 0, v9, vcc
	v_cmp_ngt_f32_e32 vcc, s1, v8
	v_cndmask_b32_e32 v8, v5, v9, vcc
	v_add_f32_e32 v8, 1.0, v8
	v_div_scale_f32 v9, s[6:7], v8, v8, 1.0
	v_rcp_f32_e32 v10, v9
	v_div_scale_f32 v11, vcc, 1.0, v8, 1.0
	v_fma_f32 v15, -v9, v10, 1.0
	v_fmac_f32_e32 v10, v15, v10
	v_mul_f32_e32 v15, v11, v10
	v_fma_f32 v16, -v9, v15, v11
	v_fmac_f32_e32 v15, v16, v10
	v_fma_f32 v9, -v9, v15, v11
	v_div_fmas_f32 v9, v9, v10, v15
	v_div_fixup_f32 v8, v9, v8, 1.0
	global_store_dword v[2:3], v8, off offset:4
	global_load_dword v8, v[6:7], off offset:16
	s_waitcnt vmcnt(0)
	v_mul_f32_e32 v9, 0xbfb8aa3b, v8
	v_fma_f32 v10, v8, s3, -v9
	v_rndne_f32_e32 v11, v9
	v_fmac_f32_e32 v10, 0xb2a5705f, v8
	v_sub_f32_e32 v9, v9, v11
	v_add_f32_e32 v9, v9, v10
	v_cvt_i32_f32_e32 v11, v11
	v_exp_f32_e32 v9, v9
	v_cmp_nlt_f32_e32 vcc, s0, v8
	v_ldexp_f32 v9, v9, v11
	v_cndmask_b32_e32 v9, 0, v9, vcc
	v_cmp_ngt_f32_e32 vcc, s1, v8
	v_cndmask_b32_e32 v8, v5, v9, vcc
	v_add_f32_e32 v8, 1.0, v8
	v_div_scale_f32 v9, s[6:7], v8, v8, 1.0
	v_rcp_f32_e32 v10, v9
	v_div_scale_f32 v11, vcc, 1.0, v8, 1.0
	v_fma_f32 v15, -v9, v10, 1.0
	v_fmac_f32_e32 v10, v15, v10
	v_mul_f32_e32 v15, v11, v10
	v_fma_f32 v16, -v9, v15, v11
	v_fmac_f32_e32 v15, v16, v10
	v_fma_f32 v9, -v9, v15, v11
	v_div_fmas_f32 v9, v9, v10, v15
	v_div_fixup_f32 v8, v9, v8, 1.0
	global_store_dword v[2:3], v8, off offset:8
	;; [unrolled: 28-line block ×6, first 2 shown]
	global_load_dword v6, v[6:7], off offset:36
	v_mov_b32_e32 v15, 0
	s_waitcnt vmcnt(0)
	v_mul_f32_e32 v7, 0xbfb8aa3b, v6
	v_fma_f32 v8, v6, s3, -v7
	v_rndne_f32_e32 v9, v7
	v_fmac_f32_e32 v8, 0xb2a5705f, v6
	v_sub_f32_e32 v7, v7, v9
	v_add_f32_e32 v7, v7, v8
	v_cvt_i32_f32_e32 v9, v9
	v_exp_f32_e32 v7, v7
	v_cmp_nlt_f32_e32 vcc, s0, v6
	v_ldexp_f32 v7, v7, v9
	v_cndmask_b32_e32 v7, 0, v7, vcc
	v_cmp_ngt_f32_e32 vcc, s1, v6
	v_cndmask_b32_e32 v6, v5, v7, vcc
	v_add_f32_e32 v6, 1.0, v6
	v_div_scale_f32 v7, s[0:1], v6, v6, 1.0
	v_rcp_f32_e32 v8, v7
	v_div_scale_f32 v9, vcc, 1.0, v6, 1.0
	v_fma_f32 v10, -v7, v8, 1.0
	v_fmac_f32_e32 v8, v10, v8
	v_mul_f32_e32 v10, v9, v8
	v_fma_f32 v11, -v7, v10, v9
	v_fmac_f32_e32 v10, v11, v8
	v_fma_f32 v7, -v7, v10, v9
	v_div_fmas_f32 v7, v7, v8, v10
	v_div_fixup_f32 v6, v7, v6, 1.0
	global_store_dword v[2:3], v6, off offset:28
	s_cbranch_scc1 .LBB19_8
; %bb.5:
	v_cmp_lt_f32_e32 vcc, v0, v1
	v_cndmask_b32_e32 v16, v0, v1, vcc
	v_sub_f32_e32 v3, v16, v16
	s_mov_b32 s11, 0x3fb8aa3b
	v_mul_f32_e32 v6, 0x3fb8aa3b, v3
	v_fma_f32 v7, v3, s11, -v6
	v_rndne_f32_e32 v8, v6
	v_fmac_f32_e32 v7, 0x32a5705f, v3
	v_sub_f32_e32 v6, v6, v8
	v_add_f32_e32 v6, v6, v7
	v_exp_f32_e32 v6, v6
	v_cvt_i32_f32_e32 v7, v8
	v_cndmask_b32_e64 v17, 0, 1, vcc
	v_mul_lo_u32 v2, v14, s2
	v_cmp_le_i32_e64 s[0:1], s9, v17
	v_cmp_gt_i32_e64 s[2:3], s10, v17
	s_mov_b32 s20, 0xc2ce8ed0
	s_and_b64 s[22:23], s[0:1], s[2:3]
	v_ldexp_f32 v6, v6, v7
	v_cmp_ngt_f32_e64 s[0:1], s20, v3
	s_mov_b32 s21, 0x42b17218
	v_cndmask_b32_e64 v6, 0, v6, s[0:1]
	v_cmp_nlt_f32_e64 s[0:1], s21, v3
	v_cndmask_b32_e64 v15, v5, v6, s[0:1]
	v_ashrrev_i32_e32 v5, 31, v4
	v_lshlrev_b64 v[8:9], 2, v[4:5]
	s_load_dwordx4 s[4:7], s[4:5], 0x20
	v_mov_b32_e32 v3, s13
	v_add_co_u32_e64 v10, s[0:1], s12, v8
	v_addc_co_u32_e64 v11, s[2:3], v3, v9, s[0:1]
	v_subrev_u32_e32 v3, s9, v17
	s_and_b64 s[2:3], s[14:15], s[22:23]
	v_cndmask_b32_e64 v5, 2, v3, s[2:3]
	v_ashrrev_i32_e32 v3, 31, v2
	v_lshlrev_b64 v[6:7], 2, v[2:3]
	v_mul_lo_u32 v18, v14, s8
	s_waitcnt lgkmcnt(0)
	v_mov_b32_e32 v3, s5
	v_add_co_u32_e64 v2, s[2:3], s4, v6
	v_addc_co_u32_e64 v3, s[2:3], v3, v7, s[2:3]
	v_ashrrev_i32_e32 v19, 31, v18
	global_store_dword v[2:3], v5, off
	v_lshlrev_b64 v[2:3], 2, v[18:19]
	v_mov_b32_e32 v5, s7
	v_add_co_u32_e64 v18, s[2:3], s6, v2
	v_addc_co_u32_e64 v19, s[2:3], v5, v3, s[2:3]
	s_cmp_eq_u32 s8, 1
	global_store_dword v[10:11], v15, off
	global_store_dword v[18:19], v14, off
	s_cbranch_scc1 .LBB19_8
; %bb.6:
	v_mov_b32_e32 v5, 0xff800000
	v_cndmask_b32_e32 v0, v5, v0, vcc
	v_cmp_ne_u32_e32 vcc, 1, v17
	v_cndmask_b32_e32 v1, v5, v1, vcc
	v_mov_b32_e32 v8, s7
	v_add_co_u32_e32 v2, vcc, s6, v2
	v_addc_co_u32_e32 v3, vcc, v3, v8, vcc
	v_add_co_u32_e32 v2, vcc, 4, v2
	v_addc_co_u32_e32 v3, vcc, 0, v3, vcc
	v_mov_b32_e32 v8, s5
	v_add_co_u32_e32 v6, vcc, s4, v6
	v_addc_co_u32_e32 v7, vcc, v7, v8, vcc
	v_add_co_u32_e32 v6, vcc, 4, v6
	v_mov_b32_e32 v8, s13
	v_addc_co_u32_e32 v7, vcc, 0, v7, vcc
	v_addc_co_u32_e64 v9, vcc, v9, v8, s[0:1]
	v_add_co_u32_e32 v8, vcc, 4, v10
	s_add_i32 s19, s19, s18
	v_addc_co_u32_e32 v9, vcc, 0, v9, vcc
	s_add_i32 s2, s8, -1
	v_add3_u32 v10, s19, v13, v12
	v_mov_b32_e32 v11, 0x7f800000
.LBB19_7:                               ; =>This Inner Loop Header: Depth=1
	v_cmp_gt_f32_e32 vcc, v1, v0
	v_cndmask_b32_e32 v12, v0, v1, vcc
	v_cndmask_b32_e64 v13, 0, 1, vcc
	v_sub_f32_e32 v12, v12, v16
	v_cndmask_b32_e32 v1, v1, v5, vcc
	v_cndmask_b32_e32 v0, v5, v0, vcc
	v_cmp_le_i32_e32 vcc, s9, v13
	v_cmp_gt_i32_e64 s[0:1], s10, v13
	v_mul_f32_e32 v14, 0x3fb8aa3b, v12
	s_and_b64 s[0:1], vcc, s[0:1]
	v_fma_f32 v17, v12, s11, -v14
	v_rndne_f32_e32 v18, v14
	v_subrev_u32_e32 v13, s9, v13
	v_fmac_f32_e32 v17, 0x32a5705f, v12
	v_sub_f32_e32 v14, v14, v18
	s_and_b64 vcc, s[14:15], s[0:1]
	v_cndmask_b32_e32 v13, 2, v13, vcc
	v_add_f32_e32 v14, v14, v17
	v_cvt_i32_f32_e32 v18, v18
	global_store_dword v[6:7], v13, off
	global_store_dword v[2:3], v10, off
	v_add_co_u32_e32 v2, vcc, 4, v2
	v_exp_f32_e32 v13, v14
	v_addc_co_u32_e32 v3, vcc, 0, v3, vcc
	v_add_co_u32_e32 v6, vcc, 4, v6
	v_addc_co_u32_e32 v7, vcc, 0, v7, vcc
	v_ldexp_f32 v13, v13, v18
	v_cmp_ngt_f32_e32 vcc, s20, v12
	v_cndmask_b32_e32 v13, 0, v13, vcc
	v_cmp_nlt_f32_e32 vcc, s21, v12
	v_cndmask_b32_e32 v12, v11, v13, vcc
	s_add_i32 s2, s2, -1
	global_store_dword v[8:9], v12, off
	v_add_co_u32_e32 v8, vcc, 4, v8
	v_add_u32_e32 v10, s18, v10
	s_cmp_eq_u32 s2, 0
	v_add_f32_e32 v15, v15, v12
	v_addc_co_u32_e32 v9, vcc, 0, v9, vcc
	s_cbranch_scc0 .LBB19_7
.LBB19_8:
	v_cmp_neq_f32_e32 vcc, 0, v15
	s_and_b64 exec, exec, vcc
	s_cbranch_execz .LBB19_19
; %bb.9:
	s_andn2_b64 vcc, exec, s[16:17]
	s_cbranch_vccnz .LBB19_19
; %bb.10:
	v_div_scale_f32 v0, s[0:1], v15, v15, 1.0
	v_rcp_f32_e32 v1, v0
	v_div_scale_f32 v2, vcc, 1.0, v15, 1.0
	s_cmp_gt_u32 s8, 3
	v_fma_f32 v3, -v0, v1, 1.0
	v_fmac_f32_e32 v1, v3, v1
	v_mul_f32_e32 v3, v2, v1
	v_fma_f32 v5, -v0, v3, v2
	v_fmac_f32_e32 v3, v5, v1
	v_fma_f32 v0, -v0, v3, v2
	v_div_fmas_f32 v0, v0, v1, v3
	v_div_fixup_f32 v0, v0, v15, 1.0
	v_ashrrev_i32_e32 v5, 31, v4
	s_cbranch_scc0 .LBB19_14
; %bb.11:
	v_lshlrev_b64 v[2:3], 2, v[4:5]
	v_mov_b32_e32 v6, s13
	v_add_co_u32_e32 v2, vcc, s12, v2
	v_addc_co_u32_e32 v3, vcc, v3, v6, vcc
	s_and_b32 s4, s8, 0x7ffffffc
	v_add_co_u32_e32 v2, vcc, 8, v2
	v_mov_b32_e32 v1, v0
	v_addc_co_u32_e32 v3, vcc, 0, v3, vcc
	s_mov_b32 s0, s4
.LBB19_12:                              ; =>This Inner Loop Header: Depth=1
	global_load_dwordx4 v[6:9], v[2:3], off offset:-8
	s_add_i32 s0, s0, -4
	s_cmp_lg_u32 s0, 0
	s_waitcnt vmcnt(0)
	v_pk_mul_f32 v[6:7], v[0:1], v[6:7]
	v_pk_mul_f32 v[8:9], v[0:1], v[8:9]
	global_store_dwordx4 v[2:3], v[6:9], off offset:-8
	v_add_co_u32_e32 v2, vcc, 16, v2
	v_addc_co_u32_e32 v3, vcc, 0, v3, vcc
	s_cbranch_scc1 .LBB19_12
; %bb.13:
	s_cmp_lg_u32 s4, s8
	s_cselect_b64 s[0:1], -1, 0
	s_branch .LBB19_16
.LBB19_14:
	s_mov_b64 s[0:1], 0
                                        ; implicit-def: $sgpr4
	s_cbranch_execz .LBB19_16
; %bb.15:
	s_mov_b64 s[0:1], -1
	s_mov_b32 s4, 0
.LBB19_16:
	s_andn2_b64 vcc, exec, s[0:1]
	s_cbranch_vccnz .LBB19_19
; %bb.17:
	v_add_co_u32_e32 v2, vcc, s4, v4
	v_addc_co_u32_e32 v3, vcc, 0, v5, vcc
	v_lshlrev_b64 v[2:3], 2, v[2:3]
	v_mov_b32_e32 v1, s13
	v_add_co_u32_e32 v2, vcc, s12, v2
	s_sub_i32 s0, s8, s4
	v_addc_co_u32_e32 v3, vcc, v1, v3, vcc
.LBB19_18:                              ; =>This Inner Loop Header: Depth=1
	global_load_dword v1, v[2:3], off
	s_add_i32 s0, s0, -1
	s_cmp_lg_u32 s0, 0
	s_waitcnt vmcnt(0)
	v_mul_f32_e32 v1, v0, v1
	global_store_dword v[2:3], v1, off
	v_add_co_u32_e32 v2, vcc, 4, v2
	v_addc_co_u32_e32 v3, vcc, 0, v3, vcc
	s_cbranch_scc1 .LBB19_18
.LBB19_19:
	s_endpgm
	.section	.rodata,"a",@progbits
	.p2align	6, 0x0
	.amdhsa_kernel _ZN4vllm3moe17topkGatingSoftmaxIfLi2ELi2ELi8ELi8ELb1ELi8ELNS0_23SharedExpertScoringFuncE1EEEvPKT_PKbPfiPiS9_iiiiii
		.amdhsa_group_segment_fixed_size 0
		.amdhsa_private_segment_fixed_size 0
		.amdhsa_kernarg_size 72
		.amdhsa_user_sgpr_count 6
		.amdhsa_user_sgpr_private_segment_buffer 1
		.amdhsa_user_sgpr_dispatch_ptr 0
		.amdhsa_user_sgpr_queue_ptr 0
		.amdhsa_user_sgpr_kernarg_segment_ptr 1
		.amdhsa_user_sgpr_dispatch_id 0
		.amdhsa_user_sgpr_flat_scratch_init 0
		.amdhsa_user_sgpr_kernarg_preload_length 0
		.amdhsa_user_sgpr_kernarg_preload_offset 0
		.amdhsa_user_sgpr_private_segment_size 0
		.amdhsa_uses_dynamic_stack 0
		.amdhsa_system_sgpr_private_segment_wavefront_offset 0
		.amdhsa_system_sgpr_workgroup_id_x 1
		.amdhsa_system_sgpr_workgroup_id_y 0
		.amdhsa_system_sgpr_workgroup_id_z 0
		.amdhsa_system_sgpr_workgroup_info 0
		.amdhsa_system_vgpr_workitem_id 1
		.amdhsa_next_free_vgpr 20
		.amdhsa_next_free_sgpr 24
		.amdhsa_accum_offset 20
		.amdhsa_reserve_vcc 1
		.amdhsa_reserve_flat_scratch 0
		.amdhsa_float_round_mode_32 0
		.amdhsa_float_round_mode_16_64 0
		.amdhsa_float_denorm_mode_32 3
		.amdhsa_float_denorm_mode_16_64 3
		.amdhsa_dx10_clamp 1
		.amdhsa_ieee_mode 1
		.amdhsa_fp16_overflow 0
		.amdhsa_tg_split 0
		.amdhsa_exception_fp_ieee_invalid_op 0
		.amdhsa_exception_fp_denorm_src 0
		.amdhsa_exception_fp_ieee_div_zero 0
		.amdhsa_exception_fp_ieee_overflow 0
		.amdhsa_exception_fp_ieee_underflow 0
		.amdhsa_exception_fp_ieee_inexact 0
		.amdhsa_exception_int_div_zero 0
	.end_amdhsa_kernel
	.section	.text._ZN4vllm3moe17topkGatingSoftmaxIfLi2ELi2ELi8ELi8ELb1ELi8ELNS0_23SharedExpertScoringFuncE1EEEvPKT_PKbPfiPiS9_iiiiii,"axG",@progbits,_ZN4vllm3moe17topkGatingSoftmaxIfLi2ELi2ELi8ELi8ELb1ELi8ELNS0_23SharedExpertScoringFuncE1EEEvPKT_PKbPfiPiS9_iiiiii,comdat
.Lfunc_end19:
	.size	_ZN4vllm3moe17topkGatingSoftmaxIfLi2ELi2ELi8ELi8ELb1ELi8ELNS0_23SharedExpertScoringFuncE1EEEvPKT_PKbPfiPiS9_iiiiii, .Lfunc_end19-_ZN4vllm3moe17topkGatingSoftmaxIfLi2ELi2ELi8ELi8ELb1ELi8ELNS0_23SharedExpertScoringFuncE1EEEvPKT_PKbPfiPiS9_iiiiii
                                        ; -- End function
	.section	.AMDGPU.csdata,"",@progbits
; Kernel info:
; codeLenInByte = 2524
; NumSgprs: 28
; NumVgprs: 20
; NumAgprs: 0
; TotalNumVgprs: 20
; ScratchSize: 0
; MemoryBound: 0
; FloatMode: 240
; IeeeMode: 1
; LDSByteSize: 0 bytes/workgroup (compile time only)
; SGPRBlocks: 3
; VGPRBlocks: 2
; NumSGPRsForWavesPerEU: 28
; NumVGPRsForWavesPerEU: 20
; AccumOffset: 20
; Occupancy: 8
; WaveLimiterHint : 0
; COMPUTE_PGM_RSRC2:SCRATCH_EN: 0
; COMPUTE_PGM_RSRC2:USER_SGPR: 6
; COMPUTE_PGM_RSRC2:TRAP_HANDLER: 0
; COMPUTE_PGM_RSRC2:TGID_X_EN: 1
; COMPUTE_PGM_RSRC2:TGID_Y_EN: 0
; COMPUTE_PGM_RSRC2:TGID_Z_EN: 0
; COMPUTE_PGM_RSRC2:TIDIG_COMP_CNT: 1
; COMPUTE_PGM_RSRC3_GFX90A:ACCUM_OFFSET: 4
; COMPUTE_PGM_RSRC3_GFX90A:TG_SPLIT: 0
	.section	.text._ZN4vllm3moe17topkGatingSoftmaxIfLi2ELi2ELi8ELi8ELb0ELi8ELNS0_23SharedExpertScoringFuncE1EEEvPKT_PKbPfiPiS9_iiiiii,"axG",@progbits,_ZN4vllm3moe17topkGatingSoftmaxIfLi2ELi2ELi8ELi8ELb0ELi8ELNS0_23SharedExpertScoringFuncE1EEEvPKT_PKbPfiPiS9_iiiiii,comdat
	.protected	_ZN4vllm3moe17topkGatingSoftmaxIfLi2ELi2ELi8ELi8ELb0ELi8ELNS0_23SharedExpertScoringFuncE1EEEvPKT_PKbPfiPiS9_iiiiii ; -- Begin function _ZN4vllm3moe17topkGatingSoftmaxIfLi2ELi2ELi8ELi8ELb0ELi8ELNS0_23SharedExpertScoringFuncE1EEEvPKT_PKbPfiPiS9_iiiiii
	.globl	_ZN4vllm3moe17topkGatingSoftmaxIfLi2ELi2ELi8ELi8ELb0ELi8ELNS0_23SharedExpertScoringFuncE1EEEvPKT_PKbPfiPiS9_iiiiii
	.p2align	8
	.type	_ZN4vllm3moe17topkGatingSoftmaxIfLi2ELi2ELi8ELi8ELb0ELi8ELNS0_23SharedExpertScoringFuncE1EEEvPKT_PKbPfiPiS9_iiiiii,@function
_ZN4vllm3moe17topkGatingSoftmaxIfLi2ELi2ELi8ELi8ELb0ELi8ELNS0_23SharedExpertScoringFuncE1EEEvPKT_PKbPfiPiS9_iiiiii: ; @_ZN4vllm3moe17topkGatingSoftmaxIfLi2ELi2ELi8ELi8ELb0ELi8ELNS0_23SharedExpertScoringFuncE1EEEvPKT_PKbPfiPiS9_iiiiii
; %bb.0:
	s_load_dword s18, s[4:5], 0x18
	v_bfe_u32 v1, v0, 10, 10
	s_lshl_b32 s19, s6, 9
	v_lshlrev_b32_e32 v15, 6, v1
	v_and_b32_e32 v16, 0x3ff, v0
	v_add3_u32 v17, v15, v16, s19
	s_waitcnt lgkmcnt(0)
	v_cmp_gt_i32_e32 vcc, s18, v17
	s_and_saveexec_b64 s[0:1], vcc
	s_cbranch_execz .LBB20_19
; %bb.1:
	s_load_dwordx4 s[0:3], s[4:5], 0x0
	s_load_dwordx2 s[12:13], s[4:5], 0x10
	s_waitcnt lgkmcnt(0)
	s_cmp_eq_u64 s[2:3], 0
	s_cbranch_scc1 .LBB20_3
; %bb.2:
	v_ashrrev_i32_e32 v1, 31, v17
	v_mov_b32_e32 v2, s3
	v_add_co_u32_e32 v0, vcc, s2, v17
	v_addc_co_u32_e32 v1, vcc, v2, v1, vcc
	global_load_ubyte v0, v[0:1], off
	s_waitcnt vmcnt(0)
	v_and_b32_e32 v0, 1, v0
	v_cmp_eq_u32_e32 vcc, 1, v0
	s_xor_b64 s[2:3], vcc, -1
	s_orn2_b64 s[14:15], s[2:3], exec
	s_branch .LBB20_4
.LBB20_3:
	s_mov_b64 s[14:15], -1
.LBB20_4:
	s_load_dwordx2 s[2:3], s[4:5], 0x40
	s_load_dwordx4 s[8:11], s[4:5], 0x30
	v_mov_b32_e32 v2, s1
	s_mov_b32 s1, 0xc2b17218
	v_mov_b32_e32 v14, 0x7f800000
	s_waitcnt lgkmcnt(0)
	v_mul_lo_u32 v0, v17, s3
	v_ashrrev_i32_e32 v1, 31, v0
	v_lshlrev_b64 v[0:1], 2, v[0:1]
	v_add_co_u32_e32 v6, vcc, s0, v0
	v_addc_co_u32_e32 v7, vcc, v2, v1, vcc
	global_load_dwordx3 v[0:2], v[6:7], off
	s_mov_b32 s3, 0xbfb8aa3b
	s_mov_b32 s0, 0x42ce8ed0
	v_mul_lo_u32 v4, v17, s11
	v_mov_b32_e32 v3, s13
	s_cmp_gt_i32 s8, 0
	v_mov_b32_e32 v18, 0
	s_cselect_b64 s[16:17], -1, 0
	s_cmp_lt_i32 s8, 1
	s_waitcnt vmcnt(0)
	v_mul_f32_e32 v5, 0xbfb8aa3b, v2
	v_fma_f32 v8, v2, s3, -v5
	v_rndne_f32_e32 v9, v5
	v_fmac_f32_e32 v8, 0xb2a5705f, v2
	v_sub_f32_e32 v5, v5, v9
	v_add_f32_e32 v5, v5, v8
	v_cvt_i32_f32_e32 v10, v9
	v_exp_f32_e32 v5, v5
	v_cmp_nlt_f32_e32 vcc, s0, v2
	v_add_u32_e32 v8, s8, v4
	v_ashrrev_i32_e32 v9, 31, v8
	v_ldexp_f32 v5, v5, v10
	v_cndmask_b32_e32 v5, 0, v5, vcc
	v_cmp_ngt_f32_e32 vcc, s1, v2
	v_cndmask_b32_e32 v2, v14, v5, vcc
	v_add_f32_e32 v5, 1.0, v2
	v_div_scale_f32 v10, s[6:7], v5, v5, 1.0
	v_rcp_f32_e32 v11, v10
	v_lshlrev_b64 v[8:9], 2, v[8:9]
	v_add_co_u32_e32 v2, vcc, s12, v8
	v_addc_co_u32_e32 v3, vcc, v3, v9, vcc
	v_fma_f32 v9, -v10, v11, 1.0
	v_div_scale_f32 v8, vcc, 1.0, v5, 1.0
	v_fmac_f32_e32 v11, v9, v11
	v_mul_f32_e32 v9, v8, v11
	v_fma_f32 v12, -v10, v9, v8
	v_fmac_f32_e32 v9, v12, v11
	v_fma_f32 v8, -v10, v9, v8
	v_div_fmas_f32 v8, v8, v11, v9
	v_div_fixup_f32 v5, v8, v5, 1.0
	global_store_dword v[2:3], v5, off
	global_load_dword v5, v[6:7], off offset:12
	s_waitcnt vmcnt(0)
	v_mul_f32_e32 v8, 0xbfb8aa3b, v5
	v_fma_f32 v9, v5, s3, -v8
	v_rndne_f32_e32 v10, v8
	v_fmac_f32_e32 v9, 0xb2a5705f, v5
	v_sub_f32_e32 v8, v8, v10
	v_add_f32_e32 v8, v8, v9
	v_cvt_i32_f32_e32 v10, v10
	v_exp_f32_e32 v8, v8
	v_cmp_nlt_f32_e32 vcc, s0, v5
	v_ldexp_f32 v8, v8, v10
	v_cndmask_b32_e32 v8, 0, v8, vcc
	v_cmp_ngt_f32_e32 vcc, s1, v5
	v_cndmask_b32_e32 v5, v14, v8, vcc
	v_add_f32_e32 v5, 1.0, v5
	v_div_scale_f32 v8, s[6:7], v5, v5, 1.0
	v_rcp_f32_e32 v9, v8
	v_div_scale_f32 v10, vcc, 1.0, v5, 1.0
	v_fma_f32 v11, -v8, v9, 1.0
	v_fmac_f32_e32 v9, v11, v9
	v_mul_f32_e32 v11, v10, v9
	v_fma_f32 v12, -v8, v11, v10
	v_fmac_f32_e32 v11, v12, v9
	v_fma_f32 v8, -v8, v11, v10
	v_div_fmas_f32 v8, v8, v9, v11
	v_div_fixup_f32 v5, v8, v5, 1.0
	global_store_dword v[2:3], v5, off offset:4
	global_load_dword v5, v[6:7], off offset:16
	s_waitcnt vmcnt(0)
	v_mul_f32_e32 v8, 0xbfb8aa3b, v5
	v_fma_f32 v9, v5, s3, -v8
	v_rndne_f32_e32 v10, v8
	v_fmac_f32_e32 v9, 0xb2a5705f, v5
	v_sub_f32_e32 v8, v8, v10
	v_add_f32_e32 v8, v8, v9
	v_cvt_i32_f32_e32 v10, v10
	v_exp_f32_e32 v8, v8
	v_cmp_nlt_f32_e32 vcc, s0, v5
	v_ldexp_f32 v8, v8, v10
	v_cndmask_b32_e32 v8, 0, v8, vcc
	v_cmp_ngt_f32_e32 vcc, s1, v5
	v_cndmask_b32_e32 v5, v14, v8, vcc
	v_add_f32_e32 v5, 1.0, v5
	v_div_scale_f32 v8, s[6:7], v5, v5, 1.0
	v_rcp_f32_e32 v9, v8
	v_div_scale_f32 v10, vcc, 1.0, v5, 1.0
	v_fma_f32 v11, -v8, v9, 1.0
	v_fmac_f32_e32 v9, v11, v9
	v_mul_f32_e32 v11, v10, v9
	v_fma_f32 v12, -v8, v11, v10
	v_fmac_f32_e32 v11, v12, v9
	v_fma_f32 v8, -v8, v11, v10
	v_div_fmas_f32 v8, v8, v9, v11
	v_div_fixup_f32 v5, v8, v5, 1.0
	global_store_dword v[2:3], v5, off offset:8
	;; [unrolled: 28-line block ×6, first 2 shown]
	global_load_dword v5, v[6:7], off offset:36
	s_waitcnt vmcnt(0)
	v_mul_f32_e32 v6, 0xbfb8aa3b, v5
	v_fma_f32 v7, v5, s3, -v6
	v_rndne_f32_e32 v8, v6
	v_fmac_f32_e32 v7, 0xb2a5705f, v5
	v_sub_f32_e32 v6, v6, v8
	v_add_f32_e32 v6, v6, v7
	v_cvt_i32_f32_e32 v8, v8
	v_exp_f32_e32 v6, v6
	v_cmp_nlt_f32_e32 vcc, s0, v5
	v_ldexp_f32 v6, v6, v8
	v_cndmask_b32_e32 v6, 0, v6, vcc
	v_cmp_ngt_f32_e32 vcc, s1, v5
	v_cndmask_b32_e32 v5, v14, v6, vcc
	v_add_f32_e32 v5, 1.0, v5
	v_div_scale_f32 v6, s[0:1], v5, v5, 1.0
	v_rcp_f32_e32 v7, v6
	v_div_scale_f32 v8, vcc, 1.0, v5, 1.0
	v_fma_f32 v9, -v6, v7, 1.0
	v_fmac_f32_e32 v7, v9, v7
	v_mul_f32_e32 v9, v8, v7
	v_fma_f32 v10, -v6, v9, v8
	v_fmac_f32_e32 v9, v10, v7
	v_fma_f32 v6, -v6, v9, v8
	v_div_fmas_f32 v6, v6, v7, v9
	v_div_fixup_f32 v5, v6, v5, 1.0
	v_cmp_lt_f32_e32 vcc, v0, v1
	global_store_dword v[2:3], v5, off offset:28
	v_cndmask_b32_e32 v2, v0, v1, vcc
	s_cbranch_scc1 .LBB20_8
; %bb.5:
	v_sub_f32_e32 v3, v2, v2
	v_mul_f32_e32 v5, 0x3fb8aa3b, v3
	s_mov_b32 s11, 0x3fb8aa3b
	v_rndne_f32_e32 v7, v5
	v_sub_f32_e32 v8, v5, v7
	v_fma_f32 v5, v3, s11, -v5
	v_fmac_f32_e32 v5, 0x32a5705f, v3
	v_add_f32_e32 v5, v8, v5
	v_exp_f32_e32 v5, v5
	v_cvt_i32_f32_e32 v7, v7
	v_cndmask_b32_e64 v19, 0, 1, vcc
	v_mul_lo_u32 v6, v17, s2
	v_cmp_le_i32_e64 s[0:1], s9, v19
	v_cmp_gt_i32_e64 s[2:3], s10, v19
	s_mov_b32 s20, 0xc2ce8ed0
	s_and_b64 s[22:23], s[0:1], s[2:3]
	v_ldexp_f32 v5, v5, v7
	v_cmp_ngt_f32_e64 s[0:1], s20, v3
	s_mov_b32 s21, 0x42b17218
	v_cndmask_b32_e64 v5, 0, v5, s[0:1]
	v_cmp_nlt_f32_e64 s[0:1], s21, v3
	s_load_dwordx4 s[4:7], s[4:5], 0x20
	v_cndmask_b32_e64 v18, v14, v5, s[0:1]
	v_ashrrev_i32_e32 v5, 31, v4
	v_lshlrev_b64 v[10:11], 2, v[4:5]
	v_mov_b32_e32 v3, s13
	v_add_co_u32_e64 v12, s[0:1], s12, v10
	v_addc_co_u32_e64 v13, s[2:3], v3, v11, s[0:1]
	v_ashrrev_i32_e32 v7, 31, v6
	v_subrev_u32_e32 v3, s9, v19
	s_and_b64 s[2:3], s[14:15], s[22:23]
	v_lshlrev_b64 v[8:9], 2, v[6:7]
	v_mul_lo_u32 v20, v17, s8
	v_cndmask_b32_e64 v3, 2, v3, s[2:3]
	s_waitcnt lgkmcnt(0)
	v_mov_b32_e32 v5, s5
	v_add_co_u32_e64 v6, s[2:3], s4, v8
	v_addc_co_u32_e64 v7, s[2:3], v5, v9, s[2:3]
	v_ashrrev_i32_e32 v21, 31, v20
	global_store_dword v[6:7], v3, off
	v_lshlrev_b64 v[6:7], 2, v[20:21]
	v_mov_b32_e32 v3, s7
	v_add_co_u32_e64 v20, s[2:3], s6, v6
	v_addc_co_u32_e64 v21, s[2:3], v3, v7, s[2:3]
	v_mov_b32_e32 v3, 0xff800000
	v_cndmask_b32_e32 v0, v3, v0, vcc
	v_cmp_ne_u32_e32 vcc, 1, v19
	s_cmp_eq_u32 s8, 1
	v_cndmask_b32_e32 v1, v3, v1, vcc
	global_store_dword v[12:13], v18, off
	global_store_dword v[20:21], v17, off
	s_cbranch_scc1 .LBB20_8
; %bb.6:
	v_mov_b32_e32 v5, s7
	v_add_co_u32_e32 v6, vcc, s6, v6
	v_addc_co_u32_e32 v5, vcc, v7, v5, vcc
	v_add_co_u32_e32 v6, vcc, 4, v6
	v_addc_co_u32_e32 v7, vcc, 0, v5, vcc
	v_mov_b32_e32 v5, s5
	v_add_co_u32_e32 v8, vcc, s4, v8
	v_addc_co_u32_e32 v5, vcc, v9, v5, vcc
	v_add_co_u32_e32 v8, vcc, 4, v8
	v_addc_co_u32_e32 v9, vcc, 0, v5, vcc
	v_mov_b32_e32 v5, s13
	v_addc_co_u32_e64 v5, vcc, v11, v5, s[0:1]
	v_add_co_u32_e32 v10, vcc, 4, v12
	s_add_i32 s19, s19, s18
	v_addc_co_u32_e32 v11, vcc, 0, v5, vcc
	s_add_i32 s2, s8, -1
	v_add3_u32 v5, s19, v16, v15
	v_mov_b32_e32 v12, 0x7f800000
.LBB20_7:                               ; =>This Inner Loop Header: Depth=1
	v_cmp_gt_f32_e32 vcc, v1, v0
	v_cndmask_b32_e32 v13, v0, v1, vcc
	v_cndmask_b32_e64 v15, 0, 1, vcc
	v_sub_f32_e32 v13, v13, v2
	v_cndmask_b32_e32 v1, v1, v3, vcc
	v_cndmask_b32_e32 v0, v3, v0, vcc
	v_cmp_le_i32_e32 vcc, s9, v15
	v_cmp_gt_i32_e64 s[0:1], s10, v15
	v_mul_f32_e32 v16, 0x3fb8aa3b, v13
	s_and_b64 s[0:1], vcc, s[0:1]
	v_fma_f32 v17, v13, s11, -v16
	v_rndne_f32_e32 v19, v16
	v_subrev_u32_e32 v15, s9, v15
	v_fmac_f32_e32 v17, 0x32a5705f, v13
	v_sub_f32_e32 v16, v16, v19
	s_and_b64 vcc, s[14:15], s[0:1]
	v_cndmask_b32_e32 v15, 2, v15, vcc
	v_add_f32_e32 v16, v16, v17
	v_cvt_i32_f32_e32 v19, v19
	global_store_dword v[8:9], v15, off
	global_store_dword v[6:7], v5, off
	v_add_co_u32_e32 v6, vcc, 4, v6
	v_exp_f32_e32 v15, v16
	v_addc_co_u32_e32 v7, vcc, 0, v7, vcc
	v_add_co_u32_e32 v8, vcc, 4, v8
	v_addc_co_u32_e32 v9, vcc, 0, v9, vcc
	v_ldexp_f32 v15, v15, v19
	v_cmp_ngt_f32_e32 vcc, s20, v13
	v_cndmask_b32_e32 v15, 0, v15, vcc
	v_cmp_nlt_f32_e32 vcc, s21, v13
	v_cndmask_b32_e32 v13, v12, v15, vcc
	s_add_i32 s2, s2, -1
	global_store_dword v[10:11], v13, off
	v_add_co_u32_e32 v10, vcc, 4, v10
	v_add_u32_e32 v5, s18, v5
	s_cmp_eq_u32 s2, 0
	v_add_f32_e32 v18, v18, v13
	v_addc_co_u32_e32 v11, vcc, 0, v11, vcc
	s_cbranch_scc0 .LBB20_7
.LBB20_8:
	v_pk_add_f32 v[0:1], v[0:1], v[2:3] op_sel_hi:[1,0] neg_lo:[0,1] neg_hi:[0,1]
	s_mov_b32 s0, 0x3fb8aa3b
	v_mul_f32_e32 v2, 0x3fb8aa3b, v1
	v_fma_f32 v3, v1, s0, -v2
	v_rndne_f32_e32 v5, v2
	v_fmac_f32_e32 v3, 0x32a5705f, v1
	v_sub_f32_e32 v2, v2, v5
	v_add_f32_e32 v2, v2, v3
	v_exp_f32_e32 v2, v2
	v_cvt_i32_f32_e32 v3, v5
	s_mov_b32 s1, 0xc2ce8ed0
	v_cmp_ngt_f32_e32 vcc, s1, v1
	v_ldexp_f32 v2, v2, v3
	v_mul_f32_e32 v3, 0x3fb8aa3b, v0
	v_fma_f32 v5, v0, s0, -v3
	v_rndne_f32_e32 v6, v3
	v_fmac_f32_e32 v5, 0x32a5705f, v0
	v_sub_f32_e32 v3, v3, v6
	v_add_f32_e32 v3, v3, v5
	v_exp_f32_e32 v3, v3
	v_cvt_i32_f32_e32 v5, v6
	s_mov_b32 s0, 0x42b17218
	v_cndmask_b32_e32 v2, 0, v2, vcc
	v_cmp_nlt_f32_e32 vcc, s0, v1
	v_cndmask_b32_e32 v1, v14, v2, vcc
	v_ldexp_f32 v2, v3, v5
	v_cmp_ngt_f32_e32 vcc, s1, v0
	v_cndmask_b32_e32 v2, 0, v2, vcc
	v_cmp_nlt_f32_e32 vcc, s0, v0
	v_cndmask_b32_e32 v0, v14, v2, vcc
	v_add_f32_e32 v0, v0, v1
	v_add_f32_e32 v0, v18, v0
	v_cmp_neq_f32_e32 vcc, 0, v0
	s_and_b64 exec, exec, vcc
	s_cbranch_execz .LBB20_19
; %bb.9:
	s_andn2_b64 vcc, exec, s[16:17]
	s_cbranch_vccnz .LBB20_19
; %bb.10:
	v_div_scale_f32 v1, s[0:1], v0, v0, 1.0
	v_rcp_f32_e32 v2, v1
	v_div_scale_f32 v3, vcc, 1.0, v0, 1.0
	s_cmp_gt_u32 s8, 3
	v_fma_f32 v5, -v1, v2, 1.0
	v_fmac_f32_e32 v2, v5, v2
	v_mul_f32_e32 v5, v3, v2
	v_fma_f32 v6, -v1, v5, v3
	v_fmac_f32_e32 v5, v6, v2
	v_fma_f32 v1, -v1, v5, v3
	v_div_fmas_f32 v1, v1, v2, v5
	v_div_fixup_f32 v0, v1, v0, 1.0
	v_ashrrev_i32_e32 v5, 31, v4
	s_cbranch_scc0 .LBB20_14
; %bb.11:
	v_lshlrev_b64 v[2:3], 2, v[4:5]
	v_mov_b32_e32 v6, s13
	v_add_co_u32_e32 v2, vcc, s12, v2
	v_addc_co_u32_e32 v3, vcc, v3, v6, vcc
	s_and_b32 s4, s8, 0x7ffffffc
	v_add_co_u32_e32 v2, vcc, 8, v2
	v_mov_b32_e32 v1, v0
	v_addc_co_u32_e32 v3, vcc, 0, v3, vcc
	s_mov_b32 s0, s4
.LBB20_12:                              ; =>This Inner Loop Header: Depth=1
	global_load_dwordx4 v[6:9], v[2:3], off offset:-8
	s_add_i32 s0, s0, -4
	s_cmp_lg_u32 s0, 0
	s_waitcnt vmcnt(0)
	v_pk_mul_f32 v[6:7], v[0:1], v[6:7]
	v_pk_mul_f32 v[8:9], v[0:1], v[8:9]
	global_store_dwordx4 v[2:3], v[6:9], off offset:-8
	v_add_co_u32_e32 v2, vcc, 16, v2
	v_addc_co_u32_e32 v3, vcc, 0, v3, vcc
	s_cbranch_scc1 .LBB20_12
; %bb.13:
	s_cmp_lg_u32 s4, s8
	s_cselect_b64 s[0:1], -1, 0
	s_branch .LBB20_16
.LBB20_14:
	s_mov_b64 s[0:1], 0
                                        ; implicit-def: $sgpr4
	s_cbranch_execz .LBB20_16
; %bb.15:
	s_mov_b64 s[0:1], -1
	s_mov_b32 s4, 0
.LBB20_16:
	s_andn2_b64 vcc, exec, s[0:1]
	s_cbranch_vccnz .LBB20_19
; %bb.17:
	v_add_co_u32_e32 v2, vcc, s4, v4
	v_addc_co_u32_e32 v3, vcc, 0, v5, vcc
	v_lshlrev_b64 v[2:3], 2, v[2:3]
	v_mov_b32_e32 v1, s13
	v_add_co_u32_e32 v2, vcc, s12, v2
	s_sub_i32 s0, s8, s4
	v_addc_co_u32_e32 v3, vcc, v1, v3, vcc
.LBB20_18:                              ; =>This Inner Loop Header: Depth=1
	global_load_dword v1, v[2:3], off
	s_add_i32 s0, s0, -1
	s_cmp_lg_u32 s0, 0
	s_waitcnt vmcnt(0)
	v_mul_f32_e32 v1, v0, v1
	global_store_dword v[2:3], v1, off
	v_add_co_u32_e32 v2, vcc, 4, v2
	v_addc_co_u32_e32 v3, vcc, 0, v3, vcc
	s_cbranch_scc1 .LBB20_18
.LBB20_19:
	s_endpgm
	.section	.rodata,"a",@progbits
	.p2align	6, 0x0
	.amdhsa_kernel _ZN4vllm3moe17topkGatingSoftmaxIfLi2ELi2ELi8ELi8ELb0ELi8ELNS0_23SharedExpertScoringFuncE1EEEvPKT_PKbPfiPiS9_iiiiii
		.amdhsa_group_segment_fixed_size 0
		.amdhsa_private_segment_fixed_size 0
		.amdhsa_kernarg_size 72
		.amdhsa_user_sgpr_count 6
		.amdhsa_user_sgpr_private_segment_buffer 1
		.amdhsa_user_sgpr_dispatch_ptr 0
		.amdhsa_user_sgpr_queue_ptr 0
		.amdhsa_user_sgpr_kernarg_segment_ptr 1
		.amdhsa_user_sgpr_dispatch_id 0
		.amdhsa_user_sgpr_flat_scratch_init 0
		.amdhsa_user_sgpr_kernarg_preload_length 0
		.amdhsa_user_sgpr_kernarg_preload_offset 0
		.amdhsa_user_sgpr_private_segment_size 0
		.amdhsa_uses_dynamic_stack 0
		.amdhsa_system_sgpr_private_segment_wavefront_offset 0
		.amdhsa_system_sgpr_workgroup_id_x 1
		.amdhsa_system_sgpr_workgroup_id_y 0
		.amdhsa_system_sgpr_workgroup_id_z 0
		.amdhsa_system_sgpr_workgroup_info 0
		.amdhsa_system_vgpr_workitem_id 1
		.amdhsa_next_free_vgpr 22
		.amdhsa_next_free_sgpr 24
		.amdhsa_accum_offset 24
		.amdhsa_reserve_vcc 1
		.amdhsa_reserve_flat_scratch 0
		.amdhsa_float_round_mode_32 0
		.amdhsa_float_round_mode_16_64 0
		.amdhsa_float_denorm_mode_32 3
		.amdhsa_float_denorm_mode_16_64 3
		.amdhsa_dx10_clamp 1
		.amdhsa_ieee_mode 1
		.amdhsa_fp16_overflow 0
		.amdhsa_tg_split 0
		.amdhsa_exception_fp_ieee_invalid_op 0
		.amdhsa_exception_fp_denorm_src 0
		.amdhsa_exception_fp_ieee_div_zero 0
		.amdhsa_exception_fp_ieee_overflow 0
		.amdhsa_exception_fp_ieee_underflow 0
		.amdhsa_exception_fp_ieee_inexact 0
		.amdhsa_exception_int_div_zero 0
	.end_amdhsa_kernel
	.section	.text._ZN4vllm3moe17topkGatingSoftmaxIfLi2ELi2ELi8ELi8ELb0ELi8ELNS0_23SharedExpertScoringFuncE1EEEvPKT_PKbPfiPiS9_iiiiii,"axG",@progbits,_ZN4vllm3moe17topkGatingSoftmaxIfLi2ELi2ELi8ELi8ELb0ELi8ELNS0_23SharedExpertScoringFuncE1EEEvPKT_PKbPfiPiS9_iiiiii,comdat
.Lfunc_end20:
	.size	_ZN4vllm3moe17topkGatingSoftmaxIfLi2ELi2ELi8ELi8ELb0ELi8ELNS0_23SharedExpertScoringFuncE1EEEvPKT_PKbPfiPiS9_iiiiii, .Lfunc_end20-_ZN4vllm3moe17topkGatingSoftmaxIfLi2ELi2ELi8ELi8ELb0ELi8ELNS0_23SharedExpertScoringFuncE1EEEvPKT_PKbPfiPiS9_iiiiii
                                        ; -- End function
	.section	.AMDGPU.csdata,"",@progbits
; Kernel info:
; codeLenInByte = 2700
; NumSgprs: 28
; NumVgprs: 22
; NumAgprs: 0
; TotalNumVgprs: 22
; ScratchSize: 0
; MemoryBound: 0
; FloatMode: 240
; IeeeMode: 1
; LDSByteSize: 0 bytes/workgroup (compile time only)
; SGPRBlocks: 3
; VGPRBlocks: 2
; NumSGPRsForWavesPerEU: 28
; NumVGPRsForWavesPerEU: 22
; AccumOffset: 24
; Occupancy: 8
; WaveLimiterHint : 0
; COMPUTE_PGM_RSRC2:SCRATCH_EN: 0
; COMPUTE_PGM_RSRC2:USER_SGPR: 6
; COMPUTE_PGM_RSRC2:TRAP_HANDLER: 0
; COMPUTE_PGM_RSRC2:TGID_X_EN: 1
; COMPUTE_PGM_RSRC2:TGID_Y_EN: 0
; COMPUTE_PGM_RSRC2:TGID_Z_EN: 0
; COMPUTE_PGM_RSRC2:TIDIG_COMP_CNT: 1
; COMPUTE_PGM_RSRC3_GFX90A:ACCUM_OFFSET: 5
; COMPUTE_PGM_RSRC3_GFX90A:TG_SPLIT: 0
	.section	.text._ZN4vllm3moe17topkGatingSoftmaxIfLi4ELi4ELi8ELi16ELb1ELi0ELNS0_23SharedExpertScoringFuncE0EEEvPKT_PKbPfiPiS9_iiiiii,"axG",@progbits,_ZN4vllm3moe17topkGatingSoftmaxIfLi4ELi4ELi8ELi16ELb1ELi0ELNS0_23SharedExpertScoringFuncE0EEEvPKT_PKbPfiPiS9_iiiiii,comdat
	.protected	_ZN4vllm3moe17topkGatingSoftmaxIfLi4ELi4ELi8ELi16ELb1ELi0ELNS0_23SharedExpertScoringFuncE0EEEvPKT_PKbPfiPiS9_iiiiii ; -- Begin function _ZN4vllm3moe17topkGatingSoftmaxIfLi4ELi4ELi8ELi16ELb1ELi0ELNS0_23SharedExpertScoringFuncE0EEEvPKT_PKbPfiPiS9_iiiiii
	.globl	_ZN4vllm3moe17topkGatingSoftmaxIfLi4ELi4ELi8ELi16ELb1ELi0ELNS0_23SharedExpertScoringFuncE0EEEvPKT_PKbPfiPiS9_iiiiii
	.p2align	8
	.type	_ZN4vllm3moe17topkGatingSoftmaxIfLi4ELi4ELi8ELi16ELb1ELi0ELNS0_23SharedExpertScoringFuncE0EEEvPKT_PKbPfiPiS9_iiiiii,@function
_ZN4vllm3moe17topkGatingSoftmaxIfLi4ELi4ELi8ELi16ELb1ELi0ELNS0_23SharedExpertScoringFuncE0EEEvPKT_PKbPfiPiS9_iiiiii: ; @_ZN4vllm3moe17topkGatingSoftmaxIfLi4ELi4ELi8ELi16ELb1ELi0ELNS0_23SharedExpertScoringFuncE0EEEvPKT_PKbPfiPiS9_iiiiii
; %bb.0:
	s_load_dword s18, s[4:5], 0x18
	v_bfe_u32 v1, v0, 10, 10
	s_lshl_b32 s22, s6, 9
	v_lshlrev_b32_e32 v14, 6, v1
	v_and_b32_e32 v15, 0x3ff, v0
	v_add3_u32 v12, v14, v15, s22
	s_waitcnt lgkmcnt(0)
	v_cmp_gt_i32_e32 vcc, s18, v12
	s_and_saveexec_b64 s[0:1], vcc
	s_cbranch_execz .LBB21_20
; %bb.1:
	s_load_dwordx4 s[0:3], s[4:5], 0x0
	s_load_dwordx2 s[12:13], s[4:5], 0x10
	s_waitcnt lgkmcnt(0)
	s_cmp_eq_u64 s[2:3], 0
	s_cbranch_scc1 .LBB21_3
; %bb.2:
	v_ashrrev_i32_e32 v1, 31, v12
	v_mov_b32_e32 v2, s3
	v_add_co_u32_e32 v0, vcc, s2, v12
	v_addc_co_u32_e32 v1, vcc, v2, v1, vcc
	global_load_ubyte v0, v[0:1], off
	s_waitcnt vmcnt(0)
	v_and_b32_e32 v0, 1, v0
	v_cmp_eq_u32_e32 vcc, 1, v0
	s_xor_b64 s[2:3], vcc, -1
	s_orn2_b64 s[16:17], s[2:3], exec
	s_branch .LBB21_4
.LBB21_3:
	s_mov_b64 s[16:17], -1
.LBB21_4:
	s_load_dwordx4 s[8:11], s[4:5], 0x30
	s_waitcnt lgkmcnt(0)
	s_cmp_gt_i32 s8, 0
	s_cselect_b64 s[14:15], -1, 0
	s_cmp_lt_i32 s8, 1
	s_cbranch_scc1 .LBB21_9
; %bb.5:
	s_load_dwordx2 s[2:3], s[4:5], 0x40
	v_mov_b32_e32 v2, s1
	s_load_dwordx4 s[4:7], s[4:5], 0x20
	v_mul_lo_u32 v4, v12, s11
	v_ashrrev_i32_e32 v5, 31, v4
	s_waitcnt lgkmcnt(0)
	v_mul_lo_u32 v0, v12, s3
	v_ashrrev_i32_e32 v1, 31, v0
	v_lshlrev_b64 v[0:1], 2, v[0:1]
	v_add_co_u32_e32 v0, vcc, s0, v0
	v_addc_co_u32_e32 v1, vcc, v2, v1, vcc
	global_load_dwordx4 v[0:3], v[0:1], off
	v_mul_lo_u32 v6, v12, s8
	v_lshlrev_b64 v[8:9], 2, v[4:5]
	v_mov_b32_e32 v11, s13
	v_ashrrev_i32_e32 v7, 31, v6
	v_add_co_u32_e32 v10, vcc, s12, v8
	v_lshlrev_b64 v[4:5], 2, v[6:7]
	v_addc_co_u32_e64 v11, s[0:1], v11, v9, vcc
	v_mul_lo_u32 v6, v12, s2
	v_mov_b32_e32 v16, s7
	v_ashrrev_i32_e32 v7, 31, v6
	v_add_co_u32_e64 v18, s[0:1], s6, v4
	v_addc_co_u32_e64 v19, s[0:1], v16, v5, s[0:1]
	v_lshlrev_b64 v[6:7], 2, v[6:7]
	v_mov_b32_e32 v8, s5
	v_add_co_u32_e64 v20, s[0:1], s4, v6
	v_addc_co_u32_e64 v21, s[0:1], v8, v7, s[0:1]
	s_mov_b32 s19, 0x3fb8aa3b
	s_mov_b32 s20, 0xc2ce8ed0
	;; [unrolled: 1-line block ×3, first 2 shown]
	v_mov_b32_e32 v13, 0x7f800000
	s_waitcnt vmcnt(0)
	v_cmp_lt_f32_e64 s[0:1], v0, v1
	v_cndmask_b32_e64 v16, v0, v1, s[0:1]
	v_cndmask_b32_e64 v8, 0, 1, s[0:1]
	v_cmp_lt_f32_e64 s[0:1], v16, v2
	v_cndmask_b32_e64 v16, v16, v2, s[0:1]
	v_cndmask_b32_e64 v8, v8, 2, s[0:1]
	v_cmp_lt_f32_e64 s[0:1], v16, v3
	v_cndmask_b32_e64 v17, v16, v3, s[0:1]
	v_sub_f32_e32 v22, v17, v17
	v_mul_f32_e32 v23, 0x3fb8aa3b, v22
	v_fma_f32 v24, v22, s19, -v23
	v_rndne_f32_e32 v25, v23
	v_fmac_f32_e32 v24, 0x32a5705f, v22
	v_sub_f32_e32 v23, v23, v25
	v_cndmask_b32_e64 v8, v8, 3, s[0:1]
	v_add_f32_e32 v23, v23, v24
	v_cmp_le_i32_e64 s[0:1], s9, v8
	v_cmp_gt_i32_e64 s[2:3], s10, v8
	v_cvt_i32_f32_e32 v25, v25
	v_exp_f32_e32 v23, v23
	s_and_b64 s[0:1], s[0:1], s[2:3]
	v_subrev_u32_e32 v16, s9, v8
	s_and_b64 s[0:1], s[16:17], s[0:1]
	v_cndmask_b32_e64 v16, 4, v16, s[0:1]
	global_store_dword v[20:21], v16, off
	v_ldexp_f32 v16, v23, v25
	v_cmp_ngt_f32_e64 s[0:1], s20, v22
	v_cndmask_b32_e64 v16, 0, v16, s[0:1]
	v_cmp_nlt_f32_e64 s[0:1], s21, v22
	s_cmp_eq_u32 s8, 1
	v_cndmask_b32_e64 v16, v13, v16, s[0:1]
	global_store_dword v[10:11], v16, off
	global_store_dword v[18:19], v12, off
	s_cbranch_scc1 .LBB21_8
; %bb.6:
	v_mov_b32_e32 v11, 0xff800000
	v_cmp_ne_u32_e64 s[0:1], 3, v8
	v_cndmask_b32_e64 v3, v11, v3, s[0:1]
	v_cmp_ne_u32_e64 s[0:1], 2, v8
	v_cndmask_b32_e64 v2, v11, v2, s[0:1]
	;; [unrolled: 2-line block ×4, first 2 shown]
	v_mov_b32_e32 v8, s7
	v_add_co_u32_e64 v4, s[0:1], s6, v4
	v_addc_co_u32_e64 v5, s[0:1], v5, v8, s[0:1]
	v_add_co_u32_e64 v4, s[0:1], 4, v4
	v_addc_co_u32_e64 v5, s[0:1], 0, v5, s[0:1]
	v_mov_b32_e32 v8, s5
	v_add_co_u32_e64 v6, s[0:1], s4, v6
	v_addc_co_u32_e64 v7, s[0:1], v7, v8, s[0:1]
	v_mov_b32_e32 v8, s13
	v_addc_co_u32_e32 v9, vcc, v9, v8, vcc
	v_add_co_u32_e64 v6, s[0:1], 4, v6
	v_add_co_u32_e32 v8, vcc, 4, v10
	s_add_i32 s22, s22, s18
	v_addc_co_u32_e64 v7, s[0:1], 0, v7, s[0:1]
	v_addc_co_u32_e32 v9, vcc, 0, v9, vcc
	s_add_i32 s4, s8, -1
	v_add3_u32 v10, s22, v15, v14
.LBB21_7:                               ; =>This Inner Loop Header: Depth=1
	v_cmp_gt_f32_e32 vcc, v1, v0
	v_cndmask_b32_e32 v14, v0, v1, vcc
	v_cmp_gt_f32_e64 s[0:1], v2, v14
	v_cndmask_b32_e64 v14, v14, v2, s[0:1]
	v_cndmask_b32_e64 v15, 0, 1, vcc
	v_cmp_gt_f32_e32 vcc, v3, v14
	v_cndmask_b32_e64 v15, v15, 2, s[0:1]
	v_cndmask_b32_e64 v15, v15, 3, vcc
	v_cndmask_b32_e32 v14, v14, v3, vcc
	v_cmp_ne_u32_e64 s[2:3], 3, v15
	v_sub_f32_e32 v14, v14, v17
	v_cndmask_b32_e64 v3, v11, v3, s[2:3]
	v_cmp_ne_u32_e64 s[2:3], 2, v15
	v_cmp_le_i32_e32 vcc, s9, v15
	v_cmp_gt_i32_e64 s[0:1], s10, v15
	v_mul_f32_e32 v18, 0x3fb8aa3b, v14
	v_cndmask_b32_e64 v2, v11, v2, s[2:3]
	v_cmp_ne_u32_e64 s[2:3], 1, v15
	v_subrev_u32_e32 v19, s9, v15
	v_cndmask_b32_e64 v1, v11, v1, s[2:3]
	v_cmp_ne_u32_e64 s[2:3], 0, v15
	s_and_b64 s[0:1], vcc, s[0:1]
	v_fma_f32 v15, v14, s19, -v18
	v_rndne_f32_e32 v20, v18
	v_fmac_f32_e32 v15, 0x32a5705f, v14
	v_sub_f32_e32 v18, v18, v20
	s_and_b64 vcc, s[16:17], s[0:1]
	v_cndmask_b32_e32 v19, 4, v19, vcc
	v_add_f32_e32 v15, v18, v15
	v_cvt_i32_f32_e32 v20, v20
	global_store_dword v[6:7], v19, off
	global_store_dword v[4:5], v10, off
	v_add_co_u32_e32 v4, vcc, 4, v4
	v_exp_f32_e32 v15, v15
	v_addc_co_u32_e32 v5, vcc, 0, v5, vcc
	v_add_co_u32_e32 v6, vcc, 4, v6
	v_addc_co_u32_e32 v7, vcc, 0, v7, vcc
	v_ldexp_f32 v15, v15, v20
	v_cmp_ngt_f32_e32 vcc, s20, v14
	v_cndmask_b32_e32 v15, 0, v15, vcc
	v_cmp_nlt_f32_e32 vcc, s21, v14
	v_cndmask_b32_e32 v14, v13, v15, vcc
	s_add_i32 s4, s4, -1
	global_store_dword v[8:9], v14, off
	v_add_co_u32_e32 v8, vcc, 4, v8
	v_cndmask_b32_e64 v0, v11, v0, s[2:3]
	v_add_u32_e32 v10, s18, v10
	s_cmp_eq_u32 s4, 0
	v_add_f32_e32 v16, v16, v14
	v_addc_co_u32_e32 v9, vcc, 0, v9, vcc
	s_cbranch_scc0 .LBB21_7
.LBB21_8:
	v_cmp_neq_f32_e32 vcc, 0, v16
	s_and_b64 exec, exec, vcc
	s_cbranch_execnz .LBB21_10
	s_branch .LBB21_20
.LBB21_9:
	v_mov_b32_e32 v16, 0
	v_cmp_neq_f32_e32 vcc, 0, v16
	s_and_b64 exec, exec, vcc
	s_cbranch_execz .LBB21_20
.LBB21_10:
	s_andn2_b64 vcc, exec, s[14:15]
	s_cbranch_vccnz .LBB21_20
; %bb.11:
	v_div_scale_f32 v0, s[0:1], v16, v16, 1.0
	v_rcp_f32_e32 v1, v0
	v_div_scale_f32 v2, vcc, 1.0, v16, 1.0
	s_cmp_gt_u32 s8, 3
	v_fma_f32 v3, -v0, v1, 1.0
	v_fmac_f32_e32 v1, v3, v1
	v_mul_f32_e32 v3, v2, v1
	v_fma_f32 v4, -v0, v3, v2
	v_fmac_f32_e32 v3, v4, v1
	v_fma_f32 v0, -v0, v3, v2
	v_div_fmas_f32 v0, v0, v1, v3
	v_mul_lo_u32 v2, v12, s11
	v_div_fixup_f32 v0, v0, v16, 1.0
	v_ashrrev_i32_e32 v3, 31, v2
	s_cbranch_scc0 .LBB21_15
; %bb.12:
	v_lshlrev_b64 v[4:5], 2, v[2:3]
	v_mov_b32_e32 v6, s13
	v_add_co_u32_e32 v4, vcc, s12, v4
	v_addc_co_u32_e32 v5, vcc, v5, v6, vcc
	s_and_b32 s4, s8, 0x7ffffffc
	v_add_co_u32_e32 v4, vcc, 8, v4
	v_mov_b32_e32 v1, v0
	v_addc_co_u32_e32 v5, vcc, 0, v5, vcc
	s_mov_b32 s0, s4
.LBB21_13:                              ; =>This Inner Loop Header: Depth=1
	global_load_dwordx4 v[6:9], v[4:5], off offset:-8
	s_add_i32 s0, s0, -4
	s_cmp_lg_u32 s0, 0
	s_waitcnt vmcnt(0)
	v_pk_mul_f32 v[6:7], v[0:1], v[6:7]
	v_pk_mul_f32 v[8:9], v[0:1], v[8:9]
	global_store_dwordx4 v[4:5], v[6:9], off offset:-8
	v_add_co_u32_e32 v4, vcc, 16, v4
	v_addc_co_u32_e32 v5, vcc, 0, v5, vcc
	s_cbranch_scc1 .LBB21_13
; %bb.14:
	s_cmp_lg_u32 s4, s8
	s_cselect_b64 s[0:1], -1, 0
	s_branch .LBB21_17
.LBB21_15:
	s_mov_b64 s[0:1], 0
                                        ; implicit-def: $sgpr4
	s_cbranch_execz .LBB21_17
; %bb.16:
	s_mov_b64 s[0:1], -1
	s_mov_b32 s4, 0
.LBB21_17:
	s_andn2_b64 vcc, exec, s[0:1]
	s_cbranch_vccnz .LBB21_20
; %bb.18:
	v_add_co_u32_e32 v2, vcc, s4, v2
	v_addc_co_u32_e32 v3, vcc, 0, v3, vcc
	v_lshlrev_b64 v[2:3], 2, v[2:3]
	v_mov_b32_e32 v1, s13
	v_add_co_u32_e32 v2, vcc, s12, v2
	s_sub_i32 s0, s8, s4
	v_addc_co_u32_e32 v3, vcc, v1, v3, vcc
.LBB21_19:                              ; =>This Inner Loop Header: Depth=1
	global_load_dword v1, v[2:3], off
	s_add_i32 s0, s0, -1
	s_cmp_lg_u32 s0, 0
	s_waitcnt vmcnt(0)
	v_mul_f32_e32 v1, v0, v1
	global_store_dword v[2:3], v1, off
	v_add_co_u32_e32 v2, vcc, 4, v2
	v_addc_co_u32_e32 v3, vcc, 0, v3, vcc
	s_cbranch_scc1 .LBB21_19
.LBB21_20:
	s_endpgm
	.section	.rodata,"a",@progbits
	.p2align	6, 0x0
	.amdhsa_kernel _ZN4vllm3moe17topkGatingSoftmaxIfLi4ELi4ELi8ELi16ELb1ELi0ELNS0_23SharedExpertScoringFuncE0EEEvPKT_PKbPfiPiS9_iiiiii
		.amdhsa_group_segment_fixed_size 0
		.amdhsa_private_segment_fixed_size 0
		.amdhsa_kernarg_size 72
		.amdhsa_user_sgpr_count 6
		.amdhsa_user_sgpr_private_segment_buffer 1
		.amdhsa_user_sgpr_dispatch_ptr 0
		.amdhsa_user_sgpr_queue_ptr 0
		.amdhsa_user_sgpr_kernarg_segment_ptr 1
		.amdhsa_user_sgpr_dispatch_id 0
		.amdhsa_user_sgpr_flat_scratch_init 0
		.amdhsa_user_sgpr_kernarg_preload_length 0
		.amdhsa_user_sgpr_kernarg_preload_offset 0
		.amdhsa_user_sgpr_private_segment_size 0
		.amdhsa_uses_dynamic_stack 0
		.amdhsa_system_sgpr_private_segment_wavefront_offset 0
		.amdhsa_system_sgpr_workgroup_id_x 1
		.amdhsa_system_sgpr_workgroup_id_y 0
		.amdhsa_system_sgpr_workgroup_id_z 0
		.amdhsa_system_sgpr_workgroup_info 0
		.amdhsa_system_vgpr_workitem_id 1
		.amdhsa_next_free_vgpr 26
		.amdhsa_next_free_sgpr 23
		.amdhsa_accum_offset 28
		.amdhsa_reserve_vcc 1
		.amdhsa_reserve_flat_scratch 0
		.amdhsa_float_round_mode_32 0
		.amdhsa_float_round_mode_16_64 0
		.amdhsa_float_denorm_mode_32 3
		.amdhsa_float_denorm_mode_16_64 3
		.amdhsa_dx10_clamp 1
		.amdhsa_ieee_mode 1
		.amdhsa_fp16_overflow 0
		.amdhsa_tg_split 0
		.amdhsa_exception_fp_ieee_invalid_op 0
		.amdhsa_exception_fp_denorm_src 0
		.amdhsa_exception_fp_ieee_div_zero 0
		.amdhsa_exception_fp_ieee_overflow 0
		.amdhsa_exception_fp_ieee_underflow 0
		.amdhsa_exception_fp_ieee_inexact 0
		.amdhsa_exception_int_div_zero 0
	.end_amdhsa_kernel
	.section	.text._ZN4vllm3moe17topkGatingSoftmaxIfLi4ELi4ELi8ELi16ELb1ELi0ELNS0_23SharedExpertScoringFuncE0EEEvPKT_PKbPfiPiS9_iiiiii,"axG",@progbits,_ZN4vllm3moe17topkGatingSoftmaxIfLi4ELi4ELi8ELi16ELb1ELi0ELNS0_23SharedExpertScoringFuncE0EEEvPKT_PKbPfiPiS9_iiiiii,comdat
.Lfunc_end21:
	.size	_ZN4vllm3moe17topkGatingSoftmaxIfLi4ELi4ELi8ELi16ELb1ELi0ELNS0_23SharedExpertScoringFuncE0EEEvPKT_PKbPfiPiS9_iiiiii, .Lfunc_end21-_ZN4vllm3moe17topkGatingSoftmaxIfLi4ELi4ELi8ELi16ELb1ELi0ELNS0_23SharedExpertScoringFuncE0EEEvPKT_PKbPfiPiS9_iiiiii
                                        ; -- End function
	.section	.AMDGPU.csdata,"",@progbits
; Kernel info:
; codeLenInByte = 1416
; NumSgprs: 27
; NumVgprs: 26
; NumAgprs: 0
; TotalNumVgprs: 26
; ScratchSize: 0
; MemoryBound: 0
; FloatMode: 240
; IeeeMode: 1
; LDSByteSize: 0 bytes/workgroup (compile time only)
; SGPRBlocks: 3
; VGPRBlocks: 3
; NumSGPRsForWavesPerEU: 27
; NumVGPRsForWavesPerEU: 26
; AccumOffset: 28
; Occupancy: 8
; WaveLimiterHint : 0
; COMPUTE_PGM_RSRC2:SCRATCH_EN: 0
; COMPUTE_PGM_RSRC2:USER_SGPR: 6
; COMPUTE_PGM_RSRC2:TRAP_HANDLER: 0
; COMPUTE_PGM_RSRC2:TGID_X_EN: 1
; COMPUTE_PGM_RSRC2:TGID_Y_EN: 0
; COMPUTE_PGM_RSRC2:TGID_Z_EN: 0
; COMPUTE_PGM_RSRC2:TIDIG_COMP_CNT: 1
; COMPUTE_PGM_RSRC3_GFX90A:ACCUM_OFFSET: 6
; COMPUTE_PGM_RSRC3_GFX90A:TG_SPLIT: 0
	.section	.text._ZN4vllm3moe17topkGatingSoftmaxIfLi4ELi4ELi8ELi16ELb0ELi0ELNS0_23SharedExpertScoringFuncE0EEEvPKT_PKbPfiPiS9_iiiiii,"axG",@progbits,_ZN4vllm3moe17topkGatingSoftmaxIfLi4ELi4ELi8ELi16ELb0ELi0ELNS0_23SharedExpertScoringFuncE0EEEvPKT_PKbPfiPiS9_iiiiii,comdat
	.protected	_ZN4vllm3moe17topkGatingSoftmaxIfLi4ELi4ELi8ELi16ELb0ELi0ELNS0_23SharedExpertScoringFuncE0EEEvPKT_PKbPfiPiS9_iiiiii ; -- Begin function _ZN4vllm3moe17topkGatingSoftmaxIfLi4ELi4ELi8ELi16ELb0ELi0ELNS0_23SharedExpertScoringFuncE0EEEvPKT_PKbPfiPiS9_iiiiii
	.globl	_ZN4vllm3moe17topkGatingSoftmaxIfLi4ELi4ELi8ELi16ELb0ELi0ELNS0_23SharedExpertScoringFuncE0EEEvPKT_PKbPfiPiS9_iiiiii
	.p2align	8
	.type	_ZN4vllm3moe17topkGatingSoftmaxIfLi4ELi4ELi8ELi16ELb0ELi0ELNS0_23SharedExpertScoringFuncE0EEEvPKT_PKbPfiPiS9_iiiiii,@function
_ZN4vllm3moe17topkGatingSoftmaxIfLi4ELi4ELi8ELi16ELb0ELi0ELNS0_23SharedExpertScoringFuncE0EEEvPKT_PKbPfiPiS9_iiiiii: ; @_ZN4vllm3moe17topkGatingSoftmaxIfLi4ELi4ELi8ELi16ELb0ELi0ELNS0_23SharedExpertScoringFuncE0EEEvPKT_PKbPfiPiS9_iiiiii
; %bb.0:
	s_load_dword s20, s[4:5], 0x18
	v_bfe_u32 v1, v0, 10, 10
	s_lshl_b32 s22, s6, 9
	v_lshlrev_b32_e32 v16, 6, v1
	v_and_b32_e32 v17, 0x3ff, v0
	v_add3_u32 v5, v16, v17, s22
	s_waitcnt lgkmcnt(0)
	v_cmp_gt_i32_e32 vcc, s20, v5
	s_and_saveexec_b64 s[0:1], vcc
	s_cbranch_execz .LBB22_20
; %bb.1:
	s_load_dwordx4 s[0:3], s[4:5], 0x0
	s_load_dwordx2 s[12:13], s[4:5], 0x10
	s_waitcnt lgkmcnt(0)
	s_cmp_eq_u64 s[2:3], 0
	s_cbranch_scc1 .LBB22_3
; %bb.2:
	v_ashrrev_i32_e32 v1, 31, v5
	v_mov_b32_e32 v2, s3
	v_add_co_u32_e32 v0, vcc, s2, v5
	v_addc_co_u32_e32 v1, vcc, v2, v1, vcc
	global_load_ubyte v0, v[0:1], off
	s_waitcnt vmcnt(0)
	v_and_b32_e32 v0, 1, v0
	v_cmp_eq_u32_e32 vcc, 1, v0
	s_xor_b64 s[2:3], vcc, -1
	s_orn2_b64 s[16:17], s[2:3], exec
	s_branch .LBB22_4
.LBB22_3:
	s_mov_b64 s[16:17], -1
.LBB22_4:
	s_load_dwordx2 s[18:19], s[4:5], 0x40
	s_load_dwordx4 s[8:11], s[4:5], 0x30
	v_mov_b32_e32 v2, s1
	s_waitcnt lgkmcnt(0)
	v_mul_lo_u32 v0, v5, s19
	v_ashrrev_i32_e32 v1, 31, v0
	v_lshlrev_b64 v[0:1], 2, v[0:1]
	v_add_co_u32_e32 v0, vcc, s0, v0
	v_addc_co_u32_e32 v1, vcc, v2, v1, vcc
	global_load_dwordx4 v[0:3], v[0:1], off
	s_cmp_gt_i32 s8, 0
	s_cselect_b64 s[14:15], -1, 0
	s_cmp_lt_i32 s8, 1
	s_waitcnt vmcnt(0)
	v_cmp_lt_f32_e32 vcc, v0, v1
	v_cndmask_b32_e32 v4, v0, v1, vcc
	v_cmp_lt_f32_e64 s[0:1], v4, v2
	v_cndmask_b32_e64 v4, v4, v2, s[0:1]
	v_cmp_lt_f32_e64 s[2:3], v4, v3
	v_cndmask_b32_e64 v4, v4, v3, s[2:3]
	s_cbranch_scc1 .LBB22_8
; %bb.5:
	v_sub_f32_e32 v7, v4, v4
	v_mul_f32_e32 v9, 0x3fb8aa3b, v7
	v_mul_lo_u32 v8, v5, s18
	s_mov_b32 s18, 0x3fb8aa3b
	v_rndne_f32_e32 v10, v9
	v_sub_f32_e32 v11, v9, v10
	v_fma_f32 v9, v7, s18, -v9
	v_fmac_f32_e32 v9, 0x32a5705f, v7
	v_add_f32_e32 v9, v11, v9
	v_cndmask_b32_e64 v6, 0, 1, vcc
	v_exp_f32_e32 v9, v9
	v_cvt_i32_f32_e32 v10, v10
	v_cndmask_b32_e64 v6, v6, 2, s[0:1]
	v_cndmask_b32_e64 v20, v6, 3, s[2:3]
	v_cmp_le_i32_e32 vcc, s9, v20
	v_cmp_gt_i32_e64 s[0:1], s10, v20
	s_mov_b32 s19, 0xc2ce8ed0
	v_mul_lo_u32 v6, v5, s11
	s_and_b64 s[2:3], vcc, s[0:1]
	v_ldexp_f32 v9, v9, v10
	v_cmp_ngt_f32_e32 vcc, s19, v7
	s_mov_b32 s21, 0x42b17218
	s_load_dwordx4 s[4:7], s[4:5], 0x20
	v_cndmask_b32_e32 v9, 0, v9, vcc
	v_cmp_nlt_f32_e32 vcc, s21, v7
	v_ashrrev_i32_e32 v7, 31, v6
	v_mov_b32_e32 v15, 0x7f800000
	v_lshlrev_b64 v[10:11], 2, v[6:7]
	v_cndmask_b32_e32 v14, v15, v9, vcc
	v_mov_b32_e32 v6, s13
	v_add_co_u32_e32 v12, vcc, s12, v10
	v_addc_co_u32_e64 v13, s[0:1], v6, v11, vcc
	v_ashrrev_i32_e32 v9, 31, v8
	v_subrev_u32_e32 v6, s9, v20
	s_and_b64 s[0:1], s[16:17], s[2:3]
	v_lshlrev_b64 v[8:9], 2, v[8:9]
	v_mul_lo_u32 v18, v5, s8
	v_cndmask_b32_e64 v10, 4, v6, s[0:1]
	s_waitcnt lgkmcnt(0)
	v_mov_b32_e32 v7, s5
	v_add_co_u32_e64 v6, s[0:1], s4, v8
	v_addc_co_u32_e64 v7, s[0:1], v7, v9, s[0:1]
	v_ashrrev_i32_e32 v19, 31, v18
	global_store_dword v[6:7], v10, off
	v_lshlrev_b64 v[6:7], 2, v[18:19]
	v_mov_b32_e32 v10, s7
	v_add_co_u32_e64 v18, s[0:1], s6, v6
	v_addc_co_u32_e64 v19, s[0:1], v10, v7, s[0:1]
	global_store_dword v[12:13], v14, off
	v_mov_b32_e32 v13, 0xff800000
	v_cmp_ne_u32_e64 s[0:1], 3, v20
	v_cndmask_b32_e64 v3, v13, v3, s[0:1]
	v_cmp_ne_u32_e64 s[0:1], 2, v20
	v_cndmask_b32_e64 v2, v13, v2, s[0:1]
	;; [unrolled: 2-line block ×3, first 2 shown]
	v_cmp_ne_u32_e64 s[0:1], 0, v20
	s_cmp_eq_u32 s8, 1
	v_cndmask_b32_e64 v0, v13, v0, s[0:1]
	global_store_dword v[18:19], v5, off
	s_cbranch_scc1 .LBB22_9
; %bb.6:
	v_mov_b32_e32 v10, s7
	v_add_co_u32_e64 v6, s[0:1], s6, v6
	v_addc_co_u32_e64 v7, s[0:1], v7, v10, s[0:1]
	v_add_co_u32_e64 v6, s[0:1], 4, v6
	v_addc_co_u32_e64 v7, s[0:1], 0, v7, s[0:1]
	v_mov_b32_e32 v10, s5
	v_add_co_u32_e64 v8, s[0:1], s4, v8
	v_addc_co_u32_e64 v9, s[0:1], v9, v10, s[0:1]
	v_mov_b32_e32 v10, s13
	v_addc_co_u32_e32 v11, vcc, v11, v10, vcc
	v_add_co_u32_e64 v8, s[0:1], 4, v8
	v_add_co_u32_e32 v10, vcc, 4, v12
	s_add_i32 s22, s22, s20
	v_addc_co_u32_e64 v9, s[0:1], 0, v9, s[0:1]
	v_addc_co_u32_e32 v11, vcc, 0, v11, vcc
	s_add_i32 s4, s8, -1
	v_add3_u32 v12, s22, v17, v16
.LBB22_7:                               ; =>This Inner Loop Header: Depth=1
	v_cmp_gt_f32_e32 vcc, v1, v0
	v_cndmask_b32_e32 v16, v0, v1, vcc
	v_cmp_gt_f32_e64 s[0:1], v2, v16
	v_cndmask_b32_e64 v16, v16, v2, s[0:1]
	v_cndmask_b32_e64 v17, 0, 1, vcc
	v_cmp_gt_f32_e32 vcc, v3, v16
	v_cndmask_b32_e64 v17, v17, 2, s[0:1]
	v_cndmask_b32_e64 v17, v17, 3, vcc
	v_cndmask_b32_e32 v16, v16, v3, vcc
	v_cmp_ne_u32_e64 s[2:3], 3, v17
	v_sub_f32_e32 v16, v16, v4
	v_cndmask_b32_e64 v3, v13, v3, s[2:3]
	v_cmp_ne_u32_e64 s[2:3], 2, v17
	v_cmp_le_i32_e32 vcc, s9, v17
	v_cmp_gt_i32_e64 s[0:1], s10, v17
	v_mul_f32_e32 v18, 0x3fb8aa3b, v16
	v_cndmask_b32_e64 v2, v13, v2, s[2:3]
	v_cmp_ne_u32_e64 s[2:3], 1, v17
	v_subrev_u32_e32 v19, s9, v17
	v_cndmask_b32_e64 v1, v13, v1, s[2:3]
	v_cmp_ne_u32_e64 s[2:3], 0, v17
	s_and_b64 s[0:1], vcc, s[0:1]
	v_fma_f32 v17, v16, s18, -v18
	v_rndne_f32_e32 v20, v18
	v_fmac_f32_e32 v17, 0x32a5705f, v16
	v_sub_f32_e32 v18, v18, v20
	s_and_b64 vcc, s[16:17], s[0:1]
	v_cndmask_b32_e32 v19, 4, v19, vcc
	v_add_f32_e32 v17, v18, v17
	v_cvt_i32_f32_e32 v20, v20
	global_store_dword v[8:9], v19, off
	global_store_dword v[6:7], v12, off
	v_add_co_u32_e32 v6, vcc, 4, v6
	v_exp_f32_e32 v17, v17
	v_addc_co_u32_e32 v7, vcc, 0, v7, vcc
	v_add_co_u32_e32 v8, vcc, 4, v8
	v_addc_co_u32_e32 v9, vcc, 0, v9, vcc
	v_ldexp_f32 v17, v17, v20
	v_cmp_ngt_f32_e32 vcc, s19, v16
	v_cndmask_b32_e32 v17, 0, v17, vcc
	v_cmp_nlt_f32_e32 vcc, s21, v16
	v_cndmask_b32_e32 v16, v15, v17, vcc
	s_add_i32 s4, s4, -1
	global_store_dword v[10:11], v16, off
	v_add_co_u32_e32 v10, vcc, 4, v10
	v_cndmask_b32_e64 v0, v13, v0, s[2:3]
	v_add_u32_e32 v12, s20, v12
	s_cmp_eq_u32 s4, 0
	v_add_f32_e32 v14, v14, v16
	v_addc_co_u32_e32 v11, vcc, 0, v11, vcc
	s_cbranch_scc0 .LBB22_7
	s_branch .LBB22_9
.LBB22_8:
	v_mov_b32_e32 v14, 0
.LBB22_9:
	v_pk_add_f32 v[0:1], v[0:1], v[4:5] op_sel_hi:[1,0] neg_lo:[0,1] neg_hi:[0,1]
	s_mov_b32 s0, 0x3fb8aa3b
	v_mul_f32_e32 v6, 0x3fb8aa3b, v1
	v_fma_f32 v7, v1, s0, -v6
	v_rndne_f32_e32 v8, v6
	v_fmac_f32_e32 v7, 0x32a5705f, v1
	v_sub_f32_e32 v6, v6, v8
	v_add_f32_e32 v6, v6, v7
	v_exp_f32_e32 v6, v6
	v_cvt_i32_f32_e32 v7, v8
	s_mov_b32 s1, 0xc2ce8ed0
	v_cmp_ngt_f32_e32 vcc, s1, v1
	s_mov_b32 s2, 0x42b17218
	v_ldexp_f32 v6, v6, v7
	v_mul_f32_e32 v7, 0x3fb8aa3b, v0
	v_fma_f32 v8, v0, s0, -v7
	v_rndne_f32_e32 v9, v7
	v_fmac_f32_e32 v8, 0x32a5705f, v0
	v_sub_f32_e32 v7, v7, v9
	v_add_f32_e32 v7, v7, v8
	v_exp_f32_e32 v7, v7
	v_cvt_i32_f32_e32 v8, v9
	v_cndmask_b32_e32 v6, 0, v6, vcc
	v_mov_b32_e32 v9, 0x7f800000
	v_cmp_nlt_f32_e32 vcc, s2, v1
	v_sub_f32_e32 v2, v2, v4
	v_cndmask_b32_e32 v1, v9, v6, vcc
	v_ldexp_f32 v6, v7, v8
	v_mul_f32_e32 v7, 0x3fb8aa3b, v2
	v_fma_f32 v8, v2, s0, -v7
	v_rndne_f32_e32 v10, v7
	v_fmac_f32_e32 v8, 0x32a5705f, v2
	v_sub_f32_e32 v7, v7, v10
	v_add_f32_e32 v7, v7, v8
	v_exp_f32_e32 v7, v7
	v_cvt_i32_f32_e32 v8, v10
	v_cmp_ngt_f32_e32 vcc, s1, v0
	v_cndmask_b32_e32 v6, 0, v6, vcc
	v_cmp_nlt_f32_e32 vcc, s2, v0
	v_sub_f32_e32 v3, v3, v4
	v_cndmask_b32_e32 v0, v9, v6, vcc
	v_mul_f32_e32 v4, 0x3fb8aa3b, v3
	v_add_f32_e32 v0, v0, v1
	v_ldexp_f32 v1, v7, v8
	v_fma_f32 v6, v3, s0, -v4
	v_rndne_f32_e32 v7, v4
	v_fmac_f32_e32 v6, 0x32a5705f, v3
	v_sub_f32_e32 v4, v4, v7
	v_add_f32_e32 v4, v4, v6
	v_exp_f32_e32 v4, v4
	v_cvt_i32_f32_e32 v6, v7
	v_cmp_ngt_f32_e32 vcc, s1, v2
	v_cndmask_b32_e32 v1, 0, v1, vcc
	v_cmp_nlt_f32_e32 vcc, s2, v2
	v_cndmask_b32_e32 v1, v9, v1, vcc
	v_add_f32_e32 v0, v0, v1
	v_ldexp_f32 v1, v4, v6
	v_cmp_ngt_f32_e32 vcc, s1, v3
	v_cndmask_b32_e32 v1, 0, v1, vcc
	v_cmp_nlt_f32_e32 vcc, s2, v3
	v_cndmask_b32_e32 v1, v9, v1, vcc
	v_add_f32_e32 v0, v0, v1
	v_add_f32_e32 v0, v14, v0
	v_cmp_neq_f32_e32 vcc, 0, v0
	s_and_b64 exec, exec, vcc
	s_cbranch_execz .LBB22_20
; %bb.10:
	s_andn2_b64 vcc, exec, s[14:15]
	s_cbranch_vccnz .LBB22_20
; %bb.11:
	v_div_scale_f32 v1, s[0:1], v0, v0, 1.0
	v_rcp_f32_e32 v2, v1
	v_div_scale_f32 v3, vcc, 1.0, v0, 1.0
	s_cmp_gt_u32 s8, 3
	v_fma_f32 v4, -v1, v2, 1.0
	v_fmac_f32_e32 v2, v4, v2
	v_mul_f32_e32 v4, v3, v2
	v_fma_f32 v6, -v1, v4, v3
	v_fmac_f32_e32 v4, v6, v2
	v_fma_f32 v1, -v1, v4, v3
	v_div_fmas_f32 v1, v1, v2, v4
	v_mul_lo_u32 v2, v5, s11
	v_div_fixup_f32 v0, v1, v0, 1.0
	v_ashrrev_i32_e32 v3, 31, v2
	s_cbranch_scc0 .LBB22_15
; %bb.12:
	v_lshlrev_b64 v[4:5], 2, v[2:3]
	v_mov_b32_e32 v6, s13
	v_add_co_u32_e32 v4, vcc, s12, v4
	v_addc_co_u32_e32 v5, vcc, v5, v6, vcc
	s_and_b32 s4, s8, 0x7ffffffc
	v_add_co_u32_e32 v4, vcc, 8, v4
	v_mov_b32_e32 v1, v0
	v_addc_co_u32_e32 v5, vcc, 0, v5, vcc
	s_mov_b32 s0, s4
.LBB22_13:                              ; =>This Inner Loop Header: Depth=1
	global_load_dwordx4 v[6:9], v[4:5], off offset:-8
	s_add_i32 s0, s0, -4
	s_cmp_lg_u32 s0, 0
	s_waitcnt vmcnt(0)
	v_pk_mul_f32 v[6:7], v[0:1], v[6:7]
	v_pk_mul_f32 v[8:9], v[0:1], v[8:9]
	global_store_dwordx4 v[4:5], v[6:9], off offset:-8
	v_add_co_u32_e32 v4, vcc, 16, v4
	v_addc_co_u32_e32 v5, vcc, 0, v5, vcc
	s_cbranch_scc1 .LBB22_13
; %bb.14:
	s_cmp_lg_u32 s4, s8
	s_cselect_b64 s[0:1], -1, 0
	s_branch .LBB22_17
.LBB22_15:
	s_mov_b64 s[0:1], 0
                                        ; implicit-def: $sgpr4
	s_cbranch_execz .LBB22_17
; %bb.16:
	s_mov_b64 s[0:1], -1
	s_mov_b32 s4, 0
.LBB22_17:
	s_andn2_b64 vcc, exec, s[0:1]
	s_cbranch_vccnz .LBB22_20
; %bb.18:
	v_add_co_u32_e32 v2, vcc, s4, v2
	v_addc_co_u32_e32 v3, vcc, 0, v3, vcc
	v_lshlrev_b64 v[2:3], 2, v[2:3]
	v_mov_b32_e32 v1, s13
	v_add_co_u32_e32 v2, vcc, s12, v2
	s_sub_i32 s0, s8, s4
	v_addc_co_u32_e32 v3, vcc, v1, v3, vcc
.LBB22_19:                              ; =>This Inner Loop Header: Depth=1
	global_load_dword v1, v[2:3], off
	s_add_i32 s0, s0, -1
	s_cmp_lg_u32 s0, 0
	s_waitcnt vmcnt(0)
	v_mul_f32_e32 v1, v0, v1
	global_store_dword v[2:3], v1, off
	v_add_co_u32_e32 v2, vcc, 4, v2
	v_addc_co_u32_e32 v3, vcc, 0, v3, vcc
	s_cbranch_scc1 .LBB22_19
.LBB22_20:
	s_endpgm
	.section	.rodata,"a",@progbits
	.p2align	6, 0x0
	.amdhsa_kernel _ZN4vllm3moe17topkGatingSoftmaxIfLi4ELi4ELi8ELi16ELb0ELi0ELNS0_23SharedExpertScoringFuncE0EEEvPKT_PKbPfiPiS9_iiiiii
		.amdhsa_group_segment_fixed_size 0
		.amdhsa_private_segment_fixed_size 0
		.amdhsa_kernarg_size 72
		.amdhsa_user_sgpr_count 6
		.amdhsa_user_sgpr_private_segment_buffer 1
		.amdhsa_user_sgpr_dispatch_ptr 0
		.amdhsa_user_sgpr_queue_ptr 0
		.amdhsa_user_sgpr_kernarg_segment_ptr 1
		.amdhsa_user_sgpr_dispatch_id 0
		.amdhsa_user_sgpr_flat_scratch_init 0
		.amdhsa_user_sgpr_kernarg_preload_length 0
		.amdhsa_user_sgpr_kernarg_preload_offset 0
		.amdhsa_user_sgpr_private_segment_size 0
		.amdhsa_uses_dynamic_stack 0
		.amdhsa_system_sgpr_private_segment_wavefront_offset 0
		.amdhsa_system_sgpr_workgroup_id_x 1
		.amdhsa_system_sgpr_workgroup_id_y 0
		.amdhsa_system_sgpr_workgroup_id_z 0
		.amdhsa_system_sgpr_workgroup_info 0
		.amdhsa_system_vgpr_workitem_id 1
		.amdhsa_next_free_vgpr 21
		.amdhsa_next_free_sgpr 23
		.amdhsa_accum_offset 24
		.amdhsa_reserve_vcc 1
		.amdhsa_reserve_flat_scratch 0
		.amdhsa_float_round_mode_32 0
		.amdhsa_float_round_mode_16_64 0
		.amdhsa_float_denorm_mode_32 3
		.amdhsa_float_denorm_mode_16_64 3
		.amdhsa_dx10_clamp 1
		.amdhsa_ieee_mode 1
		.amdhsa_fp16_overflow 0
		.amdhsa_tg_split 0
		.amdhsa_exception_fp_ieee_invalid_op 0
		.amdhsa_exception_fp_denorm_src 0
		.amdhsa_exception_fp_ieee_div_zero 0
		.amdhsa_exception_fp_ieee_overflow 0
		.amdhsa_exception_fp_ieee_underflow 0
		.amdhsa_exception_fp_ieee_inexact 0
		.amdhsa_exception_int_div_zero 0
	.end_amdhsa_kernel
	.section	.text._ZN4vllm3moe17topkGatingSoftmaxIfLi4ELi4ELi8ELi16ELb0ELi0ELNS0_23SharedExpertScoringFuncE0EEEvPKT_PKbPfiPiS9_iiiiii,"axG",@progbits,_ZN4vllm3moe17topkGatingSoftmaxIfLi4ELi4ELi8ELi16ELb0ELi0ELNS0_23SharedExpertScoringFuncE0EEEvPKT_PKbPfiPiS9_iiiiii,comdat
.Lfunc_end22:
	.size	_ZN4vllm3moe17topkGatingSoftmaxIfLi4ELi4ELi8ELi16ELb0ELi0ELNS0_23SharedExpertScoringFuncE0EEEvPKT_PKbPfiPiS9_iiiiii, .Lfunc_end22-_ZN4vllm3moe17topkGatingSoftmaxIfLi4ELi4ELi8ELi16ELb0ELi0ELNS0_23SharedExpertScoringFuncE0EEEvPKT_PKbPfiPiS9_iiiiii
                                        ; -- End function
	.section	.AMDGPU.csdata,"",@progbits
; Kernel info:
; codeLenInByte = 1712
; NumSgprs: 27
; NumVgprs: 21
; NumAgprs: 0
; TotalNumVgprs: 21
; ScratchSize: 0
; MemoryBound: 0
; FloatMode: 240
; IeeeMode: 1
; LDSByteSize: 0 bytes/workgroup (compile time only)
; SGPRBlocks: 3
; VGPRBlocks: 2
; NumSGPRsForWavesPerEU: 27
; NumVGPRsForWavesPerEU: 21
; AccumOffset: 24
; Occupancy: 8
; WaveLimiterHint : 0
; COMPUTE_PGM_RSRC2:SCRATCH_EN: 0
; COMPUTE_PGM_RSRC2:USER_SGPR: 6
; COMPUTE_PGM_RSRC2:TRAP_HANDLER: 0
; COMPUTE_PGM_RSRC2:TGID_X_EN: 1
; COMPUTE_PGM_RSRC2:TGID_Y_EN: 0
; COMPUTE_PGM_RSRC2:TGID_Z_EN: 0
; COMPUTE_PGM_RSRC2:TIDIG_COMP_CNT: 1
; COMPUTE_PGM_RSRC3_GFX90A:ACCUM_OFFSET: 5
; COMPUTE_PGM_RSRC3_GFX90A:TG_SPLIT: 0
	.section	.text._ZN4vllm3moe17topkGatingSoftmaxIfLi4ELi4ELi8ELi16ELb1ELi1ELNS0_23SharedExpertScoringFuncE1EEEvPKT_PKbPfiPiS9_iiiiii,"axG",@progbits,_ZN4vllm3moe17topkGatingSoftmaxIfLi4ELi4ELi8ELi16ELb1ELi1ELNS0_23SharedExpertScoringFuncE1EEEvPKT_PKbPfiPiS9_iiiiii,comdat
	.protected	_ZN4vllm3moe17topkGatingSoftmaxIfLi4ELi4ELi8ELi16ELb1ELi1ELNS0_23SharedExpertScoringFuncE1EEEvPKT_PKbPfiPiS9_iiiiii ; -- Begin function _ZN4vllm3moe17topkGatingSoftmaxIfLi4ELi4ELi8ELi16ELb1ELi1ELNS0_23SharedExpertScoringFuncE1EEEvPKT_PKbPfiPiS9_iiiiii
	.globl	_ZN4vllm3moe17topkGatingSoftmaxIfLi4ELi4ELi8ELi16ELb1ELi1ELNS0_23SharedExpertScoringFuncE1EEEvPKT_PKbPfiPiS9_iiiiii
	.p2align	8
	.type	_ZN4vllm3moe17topkGatingSoftmaxIfLi4ELi4ELi8ELi16ELb1ELi1ELNS0_23SharedExpertScoringFuncE1EEEvPKT_PKbPfiPiS9_iiiiii,@function
_ZN4vllm3moe17topkGatingSoftmaxIfLi4ELi4ELi8ELi16ELb1ELi1ELNS0_23SharedExpertScoringFuncE1EEEvPKT_PKbPfiPiS9_iiiiii: ; @_ZN4vllm3moe17topkGatingSoftmaxIfLi4ELi4ELi8ELi16ELb1ELi1ELNS0_23SharedExpertScoringFuncE1EEEvPKT_PKbPfiPiS9_iiiiii
; %bb.0:
	s_load_dword s18, s[4:5], 0x18
	v_bfe_u32 v1, v0, 10, 10
	s_lshl_b32 s19, s6, 9
	v_lshlrev_b32_e32 v15, 6, v1
	v_and_b32_e32 v16, 0x3ff, v0
	v_add3_u32 v18, v15, v16, s19
	s_waitcnt lgkmcnt(0)
	v_cmp_gt_i32_e32 vcc, s18, v18
	s_and_saveexec_b64 s[0:1], vcc
	s_cbranch_execz .LBB23_19
; %bb.1:
	s_load_dwordx4 s[0:3], s[4:5], 0x0
	s_load_dwordx2 s[12:13], s[4:5], 0x10
	s_waitcnt lgkmcnt(0)
	s_cmp_eq_u64 s[2:3], 0
	s_cbranch_scc1 .LBB23_3
; %bb.2:
	v_ashrrev_i32_e32 v1, 31, v18
	v_mov_b32_e32 v2, s3
	v_add_co_u32_e32 v0, vcc, s2, v18
	v_addc_co_u32_e32 v1, vcc, v2, v1, vcc
	global_load_ubyte v0, v[0:1], off
	s_waitcnt vmcnt(0)
	v_and_b32_e32 v0, 1, v0
	v_cmp_eq_u32_e32 vcc, 1, v0
	s_xor_b64 s[2:3], vcc, -1
	s_orn2_b64 s[14:15], s[2:3], exec
	s_branch .LBB23_4
.LBB23_3:
	s_mov_b64 s[14:15], -1
.LBB23_4:
	s_load_dwordx2 s[2:3], s[4:5], 0x40
	s_load_dwordx4 s[8:11], s[4:5], 0x30
	v_mov_b32_e32 v2, s1
	s_mov_b32 s1, 0x42ce8ed0
	v_mov_b32_e32 v9, s13
	s_waitcnt lgkmcnt(0)
	v_mul_lo_u32 v0, v18, s3
	v_ashrrev_i32_e32 v1, 31, v0
	v_lshlrev_b64 v[0:1], 2, v[0:1]
	v_add_co_u32_e32 v4, vcc, s0, v0
	v_addc_co_u32_e32 v5, vcc, v2, v1, vcc
	global_load_dword v8, v[4:5], off offset:16
	global_load_dwordx4 v[0:3], v[4:5], off
	s_mov_b32 s0, 0xbfb8aa3b
	s_mov_b32 s3, 0xc2b17218
	v_mov_b32_e32 v5, 0x7f800000
	v_mul_lo_u32 v4, v18, s11
	v_add_u32_e32 v6, s8, v4
	s_cmp_gt_i32 s8, 0
	v_mov_b32_e32 v14, 0
	s_cselect_b64 s[16:17], -1, 0
	s_cmp_lt_i32 s8, 1
	s_waitcnt vmcnt(1)
	v_mul_f32_e32 v7, 0xbfb8aa3b, v8
	v_fma_f32 v10, v8, s0, -v7
	v_rndne_f32_e32 v11, v7
	v_fmac_f32_e32 v10, 0xb2a5705f, v8
	v_sub_f32_e32 v7, v7, v11
	v_add_f32_e32 v7, v7, v10
	v_cvt_i32_f32_e32 v11, v11
	v_exp_f32_e32 v10, v7
	v_cmp_nlt_f32_e32 vcc, s1, v8
	v_ashrrev_i32_e32 v7, 31, v6
	v_lshlrev_b64 v[6:7], 2, v[6:7]
	v_ldexp_f32 v10, v10, v11
	v_cndmask_b32_e32 v10, 0, v10, vcc
	v_cmp_ngt_f32_e32 vcc, s3, v8
	v_cndmask_b32_e32 v8, v5, v10, vcc
	v_add_f32_e32 v8, 1.0, v8
	v_div_scale_f32 v10, s[0:1], v8, v8, 1.0
	v_rcp_f32_e32 v11, v10
	v_add_co_u32_e32 v6, vcc, s12, v6
	v_addc_co_u32_e32 v7, vcc, v9, v7, vcc
	v_fma_f32 v12, -v10, v11, 1.0
	v_div_scale_f32 v9, vcc, 1.0, v8, 1.0
	v_fmac_f32_e32 v11, v12, v11
	v_mul_f32_e32 v12, v9, v11
	v_fma_f32 v13, -v10, v12, v9
	v_fmac_f32_e32 v12, v13, v11
	v_fma_f32 v9, -v10, v12, v9
	v_div_fmas_f32 v9, v9, v11, v12
	v_div_fixup_f32 v8, v9, v8, 1.0
	global_store_dword v[6:7], v8, off
	s_cbranch_scc1 .LBB23_8
; %bb.5:
	s_waitcnt vmcnt(1)
	v_cmp_lt_f32_e32 vcc, v0, v1
	v_cndmask_b32_e32 v7, v0, v1, vcc
	v_cndmask_b32_e64 v6, 0, 1, vcc
	v_cmp_lt_f32_e32 vcc, v7, v2
	v_cndmask_b32_e32 v7, v7, v2, vcc
	v_cndmask_b32_e64 v6, v6, 2, vcc
	v_cmp_lt_f32_e32 vcc, v7, v3
	v_cndmask_b32_e32 v17, v7, v3, vcc
	v_sub_f32_e32 v7, v17, v17
	s_mov_b32 s11, 0x3fb8aa3b
	v_mul_f32_e32 v8, 0x3fb8aa3b, v7
	v_fma_f32 v9, v7, s11, -v8
	v_rndne_f32_e32 v10, v8
	v_fmac_f32_e32 v9, 0x32a5705f, v7
	v_sub_f32_e32 v8, v8, v10
	v_add_f32_e32 v8, v8, v9
	v_exp_f32_e32 v8, v8
	v_cvt_i32_f32_e32 v9, v10
	v_cndmask_b32_e64 v19, v6, 3, vcc
	v_cmp_le_i32_e32 vcc, s9, v19
	v_cmp_gt_i32_e64 s[0:1], s10, v19
	s_mov_b32 s20, 0xc2ce8ed0
	v_mul_lo_u32 v6, v18, s2
	s_and_b64 s[2:3], vcc, s[0:1]
	v_ldexp_f32 v8, v8, v9
	v_cmp_ngt_f32_e32 vcc, s20, v7
	s_mov_b32 s21, 0x42b17218
	v_cndmask_b32_e32 v8, 0, v8, vcc
	v_cmp_nlt_f32_e32 vcc, s21, v7
	s_load_dwordx4 s[4:7], s[4:5], 0x20
	v_cndmask_b32_e32 v14, v5, v8, vcc
	v_ashrrev_i32_e32 v5, 31, v4
	v_lshlrev_b64 v[10:11], 2, v[4:5]
	v_mov_b32_e32 v5, s13
	v_add_co_u32_e32 v12, vcc, s12, v10
	v_addc_co_u32_e64 v13, s[0:1], v5, v11, vcc
	v_ashrrev_i32_e32 v7, 31, v6
	v_subrev_u32_e32 v5, s9, v19
	s_and_b64 s[0:1], s[14:15], s[2:3]
	v_lshlrev_b64 v[8:9], 2, v[6:7]
	v_mul_lo_u32 v20, v18, s8
	v_cndmask_b32_e64 v5, 4, v5, s[0:1]
	s_waitcnt lgkmcnt(0)
	v_mov_b32_e32 v7, s5
	v_add_co_u32_e64 v6, s[0:1], s4, v8
	v_addc_co_u32_e64 v7, s[0:1], v7, v9, s[0:1]
	v_ashrrev_i32_e32 v21, 31, v20
	global_store_dword v[6:7], v5, off
	v_lshlrev_b64 v[6:7], 2, v[20:21]
	v_mov_b32_e32 v5, s7
	v_add_co_u32_e64 v20, s[0:1], s6, v6
	v_addc_co_u32_e64 v21, s[0:1], v5, v7, s[0:1]
	s_cmp_eq_u32 s8, 1
	global_store_dword v[12:13], v14, off
	global_store_dword v[20:21], v18, off
	s_cbranch_scc1 .LBB23_8
; %bb.6:
	v_mov_b32_e32 v5, 0xff800000
	v_cmp_ne_u32_e64 s[0:1], 3, v19
	v_cndmask_b32_e64 v3, v5, v3, s[0:1]
	v_cmp_ne_u32_e64 s[0:1], 2, v19
	v_cndmask_b32_e64 v2, v5, v2, s[0:1]
	;; [unrolled: 2-line block ×4, first 2 shown]
	v_mov_b32_e32 v10, s7
	v_add_co_u32_e64 v6, s[0:1], s6, v6
	v_addc_co_u32_e64 v7, s[0:1], v7, v10, s[0:1]
	v_add_co_u32_e64 v6, s[0:1], 4, v6
	v_addc_co_u32_e64 v7, s[0:1], 0, v7, s[0:1]
	v_mov_b32_e32 v10, s5
	v_add_co_u32_e64 v8, s[0:1], s4, v8
	v_addc_co_u32_e64 v9, s[0:1], v9, v10, s[0:1]
	v_mov_b32_e32 v10, s13
	v_addc_co_u32_e32 v11, vcc, v11, v10, vcc
	v_add_co_u32_e64 v8, s[0:1], 4, v8
	v_add_co_u32_e32 v10, vcc, 4, v12
	s_add_i32 s19, s19, s18
	v_addc_co_u32_e64 v9, s[0:1], 0, v9, s[0:1]
	v_addc_co_u32_e32 v11, vcc, 0, v11, vcc
	s_add_i32 s4, s8, -1
	v_add3_u32 v12, s19, v16, v15
	v_mov_b32_e32 v13, 0x7f800000
.LBB23_7:                               ; =>This Inner Loop Header: Depth=1
	v_cmp_gt_f32_e32 vcc, v1, v0
	v_cndmask_b32_e32 v15, v0, v1, vcc
	v_cmp_gt_f32_e64 s[0:1], v2, v15
	v_cndmask_b32_e64 v15, v15, v2, s[0:1]
	v_cndmask_b32_e64 v16, 0, 1, vcc
	v_cmp_gt_f32_e32 vcc, v3, v15
	v_cndmask_b32_e64 v16, v16, 2, s[0:1]
	v_cndmask_b32_e64 v16, v16, 3, vcc
	v_cndmask_b32_e32 v15, v15, v3, vcc
	v_cmp_ne_u32_e64 s[2:3], 3, v16
	v_sub_f32_e32 v15, v15, v17
	v_cndmask_b32_e64 v3, v5, v3, s[2:3]
	v_cmp_ne_u32_e64 s[2:3], 2, v16
	v_cmp_le_i32_e32 vcc, s9, v16
	v_cmp_gt_i32_e64 s[0:1], s10, v16
	v_mul_f32_e32 v18, 0x3fb8aa3b, v15
	v_cndmask_b32_e64 v2, v5, v2, s[2:3]
	v_cmp_ne_u32_e64 s[2:3], 1, v16
	v_subrev_u32_e32 v19, s9, v16
	v_cndmask_b32_e64 v1, v5, v1, s[2:3]
	v_cmp_ne_u32_e64 s[2:3], 0, v16
	s_and_b64 s[0:1], vcc, s[0:1]
	v_fma_f32 v16, v15, s11, -v18
	v_rndne_f32_e32 v20, v18
	v_fmac_f32_e32 v16, 0x32a5705f, v15
	v_sub_f32_e32 v18, v18, v20
	s_and_b64 vcc, s[14:15], s[0:1]
	v_cndmask_b32_e32 v19, 4, v19, vcc
	v_add_f32_e32 v16, v18, v16
	v_cvt_i32_f32_e32 v20, v20
	global_store_dword v[8:9], v19, off
	global_store_dword v[6:7], v12, off
	v_add_co_u32_e32 v6, vcc, 4, v6
	v_exp_f32_e32 v16, v16
	v_addc_co_u32_e32 v7, vcc, 0, v7, vcc
	v_add_co_u32_e32 v8, vcc, 4, v8
	v_addc_co_u32_e32 v9, vcc, 0, v9, vcc
	v_ldexp_f32 v16, v16, v20
	v_cmp_ngt_f32_e32 vcc, s20, v15
	v_cndmask_b32_e32 v16, 0, v16, vcc
	v_cmp_nlt_f32_e32 vcc, s21, v15
	v_cndmask_b32_e32 v15, v13, v16, vcc
	s_add_i32 s4, s4, -1
	global_store_dword v[10:11], v15, off
	v_add_co_u32_e32 v10, vcc, 4, v10
	v_cndmask_b32_e64 v0, v5, v0, s[2:3]
	v_add_u32_e32 v12, s18, v12
	s_cmp_eq_u32 s4, 0
	v_add_f32_e32 v14, v14, v15
	v_addc_co_u32_e32 v11, vcc, 0, v11, vcc
	s_cbranch_scc0 .LBB23_7
.LBB23_8:
	v_cmp_neq_f32_e32 vcc, 0, v14
	s_and_b64 exec, exec, vcc
	s_cbranch_execz .LBB23_19
; %bb.9:
	s_andn2_b64 vcc, exec, s[16:17]
	s_cbranch_vccnz .LBB23_19
; %bb.10:
	s_waitcnt vmcnt(1)
	v_div_scale_f32 v0, s[0:1], v14, v14, 1.0
	v_rcp_f32_e32 v1, v0
	v_div_scale_f32 v2, vcc, 1.0, v14, 1.0
	s_cmp_gt_u32 s8, 3
	v_fma_f32 v3, -v0, v1, 1.0
	v_fmac_f32_e32 v1, v3, v1
	v_mul_f32_e32 v3, v2, v1
	v_fma_f32 v5, -v0, v3, v2
	v_fmac_f32_e32 v3, v5, v1
	v_fma_f32 v0, -v0, v3, v2
	v_div_fmas_f32 v0, v0, v1, v3
	v_div_fixup_f32 v0, v0, v14, 1.0
	v_ashrrev_i32_e32 v5, 31, v4
	s_cbranch_scc0 .LBB23_14
; %bb.11:
	v_lshlrev_b64 v[2:3], 2, v[4:5]
	v_mov_b32_e32 v6, s13
	v_add_co_u32_e32 v2, vcc, s12, v2
	v_addc_co_u32_e32 v3, vcc, v3, v6, vcc
	s_and_b32 s4, s8, 0x7ffffffc
	v_add_co_u32_e32 v2, vcc, 8, v2
	v_mov_b32_e32 v1, v0
	v_addc_co_u32_e32 v3, vcc, 0, v3, vcc
	s_mov_b32 s0, s4
.LBB23_12:                              ; =>This Inner Loop Header: Depth=1
	global_load_dwordx4 v[6:9], v[2:3], off offset:-8
	s_add_i32 s0, s0, -4
	s_cmp_lg_u32 s0, 0
	s_waitcnt vmcnt(0)
	v_pk_mul_f32 v[6:7], v[0:1], v[6:7]
	v_pk_mul_f32 v[8:9], v[0:1], v[8:9]
	global_store_dwordx4 v[2:3], v[6:9], off offset:-8
	v_add_co_u32_e32 v2, vcc, 16, v2
	v_addc_co_u32_e32 v3, vcc, 0, v3, vcc
	s_cbranch_scc1 .LBB23_12
; %bb.13:
	s_cmp_lg_u32 s4, s8
	s_cselect_b64 s[0:1], -1, 0
	s_branch .LBB23_16
.LBB23_14:
	s_mov_b64 s[0:1], 0
                                        ; implicit-def: $sgpr4
	s_cbranch_execz .LBB23_16
; %bb.15:
	s_mov_b64 s[0:1], -1
	s_mov_b32 s4, 0
.LBB23_16:
	s_andn2_b64 vcc, exec, s[0:1]
	s_cbranch_vccnz .LBB23_19
; %bb.17:
	v_add_co_u32_e32 v2, vcc, s4, v4
	v_addc_co_u32_e32 v3, vcc, 0, v5, vcc
	v_lshlrev_b64 v[2:3], 2, v[2:3]
	v_mov_b32_e32 v1, s13
	v_add_co_u32_e32 v2, vcc, s12, v2
	s_sub_i32 s0, s8, s4
	v_addc_co_u32_e32 v3, vcc, v1, v3, vcc
.LBB23_18:                              ; =>This Inner Loop Header: Depth=1
	global_load_dword v1, v[2:3], off
	s_add_i32 s0, s0, -1
	s_cmp_lg_u32 s0, 0
	s_waitcnt vmcnt(0)
	v_mul_f32_e32 v1, v0, v1
	global_store_dword v[2:3], v1, off
	v_add_co_u32_e32 v2, vcc, 4, v2
	v_addc_co_u32_e32 v3, vcc, 0, v3, vcc
	s_cbranch_scc1 .LBB23_18
.LBB23_19:
	s_endpgm
	.section	.rodata,"a",@progbits
	.p2align	6, 0x0
	.amdhsa_kernel _ZN4vllm3moe17topkGatingSoftmaxIfLi4ELi4ELi8ELi16ELb1ELi1ELNS0_23SharedExpertScoringFuncE1EEEvPKT_PKbPfiPiS9_iiiiii
		.amdhsa_group_segment_fixed_size 0
		.amdhsa_private_segment_fixed_size 0
		.amdhsa_kernarg_size 72
		.amdhsa_user_sgpr_count 6
		.amdhsa_user_sgpr_private_segment_buffer 1
		.amdhsa_user_sgpr_dispatch_ptr 0
		.amdhsa_user_sgpr_queue_ptr 0
		.amdhsa_user_sgpr_kernarg_segment_ptr 1
		.amdhsa_user_sgpr_dispatch_id 0
		.amdhsa_user_sgpr_flat_scratch_init 0
		.amdhsa_user_sgpr_kernarg_preload_length 0
		.amdhsa_user_sgpr_kernarg_preload_offset 0
		.amdhsa_user_sgpr_private_segment_size 0
		.amdhsa_uses_dynamic_stack 0
		.amdhsa_system_sgpr_private_segment_wavefront_offset 0
		.amdhsa_system_sgpr_workgroup_id_x 1
		.amdhsa_system_sgpr_workgroup_id_y 0
		.amdhsa_system_sgpr_workgroup_id_z 0
		.amdhsa_system_sgpr_workgroup_info 0
		.amdhsa_system_vgpr_workitem_id 1
		.amdhsa_next_free_vgpr 22
		.amdhsa_next_free_sgpr 22
		.amdhsa_accum_offset 24
		.amdhsa_reserve_vcc 1
		.amdhsa_reserve_flat_scratch 0
		.amdhsa_float_round_mode_32 0
		.amdhsa_float_round_mode_16_64 0
		.amdhsa_float_denorm_mode_32 3
		.amdhsa_float_denorm_mode_16_64 3
		.amdhsa_dx10_clamp 1
		.amdhsa_ieee_mode 1
		.amdhsa_fp16_overflow 0
		.amdhsa_tg_split 0
		.amdhsa_exception_fp_ieee_invalid_op 0
		.amdhsa_exception_fp_denorm_src 0
		.amdhsa_exception_fp_ieee_div_zero 0
		.amdhsa_exception_fp_ieee_overflow 0
		.amdhsa_exception_fp_ieee_underflow 0
		.amdhsa_exception_fp_ieee_inexact 0
		.amdhsa_exception_int_div_zero 0
	.end_amdhsa_kernel
	.section	.text._ZN4vllm3moe17topkGatingSoftmaxIfLi4ELi4ELi8ELi16ELb1ELi1ELNS0_23SharedExpertScoringFuncE1EEEvPKT_PKbPfiPiS9_iiiiii,"axG",@progbits,_ZN4vllm3moe17topkGatingSoftmaxIfLi4ELi4ELi8ELi16ELb1ELi1ELNS0_23SharedExpertScoringFuncE1EEEvPKT_PKbPfiPiS9_iiiiii,comdat
.Lfunc_end23:
	.size	_ZN4vllm3moe17topkGatingSoftmaxIfLi4ELi4ELi8ELi16ELb1ELi1ELNS0_23SharedExpertScoringFuncE1EEEvPKT_PKbPfiPiS9_iiiiii, .Lfunc_end23-_ZN4vllm3moe17topkGatingSoftmaxIfLi4ELi4ELi8ELi16ELb1ELi1ELNS0_23SharedExpertScoringFuncE1EEEvPKT_PKbPfiPiS9_iiiiii
                                        ; -- End function
	.section	.AMDGPU.csdata,"",@progbits
; Kernel info:
; codeLenInByte = 1576
; NumSgprs: 26
; NumVgprs: 22
; NumAgprs: 0
; TotalNumVgprs: 22
; ScratchSize: 0
; MemoryBound: 0
; FloatMode: 240
; IeeeMode: 1
; LDSByteSize: 0 bytes/workgroup (compile time only)
; SGPRBlocks: 3
; VGPRBlocks: 2
; NumSGPRsForWavesPerEU: 26
; NumVGPRsForWavesPerEU: 22
; AccumOffset: 24
; Occupancy: 8
; WaveLimiterHint : 0
; COMPUTE_PGM_RSRC2:SCRATCH_EN: 0
; COMPUTE_PGM_RSRC2:USER_SGPR: 6
; COMPUTE_PGM_RSRC2:TRAP_HANDLER: 0
; COMPUTE_PGM_RSRC2:TGID_X_EN: 1
; COMPUTE_PGM_RSRC2:TGID_Y_EN: 0
; COMPUTE_PGM_RSRC2:TGID_Z_EN: 0
; COMPUTE_PGM_RSRC2:TIDIG_COMP_CNT: 1
; COMPUTE_PGM_RSRC3_GFX90A:ACCUM_OFFSET: 5
; COMPUTE_PGM_RSRC3_GFX90A:TG_SPLIT: 0
	.section	.text._ZN4vllm3moe17topkGatingSoftmaxIfLi4ELi4ELi8ELi16ELb0ELi1ELNS0_23SharedExpertScoringFuncE1EEEvPKT_PKbPfiPiS9_iiiiii,"axG",@progbits,_ZN4vllm3moe17topkGatingSoftmaxIfLi4ELi4ELi8ELi16ELb0ELi1ELNS0_23SharedExpertScoringFuncE1EEEvPKT_PKbPfiPiS9_iiiiii,comdat
	.protected	_ZN4vllm3moe17topkGatingSoftmaxIfLi4ELi4ELi8ELi16ELb0ELi1ELNS0_23SharedExpertScoringFuncE1EEEvPKT_PKbPfiPiS9_iiiiii ; -- Begin function _ZN4vllm3moe17topkGatingSoftmaxIfLi4ELi4ELi8ELi16ELb0ELi1ELNS0_23SharedExpertScoringFuncE1EEEvPKT_PKbPfiPiS9_iiiiii
	.globl	_ZN4vllm3moe17topkGatingSoftmaxIfLi4ELi4ELi8ELi16ELb0ELi1ELNS0_23SharedExpertScoringFuncE1EEEvPKT_PKbPfiPiS9_iiiiii
	.p2align	8
	.type	_ZN4vllm3moe17topkGatingSoftmaxIfLi4ELi4ELi8ELi16ELb0ELi1ELNS0_23SharedExpertScoringFuncE1EEEvPKT_PKbPfiPiS9_iiiiii,@function
_ZN4vllm3moe17topkGatingSoftmaxIfLi4ELi4ELi8ELi16ELb0ELi1ELNS0_23SharedExpertScoringFuncE1EEEvPKT_PKbPfiPiS9_iiiiii: ; @_ZN4vllm3moe17topkGatingSoftmaxIfLi4ELi4ELi8ELi16ELb0ELi1ELNS0_23SharedExpertScoringFuncE1EEEvPKT_PKbPfiPiS9_iiiiii
; %bb.0:
	s_load_dword s20, s[4:5], 0x18
	v_bfe_u32 v1, v0, 10, 10
	s_lshl_b32 s21, s6, 9
	v_lshlrev_b32_e32 v17, 6, v1
	v_and_b32_e32 v18, 0x3ff, v0
	v_add3_u32 v19, v17, v18, s21
	s_waitcnt lgkmcnt(0)
	v_cmp_gt_i32_e32 vcc, s20, v19
	s_and_saveexec_b64 s[0:1], vcc
	s_cbranch_execz .LBB24_19
; %bb.1:
	s_load_dwordx4 s[0:3], s[4:5], 0x0
	s_load_dwordx2 s[12:13], s[4:5], 0x10
	s_waitcnt lgkmcnt(0)
	s_cmp_eq_u64 s[2:3], 0
	s_cbranch_scc1 .LBB24_3
; %bb.2:
	v_ashrrev_i32_e32 v1, 31, v19
	v_mov_b32_e32 v2, s3
	v_add_co_u32_e32 v0, vcc, s2, v19
	v_addc_co_u32_e32 v1, vcc, v2, v1, vcc
	global_load_ubyte v0, v[0:1], off
	s_waitcnt vmcnt(0)
	v_and_b32_e32 v0, 1, v0
	v_cmp_eq_u32_e32 vcc, 1, v0
	s_xor_b64 s[2:3], vcc, -1
	s_orn2_b64 s[16:17], s[2:3], exec
	s_branch .LBB24_4
.LBB24_3:
	s_mov_b64 s[16:17], -1
.LBB24_4:
	s_load_dwordx2 s[18:19], s[4:5], 0x40
	s_load_dwordx4 s[8:11], s[4:5], 0x30
	v_mov_b32_e32 v2, s1
	s_mov_b32 s2, 0x42ce8ed0
	s_mov_b32 s3, 0xc2b17218
	s_waitcnt lgkmcnt(0)
	v_mul_lo_u32 v0, v19, s19
	v_ashrrev_i32_e32 v1, 31, v0
	v_lshlrev_b64 v[0:1], 2, v[0:1]
	v_add_co_u32_e32 v4, vcc, s0, v0
	v_addc_co_u32_e32 v5, vcc, v2, v1, vcc
	global_load_dword v6, v[4:5], off offset:16
	global_load_dwordx4 v[0:3], v[4:5], off
	s_mov_b32 s0, 0xbfb8aa3b
	v_mul_lo_u32 v4, v19, s11
	v_add_u32_e32 v8, s8, v4
	v_ashrrev_i32_e32 v9, 31, v8
	v_lshlrev_b64 v[8:9], 2, v[8:9]
	v_mov_b32_e32 v5, s13
	v_add_co_u32_e32 v8, vcc, s12, v8
	v_addc_co_u32_e32 v9, vcc, v5, v9, vcc
	v_mov_b32_e32 v7, 0x7f800000
	s_cmp_gt_i32 s8, 0
	v_mov_b32_e32 v16, 0
	s_cselect_b64 s[14:15], -1, 0
	s_cmp_lt_i32 s8, 1
	s_waitcnt vmcnt(1)
	v_mul_f32_e32 v10, 0xbfb8aa3b, v6
	v_fma_f32 v11, v6, s0, -v10
	v_rndne_f32_e32 v12, v10
	v_fmac_f32_e32 v11, 0xb2a5705f, v6
	v_sub_f32_e32 v10, v10, v12
	v_add_f32_e32 v10, v10, v11
	v_cvt_i32_f32_e32 v12, v12
	v_exp_f32_e32 v10, v10
	v_cmp_nlt_f32_e32 vcc, s2, v6
	s_waitcnt vmcnt(0)
	v_cmp_lt_f32_e64 s[0:1], v0, v1
	v_cndmask_b32_e64 v5, v0, v1, s[0:1]
	v_ldexp_f32 v10, v10, v12
	v_cndmask_b32_e32 v10, 0, v10, vcc
	v_cmp_ngt_f32_e32 vcc, s3, v6
	v_cndmask_b32_e32 v6, v7, v10, vcc
	v_add_f32_e32 v6, 1.0, v6
	v_div_scale_f32 v10, s[2:3], v6, v6, 1.0
	v_rcp_f32_e32 v11, v10
	v_div_scale_f32 v12, vcc, 1.0, v6, 1.0
	v_cmp_lt_f32_e64 s[2:3], v5, v2
	v_fma_f32 v13, -v10, v11, 1.0
	v_fmac_f32_e32 v11, v13, v11
	v_mul_f32_e32 v13, v12, v11
	v_fma_f32 v14, -v10, v13, v12
	v_fmac_f32_e32 v13, v14, v11
	v_fma_f32 v10, -v10, v13, v12
	v_cndmask_b32_e64 v5, v5, v2, s[2:3]
	v_div_fmas_f32 v10, v10, v11, v13
	v_div_fixup_f32 v6, v10, v6, 1.0
	v_cmp_lt_f32_e32 vcc, v5, v3
	global_store_dword v[8:9], v6, off
	v_cndmask_b32_e32 v6, v5, v3, vcc
	s_cbranch_scc1 .LBB24_8
; %bb.5:
	v_cndmask_b32_e64 v5, 0, 1, s[0:1]
	v_cndmask_b32_e64 v5, v5, 2, s[2:3]
	v_cndmask_b32_e64 v22, v5, 3, vcc
	v_sub_f32_e32 v5, v6, v6
	v_mul_f32_e32 v9, 0x3fb8aa3b, v5
	s_mov_b32 s11, 0x3fb8aa3b
	v_rndne_f32_e32 v10, v9
	v_sub_f32_e32 v11, v9, v10
	v_fma_f32 v9, v5, s11, -v9
	v_fmac_f32_e32 v9, 0x32a5705f, v5
	v_add_f32_e32 v9, v11, v9
	v_exp_f32_e32 v9, v9
	v_cvt_i32_f32_e32 v10, v10
	v_mul_lo_u32 v8, v19, s18
	v_cmp_le_i32_e32 vcc, s9, v22
	v_cmp_gt_i32_e64 s[0:1], s10, v22
	s_mov_b32 s18, 0xc2ce8ed0
	s_and_b64 s[2:3], vcc, s[0:1]
	v_ldexp_f32 v9, v9, v10
	v_cmp_ngt_f32_e32 vcc, s18, v5
	s_mov_b32 s19, 0x42b17218
	s_load_dwordx4 s[4:7], s[4:5], 0x20
	v_cndmask_b32_e32 v9, 0, v9, vcc
	v_cmp_nlt_f32_e32 vcc, s19, v5
	v_ashrrev_i32_e32 v5, 31, v4
	v_lshlrev_b64 v[12:13], 2, v[4:5]
	v_cndmask_b32_e32 v16, v7, v9, vcc
	v_mov_b32_e32 v5, s13
	v_add_co_u32_e32 v14, vcc, s12, v12
	v_addc_co_u32_e64 v15, s[0:1], v5, v13, vcc
	v_ashrrev_i32_e32 v9, 31, v8
	v_subrev_u32_e32 v5, s9, v22
	s_and_b64 s[0:1], s[16:17], s[2:3]
	v_lshlrev_b64 v[10:11], 2, v[8:9]
	v_mul_lo_u32 v20, v19, s8
	v_cndmask_b32_e64 v5, 4, v5, s[0:1]
	s_waitcnt lgkmcnt(0)
	v_mov_b32_e32 v9, s5
	v_add_co_u32_e64 v8, s[0:1], s4, v10
	v_addc_co_u32_e64 v9, s[0:1], v9, v11, s[0:1]
	v_ashrrev_i32_e32 v21, 31, v20
	global_store_dword v[8:9], v5, off
	v_lshlrev_b64 v[8:9], 2, v[20:21]
	v_mov_b32_e32 v5, s7
	v_add_co_u32_e64 v20, s[0:1], s6, v8
	v_addc_co_u32_e64 v21, s[0:1], v5, v9, s[0:1]
	v_mov_b32_e32 v5, 0xff800000
	v_cmp_ne_u32_e64 s[0:1], 3, v22
	v_cndmask_b32_e64 v3, v5, v3, s[0:1]
	v_cmp_ne_u32_e64 s[0:1], 2, v22
	v_cndmask_b32_e64 v2, v5, v2, s[0:1]
	;; [unrolled: 2-line block ×3, first 2 shown]
	v_cmp_ne_u32_e64 s[0:1], 0, v22
	s_cmp_eq_u32 s8, 1
	v_cndmask_b32_e64 v0, v5, v0, s[0:1]
	global_store_dword v[14:15], v16, off
	global_store_dword v[20:21], v19, off
	s_cbranch_scc1 .LBB24_8
; %bb.6:
	v_mov_b32_e32 v12, s7
	v_add_co_u32_e64 v8, s[0:1], s6, v8
	v_addc_co_u32_e64 v9, s[0:1], v9, v12, s[0:1]
	v_add_co_u32_e64 v8, s[0:1], 4, v8
	v_addc_co_u32_e64 v9, s[0:1], 0, v9, s[0:1]
	v_mov_b32_e32 v12, s5
	v_add_co_u32_e64 v10, s[0:1], s4, v10
	v_addc_co_u32_e64 v11, s[0:1], v11, v12, s[0:1]
	v_mov_b32_e32 v12, s13
	v_addc_co_u32_e32 v13, vcc, v13, v12, vcc
	v_add_co_u32_e64 v10, s[0:1], 4, v10
	v_add_co_u32_e32 v12, vcc, 4, v14
	s_add_i32 s21, s21, s20
	v_addc_co_u32_e64 v11, s[0:1], 0, v11, s[0:1]
	v_addc_co_u32_e32 v13, vcc, 0, v13, vcc
	s_add_i32 s4, s8, -1
	v_add3_u32 v14, s21, v18, v17
	v_mov_b32_e32 v15, 0x7f800000
.LBB24_7:                               ; =>This Inner Loop Header: Depth=1
	v_cmp_gt_f32_e32 vcc, v1, v0
	v_cndmask_b32_e32 v17, v0, v1, vcc
	v_cmp_gt_f32_e64 s[0:1], v2, v17
	v_cndmask_b32_e64 v17, v17, v2, s[0:1]
	v_cndmask_b32_e64 v18, 0, 1, vcc
	v_cmp_gt_f32_e32 vcc, v3, v17
	v_cndmask_b32_e64 v18, v18, 2, s[0:1]
	v_cndmask_b32_e64 v18, v18, 3, vcc
	v_cndmask_b32_e32 v17, v17, v3, vcc
	v_cmp_ne_u32_e64 s[2:3], 3, v18
	v_sub_f32_e32 v17, v17, v6
	v_cndmask_b32_e64 v3, v5, v3, s[2:3]
	v_cmp_ne_u32_e64 s[2:3], 2, v18
	v_cmp_le_i32_e32 vcc, s9, v18
	v_cmp_gt_i32_e64 s[0:1], s10, v18
	v_mul_f32_e32 v19, 0x3fb8aa3b, v17
	v_cndmask_b32_e64 v2, v5, v2, s[2:3]
	v_cmp_ne_u32_e64 s[2:3], 1, v18
	v_subrev_u32_e32 v20, s9, v18
	v_cndmask_b32_e64 v1, v5, v1, s[2:3]
	v_cmp_ne_u32_e64 s[2:3], 0, v18
	s_and_b64 s[0:1], vcc, s[0:1]
	v_fma_f32 v18, v17, s11, -v19
	v_rndne_f32_e32 v21, v19
	v_fmac_f32_e32 v18, 0x32a5705f, v17
	v_sub_f32_e32 v19, v19, v21
	s_and_b64 vcc, s[16:17], s[0:1]
	v_cndmask_b32_e32 v20, 4, v20, vcc
	v_add_f32_e32 v18, v19, v18
	v_cvt_i32_f32_e32 v21, v21
	global_store_dword v[10:11], v20, off
	global_store_dword v[8:9], v14, off
	v_add_co_u32_e32 v8, vcc, 4, v8
	v_exp_f32_e32 v18, v18
	v_addc_co_u32_e32 v9, vcc, 0, v9, vcc
	v_add_co_u32_e32 v10, vcc, 4, v10
	v_addc_co_u32_e32 v11, vcc, 0, v11, vcc
	v_ldexp_f32 v18, v18, v21
	v_cmp_ngt_f32_e32 vcc, s18, v17
	v_cndmask_b32_e32 v18, 0, v18, vcc
	v_cmp_nlt_f32_e32 vcc, s19, v17
	v_cndmask_b32_e32 v17, v15, v18, vcc
	s_add_i32 s4, s4, -1
	global_store_dword v[12:13], v17, off
	v_add_co_u32_e32 v12, vcc, 4, v12
	v_cndmask_b32_e64 v0, v5, v0, s[2:3]
	v_add_u32_e32 v14, s20, v14
	s_cmp_eq_u32 s4, 0
	v_add_f32_e32 v16, v16, v17
	v_addc_co_u32_e32 v13, vcc, 0, v13, vcc
	s_cbranch_scc0 .LBB24_7
.LBB24_8:
	v_pk_add_f32 v[0:1], v[0:1], v[6:7] op_sel_hi:[1,0] neg_lo:[0,1] neg_hi:[0,1]
	s_mov_b32 s0, 0x3fb8aa3b
	v_mul_f32_e32 v5, 0x3fb8aa3b, v1
	v_fma_f32 v8, v1, s0, -v5
	v_rndne_f32_e32 v9, v5
	v_fmac_f32_e32 v8, 0x32a5705f, v1
	v_sub_f32_e32 v5, v5, v9
	v_add_f32_e32 v5, v5, v8
	v_exp_f32_e32 v5, v5
	v_cvt_i32_f32_e32 v8, v9
	s_mov_b32 s1, 0xc2ce8ed0
	v_cmp_ngt_f32_e32 vcc, s1, v1
	s_mov_b32 s2, 0x42b17218
	v_ldexp_f32 v5, v5, v8
	v_mul_f32_e32 v8, 0x3fb8aa3b, v0
	v_fma_f32 v9, v0, s0, -v8
	v_rndne_f32_e32 v10, v8
	v_fmac_f32_e32 v9, 0x32a5705f, v0
	v_sub_f32_e32 v8, v8, v10
	v_add_f32_e32 v8, v8, v9
	v_exp_f32_e32 v8, v8
	v_cvt_i32_f32_e32 v9, v10
	v_cndmask_b32_e32 v5, 0, v5, vcc
	v_cmp_nlt_f32_e32 vcc, s2, v1
	v_sub_f32_e32 v2, v2, v6
	v_cndmask_b32_e32 v1, v7, v5, vcc
	v_ldexp_f32 v5, v8, v9
	v_mul_f32_e32 v8, 0x3fb8aa3b, v2
	v_fma_f32 v9, v2, s0, -v8
	v_rndne_f32_e32 v10, v8
	v_fmac_f32_e32 v9, 0x32a5705f, v2
	v_sub_f32_e32 v8, v8, v10
	v_add_f32_e32 v8, v8, v9
	v_exp_f32_e32 v8, v8
	v_cvt_i32_f32_e32 v9, v10
	v_cmp_ngt_f32_e32 vcc, s1, v0
	v_cndmask_b32_e32 v5, 0, v5, vcc
	v_cmp_nlt_f32_e32 vcc, s2, v0
	v_sub_f32_e32 v3, v3, v6
	v_cndmask_b32_e32 v0, v7, v5, vcc
	v_mul_f32_e32 v5, 0x3fb8aa3b, v3
	v_add_f32_e32 v0, v0, v1
	v_ldexp_f32 v1, v8, v9
	v_fma_f32 v6, v3, s0, -v5
	v_rndne_f32_e32 v8, v5
	v_fmac_f32_e32 v6, 0x32a5705f, v3
	v_sub_f32_e32 v5, v5, v8
	v_add_f32_e32 v5, v5, v6
	v_exp_f32_e32 v5, v5
	v_cvt_i32_f32_e32 v6, v8
	v_cmp_ngt_f32_e32 vcc, s1, v2
	v_cndmask_b32_e32 v1, 0, v1, vcc
	v_cmp_nlt_f32_e32 vcc, s2, v2
	v_cndmask_b32_e32 v1, v7, v1, vcc
	v_add_f32_e32 v0, v0, v1
	v_ldexp_f32 v1, v5, v6
	v_cmp_ngt_f32_e32 vcc, s1, v3
	v_cndmask_b32_e32 v1, 0, v1, vcc
	v_cmp_nlt_f32_e32 vcc, s2, v3
	v_cndmask_b32_e32 v1, v7, v1, vcc
	v_add_f32_e32 v0, v0, v1
	v_add_f32_e32 v0, v16, v0
	v_cmp_neq_f32_e32 vcc, 0, v0
	s_and_b64 exec, exec, vcc
	s_cbranch_execz .LBB24_19
; %bb.9:
	s_andn2_b64 vcc, exec, s[14:15]
	s_cbranch_vccnz .LBB24_19
; %bb.10:
	v_div_scale_f32 v1, s[0:1], v0, v0, 1.0
	v_rcp_f32_e32 v2, v1
	v_div_scale_f32 v3, vcc, 1.0, v0, 1.0
	s_cmp_gt_u32 s8, 3
	v_fma_f32 v5, -v1, v2, 1.0
	v_fmac_f32_e32 v2, v5, v2
	v_mul_f32_e32 v5, v3, v2
	v_fma_f32 v6, -v1, v5, v3
	v_fmac_f32_e32 v5, v6, v2
	v_fma_f32 v1, -v1, v5, v3
	v_div_fmas_f32 v1, v1, v2, v5
	v_div_fixup_f32 v0, v1, v0, 1.0
	v_ashrrev_i32_e32 v5, 31, v4
	s_cbranch_scc0 .LBB24_14
; %bb.11:
	v_lshlrev_b64 v[2:3], 2, v[4:5]
	v_mov_b32_e32 v6, s13
	v_add_co_u32_e32 v2, vcc, s12, v2
	v_addc_co_u32_e32 v3, vcc, v3, v6, vcc
	s_and_b32 s4, s8, 0x7ffffffc
	v_add_co_u32_e32 v2, vcc, 8, v2
	v_mov_b32_e32 v1, v0
	v_addc_co_u32_e32 v3, vcc, 0, v3, vcc
	s_mov_b32 s0, s4
.LBB24_12:                              ; =>This Inner Loop Header: Depth=1
	global_load_dwordx4 v[6:9], v[2:3], off offset:-8
	s_add_i32 s0, s0, -4
	s_cmp_lg_u32 s0, 0
	s_waitcnt vmcnt(0)
	v_pk_mul_f32 v[6:7], v[0:1], v[6:7]
	v_pk_mul_f32 v[8:9], v[0:1], v[8:9]
	global_store_dwordx4 v[2:3], v[6:9], off offset:-8
	v_add_co_u32_e32 v2, vcc, 16, v2
	v_addc_co_u32_e32 v3, vcc, 0, v3, vcc
	s_cbranch_scc1 .LBB24_12
; %bb.13:
	s_cmp_lg_u32 s4, s8
	s_cselect_b64 s[0:1], -1, 0
	s_branch .LBB24_16
.LBB24_14:
	s_mov_b64 s[0:1], 0
                                        ; implicit-def: $sgpr4
	s_cbranch_execz .LBB24_16
; %bb.15:
	s_mov_b64 s[0:1], -1
	s_mov_b32 s4, 0
.LBB24_16:
	s_andn2_b64 vcc, exec, s[0:1]
	s_cbranch_vccnz .LBB24_19
; %bb.17:
	v_add_co_u32_e32 v2, vcc, s4, v4
	v_addc_co_u32_e32 v3, vcc, 0, v5, vcc
	v_lshlrev_b64 v[2:3], 2, v[2:3]
	v_mov_b32_e32 v1, s13
	v_add_co_u32_e32 v2, vcc, s12, v2
	s_sub_i32 s0, s8, s4
	v_addc_co_u32_e32 v3, vcc, v1, v3, vcc
.LBB24_18:                              ; =>This Inner Loop Header: Depth=1
	global_load_dword v1, v[2:3], off
	s_add_i32 s0, s0, -1
	s_cmp_lg_u32 s0, 0
	s_waitcnt vmcnt(0)
	v_mul_f32_e32 v1, v0, v1
	global_store_dword v[2:3], v1, off
	v_add_co_u32_e32 v2, vcc, 4, v2
	v_addc_co_u32_e32 v3, vcc, 0, v3, vcc
	s_cbranch_scc1 .LBB24_18
.LBB24_19:
	s_endpgm
	.section	.rodata,"a",@progbits
	.p2align	6, 0x0
	.amdhsa_kernel _ZN4vllm3moe17topkGatingSoftmaxIfLi4ELi4ELi8ELi16ELb0ELi1ELNS0_23SharedExpertScoringFuncE1EEEvPKT_PKbPfiPiS9_iiiiii
		.amdhsa_group_segment_fixed_size 0
		.amdhsa_private_segment_fixed_size 0
		.amdhsa_kernarg_size 72
		.amdhsa_user_sgpr_count 6
		.amdhsa_user_sgpr_private_segment_buffer 1
		.amdhsa_user_sgpr_dispatch_ptr 0
		.amdhsa_user_sgpr_queue_ptr 0
		.amdhsa_user_sgpr_kernarg_segment_ptr 1
		.amdhsa_user_sgpr_dispatch_id 0
		.amdhsa_user_sgpr_flat_scratch_init 0
		.amdhsa_user_sgpr_kernarg_preload_length 0
		.amdhsa_user_sgpr_kernarg_preload_offset 0
		.amdhsa_user_sgpr_private_segment_size 0
		.amdhsa_uses_dynamic_stack 0
		.amdhsa_system_sgpr_private_segment_wavefront_offset 0
		.amdhsa_system_sgpr_workgroup_id_x 1
		.amdhsa_system_sgpr_workgroup_id_y 0
		.amdhsa_system_sgpr_workgroup_id_z 0
		.amdhsa_system_sgpr_workgroup_info 0
		.amdhsa_system_vgpr_workitem_id 1
		.amdhsa_next_free_vgpr 23
		.amdhsa_next_free_sgpr 22
		.amdhsa_accum_offset 24
		.amdhsa_reserve_vcc 1
		.amdhsa_reserve_flat_scratch 0
		.amdhsa_float_round_mode_32 0
		.amdhsa_float_round_mode_16_64 0
		.amdhsa_float_denorm_mode_32 3
		.amdhsa_float_denorm_mode_16_64 3
		.amdhsa_dx10_clamp 1
		.amdhsa_ieee_mode 1
		.amdhsa_fp16_overflow 0
		.amdhsa_tg_split 0
		.amdhsa_exception_fp_ieee_invalid_op 0
		.amdhsa_exception_fp_denorm_src 0
		.amdhsa_exception_fp_ieee_div_zero 0
		.amdhsa_exception_fp_ieee_overflow 0
		.amdhsa_exception_fp_ieee_underflow 0
		.amdhsa_exception_fp_ieee_inexact 0
		.amdhsa_exception_int_div_zero 0
	.end_amdhsa_kernel
	.section	.text._ZN4vllm3moe17topkGatingSoftmaxIfLi4ELi4ELi8ELi16ELb0ELi1ELNS0_23SharedExpertScoringFuncE1EEEvPKT_PKbPfiPiS9_iiiiii,"axG",@progbits,_ZN4vllm3moe17topkGatingSoftmaxIfLi4ELi4ELi8ELi16ELb0ELi1ELNS0_23SharedExpertScoringFuncE1EEEvPKT_PKbPfiPiS9_iiiiii,comdat
.Lfunc_end24:
	.size	_ZN4vllm3moe17topkGatingSoftmaxIfLi4ELi4ELi8ELi16ELb0ELi1ELNS0_23SharedExpertScoringFuncE1EEEvPKT_PKbPfiPiS9_iiiiii, .Lfunc_end24-_ZN4vllm3moe17topkGatingSoftmaxIfLi4ELi4ELi8ELi16ELb0ELi1ELNS0_23SharedExpertScoringFuncE1EEEvPKT_PKbPfiPiS9_iiiiii
                                        ; -- End function
	.section	.AMDGPU.csdata,"",@progbits
; Kernel info:
; codeLenInByte = 1916
; NumSgprs: 26
; NumVgprs: 23
; NumAgprs: 0
; TotalNumVgprs: 23
; ScratchSize: 0
; MemoryBound: 0
; FloatMode: 240
; IeeeMode: 1
; LDSByteSize: 0 bytes/workgroup (compile time only)
; SGPRBlocks: 3
; VGPRBlocks: 2
; NumSGPRsForWavesPerEU: 26
; NumVGPRsForWavesPerEU: 23
; AccumOffset: 24
; Occupancy: 8
; WaveLimiterHint : 0
; COMPUTE_PGM_RSRC2:SCRATCH_EN: 0
; COMPUTE_PGM_RSRC2:USER_SGPR: 6
; COMPUTE_PGM_RSRC2:TRAP_HANDLER: 0
; COMPUTE_PGM_RSRC2:TGID_X_EN: 1
; COMPUTE_PGM_RSRC2:TGID_Y_EN: 0
; COMPUTE_PGM_RSRC2:TGID_Z_EN: 0
; COMPUTE_PGM_RSRC2:TIDIG_COMP_CNT: 1
; COMPUTE_PGM_RSRC3_GFX90A:ACCUM_OFFSET: 5
; COMPUTE_PGM_RSRC3_GFX90A:TG_SPLIT: 0
	.section	.text._ZN4vllm3moe17topkGatingSoftmaxIfLi4ELi4ELi8ELi16ELb1ELi2ELNS0_23SharedExpertScoringFuncE1EEEvPKT_PKbPfiPiS9_iiiiii,"axG",@progbits,_ZN4vllm3moe17topkGatingSoftmaxIfLi4ELi4ELi8ELi16ELb1ELi2ELNS0_23SharedExpertScoringFuncE1EEEvPKT_PKbPfiPiS9_iiiiii,comdat
	.protected	_ZN4vllm3moe17topkGatingSoftmaxIfLi4ELi4ELi8ELi16ELb1ELi2ELNS0_23SharedExpertScoringFuncE1EEEvPKT_PKbPfiPiS9_iiiiii ; -- Begin function _ZN4vllm3moe17topkGatingSoftmaxIfLi4ELi4ELi8ELi16ELb1ELi2ELNS0_23SharedExpertScoringFuncE1EEEvPKT_PKbPfiPiS9_iiiiii
	.globl	_ZN4vllm3moe17topkGatingSoftmaxIfLi4ELi4ELi8ELi16ELb1ELi2ELNS0_23SharedExpertScoringFuncE1EEEvPKT_PKbPfiPiS9_iiiiii
	.p2align	8
	.type	_ZN4vllm3moe17topkGatingSoftmaxIfLi4ELi4ELi8ELi16ELb1ELi2ELNS0_23SharedExpertScoringFuncE1EEEvPKT_PKbPfiPiS9_iiiiii,@function
_ZN4vllm3moe17topkGatingSoftmaxIfLi4ELi4ELi8ELi16ELb1ELi2ELNS0_23SharedExpertScoringFuncE1EEEvPKT_PKbPfiPiS9_iiiiii: ; @_ZN4vllm3moe17topkGatingSoftmaxIfLi4ELi4ELi8ELi16ELb1ELi2ELNS0_23SharedExpertScoringFuncE1EEEvPKT_PKbPfiPiS9_iiiiii
; %bb.0:
	s_load_dword s18, s[4:5], 0x18
	v_bfe_u32 v1, v0, 10, 10
	s_lshl_b32 s19, s6, 9
	v_lshlrev_b32_e32 v14, 6, v1
	v_and_b32_e32 v15, 0x3ff, v0
	v_add3_u32 v17, v14, v15, s19
	s_waitcnt lgkmcnt(0)
	v_cmp_gt_i32_e32 vcc, s18, v17
	s_and_saveexec_b64 s[0:1], vcc
	s_cbranch_execz .LBB25_19
; %bb.1:
	s_load_dwordx4 s[0:3], s[4:5], 0x0
	s_load_dwordx2 s[12:13], s[4:5], 0x10
	s_waitcnt lgkmcnt(0)
	s_cmp_eq_u64 s[2:3], 0
	s_cbranch_scc1 .LBB25_3
; %bb.2:
	v_ashrrev_i32_e32 v1, 31, v17
	v_mov_b32_e32 v2, s3
	v_add_co_u32_e32 v0, vcc, s2, v17
	v_addc_co_u32_e32 v1, vcc, v2, v1, vcc
	global_load_ubyte v0, v[0:1], off
	s_waitcnt vmcnt(0)
	v_and_b32_e32 v0, 1, v0
	v_cmp_eq_u32_e32 vcc, 1, v0
	s_xor_b64 s[2:3], vcc, -1
	s_orn2_b64 s[14:15], s[2:3], exec
	s_branch .LBB25_4
.LBB25_3:
	s_mov_b64 s[14:15], -1
.LBB25_4:
	s_load_dwordx2 s[2:3], s[4:5], 0x40
	s_load_dwordx4 s[8:11], s[4:5], 0x30
	v_mov_b32_e32 v2, s1
	s_mov_b32 s6, 0x42ce8ed0
	s_mov_b32 s7, 0xc2b17218
	s_waitcnt lgkmcnt(0)
	v_mul_lo_u32 v0, v17, s3
	v_ashrrev_i32_e32 v1, 31, v0
	v_lshlrev_b64 v[0:1], 2, v[0:1]
	v_add_co_u32_e32 v6, vcc, s0, v0
	v_addc_co_u32_e32 v7, vcc, v2, v1, vcc
	global_load_dword v10, v[6:7], off offset:16
	global_load_dwordx4 v[0:3], v[6:7], off
	s_mov_b32 s3, 0xbfb8aa3b
	v_mov_b32_e32 v5, 0x7f800000
	v_mul_lo_u32 v4, v17, s11
	v_mov_b32_e32 v11, s13
	s_cmp_gt_i32 s8, 0
	s_cselect_b64 s[16:17], -1, 0
	s_cmp_lt_i32 s8, 1
	s_waitcnt vmcnt(1)
	v_mul_f32_e32 v8, 0xbfb8aa3b, v10
	v_fma_f32 v9, v10, s3, -v8
	v_rndne_f32_e32 v12, v8
	v_fmac_f32_e32 v9, 0xb2a5705f, v10
	v_sub_f32_e32 v8, v8, v12
	v_add_f32_e32 v8, v8, v9
	v_cvt_i32_f32_e32 v12, v12
	v_exp_f32_e32 v13, v8
	v_cmp_nlt_f32_e32 vcc, s6, v10
	v_add_u32_e32 v8, s8, v4
	v_ashrrev_i32_e32 v9, 31, v8
	v_ldexp_f32 v12, v13, v12
	v_cndmask_b32_e32 v12, 0, v12, vcc
	v_cmp_ngt_f32_e32 vcc, s7, v10
	v_cndmask_b32_e32 v10, v5, v12, vcc
	v_add_f32_e32 v10, 1.0, v10
	v_div_scale_f32 v12, s[0:1], v10, v10, 1.0
	v_rcp_f32_e32 v13, v12
	v_lshlrev_b64 v[8:9], 2, v[8:9]
	v_add_co_u32_e32 v8, vcc, s12, v8
	v_addc_co_u32_e32 v9, vcc, v11, v9, vcc
	v_fma_f32 v16, -v12, v13, 1.0
	v_div_scale_f32 v11, vcc, 1.0, v10, 1.0
	v_fmac_f32_e32 v13, v16, v13
	v_mul_f32_e32 v16, v11, v13
	v_fma_f32 v18, -v12, v16, v11
	v_fmac_f32_e32 v16, v18, v13
	v_fma_f32 v11, -v12, v16, v11
	v_div_fmas_f32 v11, v11, v13, v16
	v_div_fixup_f32 v10, v11, v10, 1.0
	global_store_dword v[8:9], v10, off
	global_load_dword v6, v[6:7], off offset:20
	v_mov_b32_e32 v16, 0
	s_waitcnt vmcnt(0)
	v_mul_f32_e32 v7, 0xbfb8aa3b, v6
	v_fma_f32 v10, v6, s3, -v7
	v_rndne_f32_e32 v11, v7
	v_fmac_f32_e32 v10, 0xb2a5705f, v6
	v_sub_f32_e32 v7, v7, v11
	v_add_f32_e32 v7, v7, v10
	v_cvt_i32_f32_e32 v11, v11
	v_exp_f32_e32 v7, v7
	v_cmp_nlt_f32_e32 vcc, s6, v6
	v_ldexp_f32 v7, v7, v11
	v_cndmask_b32_e32 v7, 0, v7, vcc
	v_cmp_ngt_f32_e32 vcc, s7, v6
	v_cndmask_b32_e32 v6, v5, v7, vcc
	v_add_f32_e32 v6, 1.0, v6
	v_div_scale_f32 v7, s[0:1], v6, v6, 1.0
	v_rcp_f32_e32 v10, v7
	v_div_scale_f32 v11, vcc, 1.0, v6, 1.0
	v_fma_f32 v12, -v7, v10, 1.0
	v_fmac_f32_e32 v10, v12, v10
	v_mul_f32_e32 v12, v11, v10
	v_fma_f32 v13, -v7, v12, v11
	v_fmac_f32_e32 v12, v13, v10
	v_fma_f32 v7, -v7, v12, v11
	v_div_fmas_f32 v7, v7, v10, v12
	v_div_fixup_f32 v6, v7, v6, 1.0
	global_store_dword v[8:9], v6, off offset:4
	s_cbranch_scc1 .LBB25_8
; %bb.5:
	v_cmp_lt_f32_e32 vcc, v0, v1
	v_cndmask_b32_e32 v7, v0, v1, vcc
	v_cndmask_b32_e64 v6, 0, 1, vcc
	v_cmp_lt_f32_e32 vcc, v7, v2
	v_cndmask_b32_e32 v7, v7, v2, vcc
	v_cndmask_b32_e64 v6, v6, 2, vcc
	v_cmp_lt_f32_e32 vcc, v7, v3
	v_cndmask_b32_e32 v18, v7, v3, vcc
	v_sub_f32_e32 v7, v18, v18
	s_mov_b32 s11, 0x3fb8aa3b
	v_mul_f32_e32 v8, 0x3fb8aa3b, v7
	v_fma_f32 v9, v7, s11, -v8
	v_rndne_f32_e32 v10, v8
	v_fmac_f32_e32 v9, 0x32a5705f, v7
	v_sub_f32_e32 v8, v8, v10
	v_add_f32_e32 v8, v8, v9
	v_exp_f32_e32 v8, v8
	v_cvt_i32_f32_e32 v9, v10
	v_cndmask_b32_e64 v19, v6, 3, vcc
	v_cmp_le_i32_e32 vcc, s9, v19
	v_cmp_gt_i32_e64 s[0:1], s10, v19
	s_mov_b32 s20, 0xc2ce8ed0
	v_mul_lo_u32 v6, v17, s2
	s_and_b64 s[2:3], vcc, s[0:1]
	v_ldexp_f32 v8, v8, v9
	v_cmp_ngt_f32_e32 vcc, s20, v7
	s_mov_b32 s21, 0x42b17218
	v_cndmask_b32_e32 v8, 0, v8, vcc
	v_cmp_nlt_f32_e32 vcc, s21, v7
	s_load_dwordx4 s[4:7], s[4:5], 0x20
	v_cndmask_b32_e32 v16, v5, v8, vcc
	v_ashrrev_i32_e32 v5, 31, v4
	v_lshlrev_b64 v[10:11], 2, v[4:5]
	v_mov_b32_e32 v5, s13
	v_add_co_u32_e32 v12, vcc, s12, v10
	v_addc_co_u32_e64 v13, s[0:1], v5, v11, vcc
	v_ashrrev_i32_e32 v7, 31, v6
	v_subrev_u32_e32 v5, s9, v19
	s_and_b64 s[0:1], s[14:15], s[2:3]
	v_lshlrev_b64 v[8:9], 2, v[6:7]
	v_mul_lo_u32 v20, v17, s8
	v_cndmask_b32_e64 v5, 4, v5, s[0:1]
	s_waitcnt lgkmcnt(0)
	v_mov_b32_e32 v7, s5
	v_add_co_u32_e64 v6, s[0:1], s4, v8
	v_addc_co_u32_e64 v7, s[0:1], v7, v9, s[0:1]
	v_ashrrev_i32_e32 v21, 31, v20
	global_store_dword v[6:7], v5, off
	v_lshlrev_b64 v[6:7], 2, v[20:21]
	v_mov_b32_e32 v5, s7
	v_add_co_u32_e64 v20, s[0:1], s6, v6
	v_addc_co_u32_e64 v21, s[0:1], v5, v7, s[0:1]
	s_cmp_eq_u32 s8, 1
	global_store_dword v[12:13], v16, off
	global_store_dword v[20:21], v17, off
	s_cbranch_scc1 .LBB25_8
; %bb.6:
	v_mov_b32_e32 v5, 0xff800000
	v_cmp_ne_u32_e64 s[0:1], 3, v19
	v_cndmask_b32_e64 v3, v5, v3, s[0:1]
	v_cmp_ne_u32_e64 s[0:1], 2, v19
	v_cndmask_b32_e64 v2, v5, v2, s[0:1]
	;; [unrolled: 2-line block ×4, first 2 shown]
	v_mov_b32_e32 v10, s7
	v_add_co_u32_e64 v6, s[0:1], s6, v6
	v_addc_co_u32_e64 v7, s[0:1], v7, v10, s[0:1]
	v_add_co_u32_e64 v6, s[0:1], 4, v6
	v_addc_co_u32_e64 v7, s[0:1], 0, v7, s[0:1]
	v_mov_b32_e32 v10, s5
	v_add_co_u32_e64 v8, s[0:1], s4, v8
	v_addc_co_u32_e64 v9, s[0:1], v9, v10, s[0:1]
	v_mov_b32_e32 v10, s13
	v_addc_co_u32_e32 v11, vcc, v11, v10, vcc
	v_add_co_u32_e64 v8, s[0:1], 4, v8
	v_add_co_u32_e32 v10, vcc, 4, v12
	s_add_i32 s19, s19, s18
	v_addc_co_u32_e64 v9, s[0:1], 0, v9, s[0:1]
	v_addc_co_u32_e32 v11, vcc, 0, v11, vcc
	s_add_i32 s4, s8, -1
	v_add3_u32 v12, s19, v15, v14
	v_mov_b32_e32 v13, 0x7f800000
.LBB25_7:                               ; =>This Inner Loop Header: Depth=1
	v_cmp_gt_f32_e32 vcc, v1, v0
	v_cndmask_b32_e32 v14, v0, v1, vcc
	v_cmp_gt_f32_e64 s[0:1], v2, v14
	v_cndmask_b32_e64 v14, v14, v2, s[0:1]
	v_cndmask_b32_e64 v15, 0, 1, vcc
	v_cmp_gt_f32_e32 vcc, v3, v14
	v_cndmask_b32_e64 v15, v15, 2, s[0:1]
	v_cndmask_b32_e64 v15, v15, 3, vcc
	v_cndmask_b32_e32 v14, v14, v3, vcc
	v_cmp_ne_u32_e64 s[2:3], 3, v15
	v_sub_f32_e32 v14, v14, v18
	v_cndmask_b32_e64 v3, v5, v3, s[2:3]
	v_cmp_ne_u32_e64 s[2:3], 2, v15
	v_cmp_le_i32_e32 vcc, s9, v15
	v_cmp_gt_i32_e64 s[0:1], s10, v15
	v_mul_f32_e32 v17, 0x3fb8aa3b, v14
	v_cndmask_b32_e64 v2, v5, v2, s[2:3]
	v_cmp_ne_u32_e64 s[2:3], 1, v15
	v_subrev_u32_e32 v19, s9, v15
	v_cndmask_b32_e64 v1, v5, v1, s[2:3]
	v_cmp_ne_u32_e64 s[2:3], 0, v15
	s_and_b64 s[0:1], vcc, s[0:1]
	v_fma_f32 v15, v14, s11, -v17
	v_rndne_f32_e32 v20, v17
	v_fmac_f32_e32 v15, 0x32a5705f, v14
	v_sub_f32_e32 v17, v17, v20
	s_and_b64 vcc, s[14:15], s[0:1]
	v_cndmask_b32_e32 v19, 4, v19, vcc
	v_add_f32_e32 v15, v17, v15
	v_cvt_i32_f32_e32 v20, v20
	global_store_dword v[8:9], v19, off
	global_store_dword v[6:7], v12, off
	v_add_co_u32_e32 v6, vcc, 4, v6
	v_exp_f32_e32 v15, v15
	v_addc_co_u32_e32 v7, vcc, 0, v7, vcc
	v_add_co_u32_e32 v8, vcc, 4, v8
	v_addc_co_u32_e32 v9, vcc, 0, v9, vcc
	v_ldexp_f32 v15, v15, v20
	v_cmp_ngt_f32_e32 vcc, s20, v14
	v_cndmask_b32_e32 v15, 0, v15, vcc
	v_cmp_nlt_f32_e32 vcc, s21, v14
	v_cndmask_b32_e32 v14, v13, v15, vcc
	s_add_i32 s4, s4, -1
	global_store_dword v[10:11], v14, off
	v_add_co_u32_e32 v10, vcc, 4, v10
	v_cndmask_b32_e64 v0, v5, v0, s[2:3]
	v_add_u32_e32 v12, s18, v12
	s_cmp_eq_u32 s4, 0
	v_add_f32_e32 v16, v16, v14
	v_addc_co_u32_e32 v11, vcc, 0, v11, vcc
	s_cbranch_scc0 .LBB25_7
.LBB25_8:
	v_cmp_neq_f32_e32 vcc, 0, v16
	s_and_b64 exec, exec, vcc
	s_cbranch_execz .LBB25_19
; %bb.9:
	s_andn2_b64 vcc, exec, s[16:17]
	s_cbranch_vccnz .LBB25_19
; %bb.10:
	v_div_scale_f32 v0, s[0:1], v16, v16, 1.0
	v_rcp_f32_e32 v1, v0
	v_div_scale_f32 v2, vcc, 1.0, v16, 1.0
	s_cmp_gt_u32 s8, 3
	v_fma_f32 v3, -v0, v1, 1.0
	v_fmac_f32_e32 v1, v3, v1
	v_mul_f32_e32 v3, v2, v1
	v_fma_f32 v5, -v0, v3, v2
	v_fmac_f32_e32 v3, v5, v1
	v_fma_f32 v0, -v0, v3, v2
	v_div_fmas_f32 v0, v0, v1, v3
	v_div_fixup_f32 v0, v0, v16, 1.0
	v_ashrrev_i32_e32 v5, 31, v4
	s_cbranch_scc0 .LBB25_14
; %bb.11:
	v_lshlrev_b64 v[2:3], 2, v[4:5]
	v_mov_b32_e32 v6, s13
	v_add_co_u32_e32 v2, vcc, s12, v2
	v_addc_co_u32_e32 v3, vcc, v3, v6, vcc
	s_and_b32 s4, s8, 0x7ffffffc
	v_add_co_u32_e32 v2, vcc, 8, v2
	v_mov_b32_e32 v1, v0
	v_addc_co_u32_e32 v3, vcc, 0, v3, vcc
	s_mov_b32 s0, s4
.LBB25_12:                              ; =>This Inner Loop Header: Depth=1
	global_load_dwordx4 v[6:9], v[2:3], off offset:-8
	s_add_i32 s0, s0, -4
	s_cmp_lg_u32 s0, 0
	s_waitcnt vmcnt(0)
	v_pk_mul_f32 v[6:7], v[0:1], v[6:7]
	v_pk_mul_f32 v[8:9], v[0:1], v[8:9]
	global_store_dwordx4 v[2:3], v[6:9], off offset:-8
	v_add_co_u32_e32 v2, vcc, 16, v2
	v_addc_co_u32_e32 v3, vcc, 0, v3, vcc
	s_cbranch_scc1 .LBB25_12
; %bb.13:
	s_cmp_lg_u32 s4, s8
	s_cselect_b64 s[0:1], -1, 0
	s_branch .LBB25_16
.LBB25_14:
	s_mov_b64 s[0:1], 0
                                        ; implicit-def: $sgpr4
	s_cbranch_execz .LBB25_16
; %bb.15:
	s_mov_b64 s[0:1], -1
	s_mov_b32 s4, 0
.LBB25_16:
	s_andn2_b64 vcc, exec, s[0:1]
	s_cbranch_vccnz .LBB25_19
; %bb.17:
	v_add_co_u32_e32 v2, vcc, s4, v4
	v_addc_co_u32_e32 v3, vcc, 0, v5, vcc
	v_lshlrev_b64 v[2:3], 2, v[2:3]
	v_mov_b32_e32 v1, s13
	v_add_co_u32_e32 v2, vcc, s12, v2
	s_sub_i32 s0, s8, s4
	v_addc_co_u32_e32 v3, vcc, v1, v3, vcc
.LBB25_18:                              ; =>This Inner Loop Header: Depth=1
	global_load_dword v1, v[2:3], off
	s_add_i32 s0, s0, -1
	s_cmp_lg_u32 s0, 0
	s_waitcnt vmcnt(0)
	v_mul_f32_e32 v1, v0, v1
	global_store_dword v[2:3], v1, off
	v_add_co_u32_e32 v2, vcc, 4, v2
	v_addc_co_u32_e32 v3, vcc, 0, v3, vcc
	s_cbranch_scc1 .LBB25_18
.LBB25_19:
	s_endpgm
	.section	.rodata,"a",@progbits
	.p2align	6, 0x0
	.amdhsa_kernel _ZN4vllm3moe17topkGatingSoftmaxIfLi4ELi4ELi8ELi16ELb1ELi2ELNS0_23SharedExpertScoringFuncE1EEEvPKT_PKbPfiPiS9_iiiiii
		.amdhsa_group_segment_fixed_size 0
		.amdhsa_private_segment_fixed_size 0
		.amdhsa_kernarg_size 72
		.amdhsa_user_sgpr_count 6
		.amdhsa_user_sgpr_private_segment_buffer 1
		.amdhsa_user_sgpr_dispatch_ptr 0
		.amdhsa_user_sgpr_queue_ptr 0
		.amdhsa_user_sgpr_kernarg_segment_ptr 1
		.amdhsa_user_sgpr_dispatch_id 0
		.amdhsa_user_sgpr_flat_scratch_init 0
		.amdhsa_user_sgpr_kernarg_preload_length 0
		.amdhsa_user_sgpr_kernarg_preload_offset 0
		.amdhsa_user_sgpr_private_segment_size 0
		.amdhsa_uses_dynamic_stack 0
		.amdhsa_system_sgpr_private_segment_wavefront_offset 0
		.amdhsa_system_sgpr_workgroup_id_x 1
		.amdhsa_system_sgpr_workgroup_id_y 0
		.amdhsa_system_sgpr_workgroup_id_z 0
		.amdhsa_system_sgpr_workgroup_info 0
		.amdhsa_system_vgpr_workitem_id 1
		.amdhsa_next_free_vgpr 22
		.amdhsa_next_free_sgpr 22
		.amdhsa_accum_offset 24
		.amdhsa_reserve_vcc 1
		.amdhsa_reserve_flat_scratch 0
		.amdhsa_float_round_mode_32 0
		.amdhsa_float_round_mode_16_64 0
		.amdhsa_float_denorm_mode_32 3
		.amdhsa_float_denorm_mode_16_64 3
		.amdhsa_dx10_clamp 1
		.amdhsa_ieee_mode 1
		.amdhsa_fp16_overflow 0
		.amdhsa_tg_split 0
		.amdhsa_exception_fp_ieee_invalid_op 0
		.amdhsa_exception_fp_denorm_src 0
		.amdhsa_exception_fp_ieee_div_zero 0
		.amdhsa_exception_fp_ieee_overflow 0
		.amdhsa_exception_fp_ieee_underflow 0
		.amdhsa_exception_fp_ieee_inexact 0
		.amdhsa_exception_int_div_zero 0
	.end_amdhsa_kernel
	.section	.text._ZN4vllm3moe17topkGatingSoftmaxIfLi4ELi4ELi8ELi16ELb1ELi2ELNS0_23SharedExpertScoringFuncE1EEEvPKT_PKbPfiPiS9_iiiiii,"axG",@progbits,_ZN4vllm3moe17topkGatingSoftmaxIfLi4ELi4ELi8ELi16ELb1ELi2ELNS0_23SharedExpertScoringFuncE1EEEvPKT_PKbPfiPiS9_iiiiii,comdat
.Lfunc_end25:
	.size	_ZN4vllm3moe17topkGatingSoftmaxIfLi4ELi4ELi8ELi16ELb1ELi2ELNS0_23SharedExpertScoringFuncE1EEEvPKT_PKbPfiPiS9_iiiiii, .Lfunc_end25-_ZN4vllm3moe17topkGatingSoftmaxIfLi4ELi4ELi8ELi16ELb1ELi2ELNS0_23SharedExpertScoringFuncE1EEEvPKT_PKbPfiPiS9_iiiiii
                                        ; -- End function
	.section	.AMDGPU.csdata,"",@progbits
; Kernel info:
; codeLenInByte = 1732
; NumSgprs: 26
; NumVgprs: 22
; NumAgprs: 0
; TotalNumVgprs: 22
; ScratchSize: 0
; MemoryBound: 0
; FloatMode: 240
; IeeeMode: 1
; LDSByteSize: 0 bytes/workgroup (compile time only)
; SGPRBlocks: 3
; VGPRBlocks: 2
; NumSGPRsForWavesPerEU: 26
; NumVGPRsForWavesPerEU: 22
; AccumOffset: 24
; Occupancy: 8
; WaveLimiterHint : 0
; COMPUTE_PGM_RSRC2:SCRATCH_EN: 0
; COMPUTE_PGM_RSRC2:USER_SGPR: 6
; COMPUTE_PGM_RSRC2:TRAP_HANDLER: 0
; COMPUTE_PGM_RSRC2:TGID_X_EN: 1
; COMPUTE_PGM_RSRC2:TGID_Y_EN: 0
; COMPUTE_PGM_RSRC2:TGID_Z_EN: 0
; COMPUTE_PGM_RSRC2:TIDIG_COMP_CNT: 1
; COMPUTE_PGM_RSRC3_GFX90A:ACCUM_OFFSET: 5
; COMPUTE_PGM_RSRC3_GFX90A:TG_SPLIT: 0
	.section	.text._ZN4vllm3moe17topkGatingSoftmaxIfLi4ELi4ELi8ELi16ELb0ELi2ELNS0_23SharedExpertScoringFuncE1EEEvPKT_PKbPfiPiS9_iiiiii,"axG",@progbits,_ZN4vllm3moe17topkGatingSoftmaxIfLi4ELi4ELi8ELi16ELb0ELi2ELNS0_23SharedExpertScoringFuncE1EEEvPKT_PKbPfiPiS9_iiiiii,comdat
	.protected	_ZN4vllm3moe17topkGatingSoftmaxIfLi4ELi4ELi8ELi16ELb0ELi2ELNS0_23SharedExpertScoringFuncE1EEEvPKT_PKbPfiPiS9_iiiiii ; -- Begin function _ZN4vllm3moe17topkGatingSoftmaxIfLi4ELi4ELi8ELi16ELb0ELi2ELNS0_23SharedExpertScoringFuncE1EEEvPKT_PKbPfiPiS9_iiiiii
	.globl	_ZN4vllm3moe17topkGatingSoftmaxIfLi4ELi4ELi8ELi16ELb0ELi2ELNS0_23SharedExpertScoringFuncE1EEEvPKT_PKbPfiPiS9_iiiiii
	.p2align	8
	.type	_ZN4vllm3moe17topkGatingSoftmaxIfLi4ELi4ELi8ELi16ELb0ELi2ELNS0_23SharedExpertScoringFuncE1EEEvPKT_PKbPfiPiS9_iiiiii,@function
_ZN4vllm3moe17topkGatingSoftmaxIfLi4ELi4ELi8ELi16ELb0ELi2ELNS0_23SharedExpertScoringFuncE1EEEvPKT_PKbPfiPiS9_iiiiii: ; @_ZN4vllm3moe17topkGatingSoftmaxIfLi4ELi4ELi8ELi16ELb0ELi2ELNS0_23SharedExpertScoringFuncE1EEEvPKT_PKbPfiPiS9_iiiiii
; %bb.0:
	s_load_dword s20, s[4:5], 0x18
	v_bfe_u32 v1, v0, 10, 10
	s_lshl_b32 s21, s6, 9
	v_lshlrev_b32_e32 v17, 6, v1
	v_and_b32_e32 v18, 0x3ff, v0
	v_add3_u32 v19, v17, v18, s21
	s_waitcnt lgkmcnt(0)
	v_cmp_gt_i32_e32 vcc, s20, v19
	s_and_saveexec_b64 s[0:1], vcc
	s_cbranch_execz .LBB26_19
; %bb.1:
	s_load_dwordx4 s[0:3], s[4:5], 0x0
	s_load_dwordx2 s[12:13], s[4:5], 0x10
	s_waitcnt lgkmcnt(0)
	s_cmp_eq_u64 s[2:3], 0
	s_cbranch_scc1 .LBB26_3
; %bb.2:
	v_ashrrev_i32_e32 v1, 31, v19
	v_mov_b32_e32 v2, s3
	v_add_co_u32_e32 v0, vcc, s2, v19
	v_addc_co_u32_e32 v1, vcc, v2, v1, vcc
	global_load_ubyte v0, v[0:1], off
	s_waitcnt vmcnt(0)
	v_and_b32_e32 v0, 1, v0
	v_cmp_eq_u32_e32 vcc, 1, v0
	s_xor_b64 s[2:3], vcc, -1
	s_orn2_b64 s[14:15], s[2:3], exec
	s_branch .LBB26_4
.LBB26_3:
	s_mov_b64 s[14:15], -1
.LBB26_4:
	s_load_dwordx2 s[18:19], s[4:5], 0x40
	s_load_dwordx4 s[8:11], s[4:5], 0x30
	v_mov_b32_e32 v2, s1
	s_mov_b32 s2, 0xbfb8aa3b
	s_mov_b32 s3, 0x42ce8ed0
	s_waitcnt lgkmcnt(0)
	v_mul_lo_u32 v0, v19, s19
	v_ashrrev_i32_e32 v1, 31, v0
	v_lshlrev_b64 v[0:1], 2, v[0:1]
	v_add_co_u32_e32 v8, vcc, s0, v0
	v_addc_co_u32_e32 v9, vcc, v2, v1, vcc
	global_load_dword v5, v[8:9], off offset:16
	global_load_dwordx4 v[0:3], v[8:9], off
	s_mov_b32 s6, 0xc2b17218
	v_mov_b32_e32 v7, 0x7f800000
	v_mul_lo_u32 v4, v19, s11
	v_mov_b32_e32 v6, s13
	s_cmp_gt_i32 s8, 0
	v_mov_b32_e32 v16, 0
	s_cselect_b64 s[16:17], -1, 0
	s_cmp_lt_i32 s8, 1
	s_waitcnt vmcnt(1)
	v_mul_f32_e32 v10, 0xbfb8aa3b, v5
	v_fma_f32 v11, v5, s2, -v10
	v_rndne_f32_e32 v12, v10
	v_fmac_f32_e32 v11, 0xb2a5705f, v5
	v_sub_f32_e32 v10, v10, v12
	v_add_f32_e32 v10, v10, v11
	v_cvt_i32_f32_e32 v12, v12
	v_exp_f32_e32 v13, v10
	v_cmp_nlt_f32_e32 vcc, s3, v5
	v_add_u32_e32 v10, s8, v4
	v_ashrrev_i32_e32 v11, 31, v10
	v_ldexp_f32 v12, v13, v12
	v_cndmask_b32_e32 v12, 0, v12, vcc
	v_cmp_ngt_f32_e32 vcc, s6, v5
	v_cndmask_b32_e32 v5, v7, v12, vcc
	v_add_f32_e32 v5, 1.0, v5
	v_div_scale_f32 v12, s[0:1], v5, v5, 1.0
	v_rcp_f32_e32 v13, v12
	v_lshlrev_b64 v[10:11], 2, v[10:11]
	v_add_co_u32_e32 v10, vcc, s12, v10
	v_addc_co_u32_e32 v11, vcc, v6, v11, vcc
	v_fma_f32 v14, -v12, v13, 1.0
	v_div_scale_f32 v6, vcc, 1.0, v5, 1.0
	v_fmac_f32_e32 v13, v14, v13
	v_mul_f32_e32 v14, v6, v13
	v_fma_f32 v15, -v12, v14, v6
	v_fmac_f32_e32 v14, v15, v13
	v_fma_f32 v6, -v12, v14, v6
	v_div_fmas_f32 v6, v6, v13, v14
	v_div_fixup_f32 v5, v6, v5, 1.0
	global_store_dword v[10:11], v5, off
	global_load_dword v5, v[8:9], off offset:20
	s_waitcnt vmcnt(2)
	v_cmp_lt_f32_e64 s[0:1], v0, v1
	s_waitcnt vmcnt(0)
	v_mul_f32_e32 v6, 0xbfb8aa3b, v5
	v_fma_f32 v8, v5, s2, -v6
	v_rndne_f32_e32 v9, v6
	v_fmac_f32_e32 v8, 0xb2a5705f, v5
	v_sub_f32_e32 v6, v6, v9
	v_add_f32_e32 v6, v6, v8
	v_cvt_i32_f32_e32 v9, v9
	v_exp_f32_e32 v6, v6
	v_cmp_nlt_f32_e32 vcc, s3, v5
	v_cndmask_b32_e64 v8, v0, v1, s[0:1]
	v_ldexp_f32 v6, v6, v9
	v_cndmask_b32_e32 v6, 0, v6, vcc
	v_cmp_ngt_f32_e32 vcc, s6, v5
	v_cndmask_b32_e32 v5, v7, v6, vcc
	v_add_f32_e32 v5, 1.0, v5
	v_div_scale_f32 v6, s[2:3], v5, v5, 1.0
	v_rcp_f32_e32 v9, v6
	v_div_scale_f32 v12, vcc, 1.0, v5, 1.0
	v_cmp_lt_f32_e64 s[2:3], v8, v2
	v_fma_f32 v13, -v6, v9, 1.0
	v_fmac_f32_e32 v9, v13, v9
	v_mul_f32_e32 v13, v12, v9
	v_fma_f32 v14, -v6, v13, v12
	v_fmac_f32_e32 v13, v14, v9
	v_cndmask_b32_e64 v8, v8, v2, s[2:3]
	v_fma_f32 v6, -v6, v13, v12
	v_div_fmas_f32 v6, v6, v9, v13
	v_cmp_lt_f32_e32 vcc, v8, v3
	v_div_fixup_f32 v5, v6, v5, 1.0
	v_cndmask_b32_e32 v6, v8, v3, vcc
	global_store_dword v[10:11], v5, off offset:4
	s_cbranch_scc1 .LBB26_8
; %bb.5:
	v_cndmask_b32_e64 v5, 0, 1, s[0:1]
	v_cndmask_b32_e64 v5, v5, 2, s[2:3]
	v_cndmask_b32_e64 v22, v5, 3, vcc
	v_sub_f32_e32 v5, v6, v6
	v_mul_f32_e32 v9, 0x3fb8aa3b, v5
	s_mov_b32 s11, 0x3fb8aa3b
	v_rndne_f32_e32 v10, v9
	v_sub_f32_e32 v11, v9, v10
	v_fma_f32 v9, v5, s11, -v9
	v_fmac_f32_e32 v9, 0x32a5705f, v5
	v_add_f32_e32 v9, v11, v9
	v_exp_f32_e32 v9, v9
	v_cvt_i32_f32_e32 v10, v10
	v_mul_lo_u32 v8, v19, s18
	v_cmp_le_i32_e32 vcc, s9, v22
	v_cmp_gt_i32_e64 s[0:1], s10, v22
	s_mov_b32 s18, 0xc2ce8ed0
	s_and_b64 s[2:3], vcc, s[0:1]
	v_ldexp_f32 v9, v9, v10
	v_cmp_ngt_f32_e32 vcc, s18, v5
	s_mov_b32 s19, 0x42b17218
	s_load_dwordx4 s[4:7], s[4:5], 0x20
	v_cndmask_b32_e32 v9, 0, v9, vcc
	v_cmp_nlt_f32_e32 vcc, s19, v5
	v_ashrrev_i32_e32 v5, 31, v4
	v_lshlrev_b64 v[12:13], 2, v[4:5]
	v_cndmask_b32_e32 v16, v7, v9, vcc
	v_mov_b32_e32 v5, s13
	v_add_co_u32_e32 v14, vcc, s12, v12
	v_addc_co_u32_e64 v15, s[0:1], v5, v13, vcc
	v_ashrrev_i32_e32 v9, 31, v8
	v_subrev_u32_e32 v5, s9, v22
	s_and_b64 s[0:1], s[14:15], s[2:3]
	v_lshlrev_b64 v[10:11], 2, v[8:9]
	v_mul_lo_u32 v20, v19, s8
	v_cndmask_b32_e64 v5, 4, v5, s[0:1]
	s_waitcnt lgkmcnt(0)
	v_mov_b32_e32 v9, s5
	v_add_co_u32_e64 v8, s[0:1], s4, v10
	v_addc_co_u32_e64 v9, s[0:1], v9, v11, s[0:1]
	v_ashrrev_i32_e32 v21, 31, v20
	global_store_dword v[8:9], v5, off
	v_lshlrev_b64 v[8:9], 2, v[20:21]
	v_mov_b32_e32 v5, s7
	v_add_co_u32_e64 v20, s[0:1], s6, v8
	v_addc_co_u32_e64 v21, s[0:1], v5, v9, s[0:1]
	v_mov_b32_e32 v5, 0xff800000
	v_cmp_ne_u32_e64 s[0:1], 3, v22
	v_cndmask_b32_e64 v3, v5, v3, s[0:1]
	v_cmp_ne_u32_e64 s[0:1], 2, v22
	v_cndmask_b32_e64 v2, v5, v2, s[0:1]
	;; [unrolled: 2-line block ×3, first 2 shown]
	v_cmp_ne_u32_e64 s[0:1], 0, v22
	s_cmp_eq_u32 s8, 1
	v_cndmask_b32_e64 v0, v5, v0, s[0:1]
	global_store_dword v[14:15], v16, off
	global_store_dword v[20:21], v19, off
	s_cbranch_scc1 .LBB26_8
; %bb.6:
	v_mov_b32_e32 v12, s7
	v_add_co_u32_e64 v8, s[0:1], s6, v8
	v_addc_co_u32_e64 v9, s[0:1], v9, v12, s[0:1]
	v_add_co_u32_e64 v8, s[0:1], 4, v8
	v_addc_co_u32_e64 v9, s[0:1], 0, v9, s[0:1]
	v_mov_b32_e32 v12, s5
	v_add_co_u32_e64 v10, s[0:1], s4, v10
	v_addc_co_u32_e64 v11, s[0:1], v11, v12, s[0:1]
	v_mov_b32_e32 v12, s13
	v_addc_co_u32_e32 v13, vcc, v13, v12, vcc
	v_add_co_u32_e64 v10, s[0:1], 4, v10
	v_add_co_u32_e32 v12, vcc, 4, v14
	s_add_i32 s21, s21, s20
	v_addc_co_u32_e64 v11, s[0:1], 0, v11, s[0:1]
	v_addc_co_u32_e32 v13, vcc, 0, v13, vcc
	s_add_i32 s4, s8, -1
	v_add3_u32 v14, s21, v18, v17
	v_mov_b32_e32 v15, 0x7f800000
.LBB26_7:                               ; =>This Inner Loop Header: Depth=1
	v_cmp_gt_f32_e32 vcc, v1, v0
	v_cndmask_b32_e32 v17, v0, v1, vcc
	v_cmp_gt_f32_e64 s[0:1], v2, v17
	v_cndmask_b32_e64 v17, v17, v2, s[0:1]
	v_cndmask_b32_e64 v18, 0, 1, vcc
	v_cmp_gt_f32_e32 vcc, v3, v17
	v_cndmask_b32_e64 v18, v18, 2, s[0:1]
	v_cndmask_b32_e64 v18, v18, 3, vcc
	v_cndmask_b32_e32 v17, v17, v3, vcc
	v_cmp_ne_u32_e64 s[2:3], 3, v18
	v_sub_f32_e32 v17, v17, v6
	v_cndmask_b32_e64 v3, v5, v3, s[2:3]
	v_cmp_ne_u32_e64 s[2:3], 2, v18
	v_cmp_le_i32_e32 vcc, s9, v18
	v_cmp_gt_i32_e64 s[0:1], s10, v18
	v_mul_f32_e32 v19, 0x3fb8aa3b, v17
	v_cndmask_b32_e64 v2, v5, v2, s[2:3]
	v_cmp_ne_u32_e64 s[2:3], 1, v18
	v_subrev_u32_e32 v20, s9, v18
	v_cndmask_b32_e64 v1, v5, v1, s[2:3]
	v_cmp_ne_u32_e64 s[2:3], 0, v18
	s_and_b64 s[0:1], vcc, s[0:1]
	v_fma_f32 v18, v17, s11, -v19
	v_rndne_f32_e32 v21, v19
	v_fmac_f32_e32 v18, 0x32a5705f, v17
	v_sub_f32_e32 v19, v19, v21
	s_and_b64 vcc, s[14:15], s[0:1]
	v_cndmask_b32_e32 v20, 4, v20, vcc
	v_add_f32_e32 v18, v19, v18
	v_cvt_i32_f32_e32 v21, v21
	global_store_dword v[10:11], v20, off
	global_store_dword v[8:9], v14, off
	v_add_co_u32_e32 v8, vcc, 4, v8
	v_exp_f32_e32 v18, v18
	v_addc_co_u32_e32 v9, vcc, 0, v9, vcc
	v_add_co_u32_e32 v10, vcc, 4, v10
	v_addc_co_u32_e32 v11, vcc, 0, v11, vcc
	v_ldexp_f32 v18, v18, v21
	v_cmp_ngt_f32_e32 vcc, s18, v17
	v_cndmask_b32_e32 v18, 0, v18, vcc
	v_cmp_nlt_f32_e32 vcc, s19, v17
	v_cndmask_b32_e32 v17, v15, v18, vcc
	s_add_i32 s4, s4, -1
	global_store_dword v[12:13], v17, off
	v_add_co_u32_e32 v12, vcc, 4, v12
	v_cndmask_b32_e64 v0, v5, v0, s[2:3]
	v_add_u32_e32 v14, s20, v14
	s_cmp_eq_u32 s4, 0
	v_add_f32_e32 v16, v16, v17
	v_addc_co_u32_e32 v13, vcc, 0, v13, vcc
	s_cbranch_scc0 .LBB26_7
.LBB26_8:
	v_pk_add_f32 v[0:1], v[0:1], v[6:7] op_sel_hi:[1,0] neg_lo:[0,1] neg_hi:[0,1]
	s_mov_b32 s0, 0x3fb8aa3b
	v_mul_f32_e32 v5, 0x3fb8aa3b, v1
	v_fma_f32 v8, v1, s0, -v5
	v_rndne_f32_e32 v9, v5
	v_fmac_f32_e32 v8, 0x32a5705f, v1
	v_sub_f32_e32 v5, v5, v9
	v_add_f32_e32 v5, v5, v8
	v_exp_f32_e32 v5, v5
	v_cvt_i32_f32_e32 v8, v9
	s_mov_b32 s1, 0xc2ce8ed0
	v_cmp_ngt_f32_e32 vcc, s1, v1
	s_mov_b32 s2, 0x42b17218
	v_ldexp_f32 v5, v5, v8
	v_mul_f32_e32 v8, 0x3fb8aa3b, v0
	v_fma_f32 v9, v0, s0, -v8
	v_rndne_f32_e32 v10, v8
	v_fmac_f32_e32 v9, 0x32a5705f, v0
	v_sub_f32_e32 v8, v8, v10
	v_add_f32_e32 v8, v8, v9
	v_exp_f32_e32 v8, v8
	v_cvt_i32_f32_e32 v9, v10
	v_cndmask_b32_e32 v5, 0, v5, vcc
	v_cmp_nlt_f32_e32 vcc, s2, v1
	v_sub_f32_e32 v2, v2, v6
	v_cndmask_b32_e32 v1, v7, v5, vcc
	v_ldexp_f32 v5, v8, v9
	v_mul_f32_e32 v8, 0x3fb8aa3b, v2
	v_fma_f32 v9, v2, s0, -v8
	v_rndne_f32_e32 v10, v8
	v_fmac_f32_e32 v9, 0x32a5705f, v2
	v_sub_f32_e32 v8, v8, v10
	v_add_f32_e32 v8, v8, v9
	v_exp_f32_e32 v8, v8
	v_cvt_i32_f32_e32 v9, v10
	v_cmp_ngt_f32_e32 vcc, s1, v0
	v_cndmask_b32_e32 v5, 0, v5, vcc
	v_cmp_nlt_f32_e32 vcc, s2, v0
	v_sub_f32_e32 v3, v3, v6
	v_cndmask_b32_e32 v0, v7, v5, vcc
	v_mul_f32_e32 v5, 0x3fb8aa3b, v3
	v_add_f32_e32 v0, v0, v1
	v_ldexp_f32 v1, v8, v9
	v_fma_f32 v6, v3, s0, -v5
	v_rndne_f32_e32 v8, v5
	v_fmac_f32_e32 v6, 0x32a5705f, v3
	v_sub_f32_e32 v5, v5, v8
	v_add_f32_e32 v5, v5, v6
	v_exp_f32_e32 v5, v5
	v_cvt_i32_f32_e32 v6, v8
	v_cmp_ngt_f32_e32 vcc, s1, v2
	v_cndmask_b32_e32 v1, 0, v1, vcc
	v_cmp_nlt_f32_e32 vcc, s2, v2
	v_cndmask_b32_e32 v1, v7, v1, vcc
	v_add_f32_e32 v0, v0, v1
	v_ldexp_f32 v1, v5, v6
	v_cmp_ngt_f32_e32 vcc, s1, v3
	v_cndmask_b32_e32 v1, 0, v1, vcc
	v_cmp_nlt_f32_e32 vcc, s2, v3
	v_cndmask_b32_e32 v1, v7, v1, vcc
	v_add_f32_e32 v0, v0, v1
	v_add_f32_e32 v0, v16, v0
	v_cmp_neq_f32_e32 vcc, 0, v0
	s_and_b64 exec, exec, vcc
	s_cbranch_execz .LBB26_19
; %bb.9:
	s_andn2_b64 vcc, exec, s[16:17]
	s_cbranch_vccnz .LBB26_19
; %bb.10:
	v_div_scale_f32 v1, s[0:1], v0, v0, 1.0
	v_rcp_f32_e32 v2, v1
	v_div_scale_f32 v3, vcc, 1.0, v0, 1.0
	s_cmp_gt_u32 s8, 3
	v_fma_f32 v5, -v1, v2, 1.0
	v_fmac_f32_e32 v2, v5, v2
	v_mul_f32_e32 v5, v3, v2
	v_fma_f32 v6, -v1, v5, v3
	v_fmac_f32_e32 v5, v6, v2
	v_fma_f32 v1, -v1, v5, v3
	v_div_fmas_f32 v1, v1, v2, v5
	v_div_fixup_f32 v0, v1, v0, 1.0
	v_ashrrev_i32_e32 v5, 31, v4
	s_cbranch_scc0 .LBB26_14
; %bb.11:
	v_lshlrev_b64 v[2:3], 2, v[4:5]
	v_mov_b32_e32 v6, s13
	v_add_co_u32_e32 v2, vcc, s12, v2
	v_addc_co_u32_e32 v3, vcc, v3, v6, vcc
	s_and_b32 s4, s8, 0x7ffffffc
	v_add_co_u32_e32 v2, vcc, 8, v2
	v_mov_b32_e32 v1, v0
	v_addc_co_u32_e32 v3, vcc, 0, v3, vcc
	s_mov_b32 s0, s4
.LBB26_12:                              ; =>This Inner Loop Header: Depth=1
	global_load_dwordx4 v[6:9], v[2:3], off offset:-8
	s_add_i32 s0, s0, -4
	s_cmp_lg_u32 s0, 0
	s_waitcnt vmcnt(0)
	v_pk_mul_f32 v[6:7], v[0:1], v[6:7]
	v_pk_mul_f32 v[8:9], v[0:1], v[8:9]
	global_store_dwordx4 v[2:3], v[6:9], off offset:-8
	v_add_co_u32_e32 v2, vcc, 16, v2
	v_addc_co_u32_e32 v3, vcc, 0, v3, vcc
	s_cbranch_scc1 .LBB26_12
; %bb.13:
	s_cmp_lg_u32 s4, s8
	s_cselect_b64 s[0:1], -1, 0
	s_branch .LBB26_16
.LBB26_14:
	s_mov_b64 s[0:1], 0
                                        ; implicit-def: $sgpr4
	s_cbranch_execz .LBB26_16
; %bb.15:
	s_mov_b64 s[0:1], -1
	s_mov_b32 s4, 0
.LBB26_16:
	s_andn2_b64 vcc, exec, s[0:1]
	s_cbranch_vccnz .LBB26_19
; %bb.17:
	v_add_co_u32_e32 v2, vcc, s4, v4
	v_addc_co_u32_e32 v3, vcc, 0, v5, vcc
	v_lshlrev_b64 v[2:3], 2, v[2:3]
	v_mov_b32_e32 v1, s13
	v_add_co_u32_e32 v2, vcc, s12, v2
	s_sub_i32 s0, s8, s4
	v_addc_co_u32_e32 v3, vcc, v1, v3, vcc
.LBB26_18:                              ; =>This Inner Loop Header: Depth=1
	global_load_dword v1, v[2:3], off
	s_add_i32 s0, s0, -1
	s_cmp_lg_u32 s0, 0
	s_waitcnt vmcnt(0)
	v_mul_f32_e32 v1, v0, v1
	global_store_dword v[2:3], v1, off
	v_add_co_u32_e32 v2, vcc, 4, v2
	v_addc_co_u32_e32 v3, vcc, 0, v3, vcc
	s_cbranch_scc1 .LBB26_18
.LBB26_19:
	s_endpgm
	.section	.rodata,"a",@progbits
	.p2align	6, 0x0
	.amdhsa_kernel _ZN4vllm3moe17topkGatingSoftmaxIfLi4ELi4ELi8ELi16ELb0ELi2ELNS0_23SharedExpertScoringFuncE1EEEvPKT_PKbPfiPiS9_iiiiii
		.amdhsa_group_segment_fixed_size 0
		.amdhsa_private_segment_fixed_size 0
		.amdhsa_kernarg_size 72
		.amdhsa_user_sgpr_count 6
		.amdhsa_user_sgpr_private_segment_buffer 1
		.amdhsa_user_sgpr_dispatch_ptr 0
		.amdhsa_user_sgpr_queue_ptr 0
		.amdhsa_user_sgpr_kernarg_segment_ptr 1
		.amdhsa_user_sgpr_dispatch_id 0
		.amdhsa_user_sgpr_flat_scratch_init 0
		.amdhsa_user_sgpr_kernarg_preload_length 0
		.amdhsa_user_sgpr_kernarg_preload_offset 0
		.amdhsa_user_sgpr_private_segment_size 0
		.amdhsa_uses_dynamic_stack 0
		.amdhsa_system_sgpr_private_segment_wavefront_offset 0
		.amdhsa_system_sgpr_workgroup_id_x 1
		.amdhsa_system_sgpr_workgroup_id_y 0
		.amdhsa_system_sgpr_workgroup_id_z 0
		.amdhsa_system_sgpr_workgroup_info 0
		.amdhsa_system_vgpr_workitem_id 1
		.amdhsa_next_free_vgpr 23
		.amdhsa_next_free_sgpr 22
		.amdhsa_accum_offset 24
		.amdhsa_reserve_vcc 1
		.amdhsa_reserve_flat_scratch 0
		.amdhsa_float_round_mode_32 0
		.amdhsa_float_round_mode_16_64 0
		.amdhsa_float_denorm_mode_32 3
		.amdhsa_float_denorm_mode_16_64 3
		.amdhsa_dx10_clamp 1
		.amdhsa_ieee_mode 1
		.amdhsa_fp16_overflow 0
		.amdhsa_tg_split 0
		.amdhsa_exception_fp_ieee_invalid_op 0
		.amdhsa_exception_fp_denorm_src 0
		.amdhsa_exception_fp_ieee_div_zero 0
		.amdhsa_exception_fp_ieee_overflow 0
		.amdhsa_exception_fp_ieee_underflow 0
		.amdhsa_exception_fp_ieee_inexact 0
		.amdhsa_exception_int_div_zero 0
	.end_amdhsa_kernel
	.section	.text._ZN4vllm3moe17topkGatingSoftmaxIfLi4ELi4ELi8ELi16ELb0ELi2ELNS0_23SharedExpertScoringFuncE1EEEvPKT_PKbPfiPiS9_iiiiii,"axG",@progbits,_ZN4vllm3moe17topkGatingSoftmaxIfLi4ELi4ELi8ELi16ELb0ELi2ELNS0_23SharedExpertScoringFuncE1EEEvPKT_PKbPfiPiS9_iiiiii,comdat
.Lfunc_end26:
	.size	_ZN4vllm3moe17topkGatingSoftmaxIfLi4ELi4ELi8ELi16ELb0ELi2ELNS0_23SharedExpertScoringFuncE1EEEvPKT_PKbPfiPiS9_iiiiii, .Lfunc_end26-_ZN4vllm3moe17topkGatingSoftmaxIfLi4ELi4ELi8ELi16ELb0ELi2ELNS0_23SharedExpertScoringFuncE1EEEvPKT_PKbPfiPiS9_iiiiii
                                        ; -- End function
	.section	.AMDGPU.csdata,"",@progbits
; Kernel info:
; codeLenInByte = 2080
; NumSgprs: 26
; NumVgprs: 23
; NumAgprs: 0
; TotalNumVgprs: 23
; ScratchSize: 0
; MemoryBound: 0
; FloatMode: 240
; IeeeMode: 1
; LDSByteSize: 0 bytes/workgroup (compile time only)
; SGPRBlocks: 3
; VGPRBlocks: 2
; NumSGPRsForWavesPerEU: 26
; NumVGPRsForWavesPerEU: 23
; AccumOffset: 24
; Occupancy: 8
; WaveLimiterHint : 0
; COMPUTE_PGM_RSRC2:SCRATCH_EN: 0
; COMPUTE_PGM_RSRC2:USER_SGPR: 6
; COMPUTE_PGM_RSRC2:TRAP_HANDLER: 0
; COMPUTE_PGM_RSRC2:TGID_X_EN: 1
; COMPUTE_PGM_RSRC2:TGID_Y_EN: 0
; COMPUTE_PGM_RSRC2:TGID_Z_EN: 0
; COMPUTE_PGM_RSRC2:TIDIG_COMP_CNT: 1
; COMPUTE_PGM_RSRC3_GFX90A:ACCUM_OFFSET: 5
; COMPUTE_PGM_RSRC3_GFX90A:TG_SPLIT: 0
	.section	.text._ZN4vllm3moe17topkGatingSoftmaxIfLi4ELi4ELi8ELi16ELb1ELi4ELNS0_23SharedExpertScoringFuncE1EEEvPKT_PKbPfiPiS9_iiiiii,"axG",@progbits,_ZN4vllm3moe17topkGatingSoftmaxIfLi4ELi4ELi8ELi16ELb1ELi4ELNS0_23SharedExpertScoringFuncE1EEEvPKT_PKbPfiPiS9_iiiiii,comdat
	.protected	_ZN4vllm3moe17topkGatingSoftmaxIfLi4ELi4ELi8ELi16ELb1ELi4ELNS0_23SharedExpertScoringFuncE1EEEvPKT_PKbPfiPiS9_iiiiii ; -- Begin function _ZN4vllm3moe17topkGatingSoftmaxIfLi4ELi4ELi8ELi16ELb1ELi4ELNS0_23SharedExpertScoringFuncE1EEEvPKT_PKbPfiPiS9_iiiiii
	.globl	_ZN4vllm3moe17topkGatingSoftmaxIfLi4ELi4ELi8ELi16ELb1ELi4ELNS0_23SharedExpertScoringFuncE1EEEvPKT_PKbPfiPiS9_iiiiii
	.p2align	8
	.type	_ZN4vllm3moe17topkGatingSoftmaxIfLi4ELi4ELi8ELi16ELb1ELi4ELNS0_23SharedExpertScoringFuncE1EEEvPKT_PKbPfiPiS9_iiiiii,@function
_ZN4vllm3moe17topkGatingSoftmaxIfLi4ELi4ELi8ELi16ELb1ELi4ELNS0_23SharedExpertScoringFuncE1EEEvPKT_PKbPfiPiS9_iiiiii: ; @_ZN4vllm3moe17topkGatingSoftmaxIfLi4ELi4ELi8ELi16ELb1ELi4ELNS0_23SharedExpertScoringFuncE1EEEvPKT_PKbPfiPiS9_iiiiii
; %bb.0:
	s_load_dword s18, s[4:5], 0x18
	v_bfe_u32 v1, v0, 10, 10
	s_lshl_b32 s19, s6, 9
	v_lshlrev_b32_e32 v14, 6, v1
	v_and_b32_e32 v15, 0x3ff, v0
	v_add3_u32 v16, v14, v15, s19
	s_waitcnt lgkmcnt(0)
	v_cmp_gt_i32_e32 vcc, s18, v16
	s_and_saveexec_b64 s[0:1], vcc
	s_cbranch_execz .LBB27_19
; %bb.1:
	s_load_dwordx4 s[0:3], s[4:5], 0x0
	s_load_dwordx2 s[12:13], s[4:5], 0x10
	s_waitcnt lgkmcnt(0)
	s_cmp_eq_u64 s[2:3], 0
	s_cbranch_scc1 .LBB27_3
; %bb.2:
	v_ashrrev_i32_e32 v1, 31, v16
	v_mov_b32_e32 v2, s3
	v_add_co_u32_e32 v0, vcc, s2, v16
	v_addc_co_u32_e32 v1, vcc, v2, v1, vcc
	global_load_ubyte v0, v[0:1], off
	s_waitcnt vmcnt(0)
	v_and_b32_e32 v0, 1, v0
	v_cmp_eq_u32_e32 vcc, 1, v0
	s_xor_b64 s[2:3], vcc, -1
	s_orn2_b64 s[14:15], s[2:3], exec
	s_branch .LBB27_4
.LBB27_3:
	s_mov_b64 s[14:15], -1
.LBB27_4:
	s_load_dwordx2 s[2:3], s[4:5], 0x40
	s_load_dwordx4 s[8:11], s[4:5], 0x30
	v_mov_b32_e32 v2, s1
	s_mov_b32 s6, 0x42ce8ed0
	s_mov_b32 s7, 0xc2b17218
	s_waitcnt lgkmcnt(0)
	v_mul_lo_u32 v0, v16, s3
	v_ashrrev_i32_e32 v1, 31, v0
	v_lshlrev_b64 v[0:1], 2, v[0:1]
	v_add_co_u32_e32 v6, vcc, s0, v0
	v_addc_co_u32_e32 v7, vcc, v2, v1, vcc
	global_load_dword v10, v[6:7], off offset:16
	global_load_dwordx4 v[0:3], v[6:7], off
	s_mov_b32 s3, 0xbfb8aa3b
	v_mov_b32_e32 v5, 0x7f800000
	v_mul_lo_u32 v4, v16, s11
	v_mov_b32_e32 v11, s13
	s_cmp_gt_i32 s8, 0
	s_cselect_b64 s[16:17], -1, 0
	s_cmp_lt_i32 s8, 1
	s_waitcnt vmcnt(1)
	v_mul_f32_e32 v8, 0xbfb8aa3b, v10
	v_fma_f32 v9, v10, s3, -v8
	v_rndne_f32_e32 v12, v8
	v_fmac_f32_e32 v9, 0xb2a5705f, v10
	v_sub_f32_e32 v8, v8, v12
	v_add_f32_e32 v8, v8, v9
	v_cvt_i32_f32_e32 v12, v12
	v_exp_f32_e32 v13, v8
	v_cmp_nlt_f32_e32 vcc, s6, v10
	v_add_u32_e32 v8, s8, v4
	v_ashrrev_i32_e32 v9, 31, v8
	v_ldexp_f32 v12, v13, v12
	v_cndmask_b32_e32 v12, 0, v12, vcc
	v_cmp_ngt_f32_e32 vcc, s7, v10
	v_cndmask_b32_e32 v10, v5, v12, vcc
	v_add_f32_e32 v10, 1.0, v10
	v_div_scale_f32 v12, s[0:1], v10, v10, 1.0
	v_rcp_f32_e32 v13, v12
	v_lshlrev_b64 v[8:9], 2, v[8:9]
	v_add_co_u32_e32 v8, vcc, s12, v8
	v_addc_co_u32_e32 v9, vcc, v11, v9, vcc
	v_fma_f32 v17, -v12, v13, 1.0
	v_div_scale_f32 v11, vcc, 1.0, v10, 1.0
	v_fmac_f32_e32 v13, v17, v13
	v_mul_f32_e32 v17, v11, v13
	v_fma_f32 v18, -v12, v17, v11
	v_fmac_f32_e32 v17, v18, v13
	v_fma_f32 v11, -v12, v17, v11
	v_div_fmas_f32 v11, v11, v13, v17
	v_div_fixup_f32 v10, v11, v10, 1.0
	global_store_dword v[8:9], v10, off
	global_load_dword v10, v[6:7], off offset:20
	s_waitcnt vmcnt(0)
	v_mul_f32_e32 v11, 0xbfb8aa3b, v10
	v_fma_f32 v12, v10, s3, -v11
	v_rndne_f32_e32 v13, v11
	v_fmac_f32_e32 v12, 0xb2a5705f, v10
	v_sub_f32_e32 v11, v11, v13
	v_add_f32_e32 v11, v11, v12
	v_cvt_i32_f32_e32 v13, v13
	v_exp_f32_e32 v11, v11
	v_cmp_nlt_f32_e32 vcc, s6, v10
	v_ldexp_f32 v11, v11, v13
	v_cndmask_b32_e32 v11, 0, v11, vcc
	v_cmp_ngt_f32_e32 vcc, s7, v10
	v_cndmask_b32_e32 v10, v5, v11, vcc
	v_add_f32_e32 v10, 1.0, v10
	v_div_scale_f32 v11, s[0:1], v10, v10, 1.0
	v_rcp_f32_e32 v12, v11
	v_div_scale_f32 v13, vcc, 1.0, v10, 1.0
	v_fma_f32 v17, -v11, v12, 1.0
	v_fmac_f32_e32 v12, v17, v12
	v_mul_f32_e32 v17, v13, v12
	v_fma_f32 v18, -v11, v17, v13
	v_fmac_f32_e32 v17, v18, v12
	v_fma_f32 v11, -v11, v17, v13
	v_div_fmas_f32 v11, v11, v12, v17
	v_div_fixup_f32 v10, v11, v10, 1.0
	global_store_dword v[8:9], v10, off offset:4
	global_load_dword v10, v[6:7], off offset:24
	s_waitcnt vmcnt(0)
	v_mul_f32_e32 v11, 0xbfb8aa3b, v10
	v_fma_f32 v12, v10, s3, -v11
	v_rndne_f32_e32 v13, v11
	v_fmac_f32_e32 v12, 0xb2a5705f, v10
	v_sub_f32_e32 v11, v11, v13
	v_add_f32_e32 v11, v11, v12
	v_cvt_i32_f32_e32 v13, v13
	v_exp_f32_e32 v11, v11
	v_cmp_nlt_f32_e32 vcc, s6, v10
	v_ldexp_f32 v11, v11, v13
	v_cndmask_b32_e32 v11, 0, v11, vcc
	v_cmp_ngt_f32_e32 vcc, s7, v10
	v_cndmask_b32_e32 v10, v5, v11, vcc
	v_add_f32_e32 v10, 1.0, v10
	v_div_scale_f32 v11, s[0:1], v10, v10, 1.0
	v_rcp_f32_e32 v12, v11
	v_div_scale_f32 v13, vcc, 1.0, v10, 1.0
	v_fma_f32 v17, -v11, v12, 1.0
	v_fmac_f32_e32 v12, v17, v12
	v_mul_f32_e32 v17, v13, v12
	v_fma_f32 v18, -v11, v17, v13
	v_fmac_f32_e32 v17, v18, v12
	v_fma_f32 v11, -v11, v17, v13
	v_div_fmas_f32 v11, v11, v12, v17
	v_div_fixup_f32 v10, v11, v10, 1.0
	global_store_dword v[8:9], v10, off offset:8
	global_load_dword v6, v[6:7], off offset:28
	v_mov_b32_e32 v17, 0
	s_waitcnt vmcnt(0)
	v_mul_f32_e32 v7, 0xbfb8aa3b, v6
	v_fma_f32 v10, v6, s3, -v7
	v_rndne_f32_e32 v11, v7
	v_fmac_f32_e32 v10, 0xb2a5705f, v6
	v_sub_f32_e32 v7, v7, v11
	v_add_f32_e32 v7, v7, v10
	v_cvt_i32_f32_e32 v11, v11
	v_exp_f32_e32 v7, v7
	v_cmp_nlt_f32_e32 vcc, s6, v6
	v_ldexp_f32 v7, v7, v11
	v_cndmask_b32_e32 v7, 0, v7, vcc
	v_cmp_ngt_f32_e32 vcc, s7, v6
	v_cndmask_b32_e32 v6, v5, v7, vcc
	v_add_f32_e32 v6, 1.0, v6
	v_div_scale_f32 v7, s[0:1], v6, v6, 1.0
	v_rcp_f32_e32 v10, v7
	v_div_scale_f32 v11, vcc, 1.0, v6, 1.0
	v_fma_f32 v12, -v7, v10, 1.0
	v_fmac_f32_e32 v10, v12, v10
	v_mul_f32_e32 v12, v11, v10
	v_fma_f32 v13, -v7, v12, v11
	v_fmac_f32_e32 v12, v13, v10
	v_fma_f32 v7, -v7, v12, v11
	v_div_fmas_f32 v7, v7, v10, v12
	v_div_fixup_f32 v6, v7, v6, 1.0
	global_store_dword v[8:9], v6, off offset:12
	s_cbranch_scc1 .LBB27_8
; %bb.5:
	v_cmp_lt_f32_e32 vcc, v0, v1
	v_cndmask_b32_e32 v7, v0, v1, vcc
	v_cndmask_b32_e64 v6, 0, 1, vcc
	v_cmp_lt_f32_e32 vcc, v7, v2
	v_cndmask_b32_e32 v7, v7, v2, vcc
	v_cndmask_b32_e64 v6, v6, 2, vcc
	v_cmp_lt_f32_e32 vcc, v7, v3
	v_cndmask_b32_e32 v18, v7, v3, vcc
	v_sub_f32_e32 v7, v18, v18
	s_mov_b32 s11, 0x3fb8aa3b
	v_mul_f32_e32 v8, 0x3fb8aa3b, v7
	v_fma_f32 v9, v7, s11, -v8
	v_rndne_f32_e32 v10, v8
	v_fmac_f32_e32 v9, 0x32a5705f, v7
	v_sub_f32_e32 v8, v8, v10
	v_add_f32_e32 v8, v8, v9
	v_exp_f32_e32 v8, v8
	v_cvt_i32_f32_e32 v9, v10
	v_cndmask_b32_e64 v19, v6, 3, vcc
	v_cmp_le_i32_e32 vcc, s9, v19
	v_cmp_gt_i32_e64 s[0:1], s10, v19
	s_mov_b32 s20, 0xc2ce8ed0
	v_mul_lo_u32 v6, v16, s2
	s_and_b64 s[2:3], vcc, s[0:1]
	v_ldexp_f32 v8, v8, v9
	v_cmp_ngt_f32_e32 vcc, s20, v7
	s_mov_b32 s21, 0x42b17218
	v_cndmask_b32_e32 v8, 0, v8, vcc
	v_cmp_nlt_f32_e32 vcc, s21, v7
	s_load_dwordx4 s[4:7], s[4:5], 0x20
	v_cndmask_b32_e32 v17, v5, v8, vcc
	v_ashrrev_i32_e32 v5, 31, v4
	v_lshlrev_b64 v[10:11], 2, v[4:5]
	v_mov_b32_e32 v5, s13
	v_add_co_u32_e32 v12, vcc, s12, v10
	v_addc_co_u32_e64 v13, s[0:1], v5, v11, vcc
	v_ashrrev_i32_e32 v7, 31, v6
	v_subrev_u32_e32 v5, s9, v19
	s_and_b64 s[0:1], s[14:15], s[2:3]
	v_lshlrev_b64 v[8:9], 2, v[6:7]
	v_mul_lo_u32 v20, v16, s8
	v_cndmask_b32_e64 v5, 4, v5, s[0:1]
	s_waitcnt lgkmcnt(0)
	v_mov_b32_e32 v7, s5
	v_add_co_u32_e64 v6, s[0:1], s4, v8
	v_addc_co_u32_e64 v7, s[0:1], v7, v9, s[0:1]
	v_ashrrev_i32_e32 v21, 31, v20
	global_store_dword v[6:7], v5, off
	v_lshlrev_b64 v[6:7], 2, v[20:21]
	v_mov_b32_e32 v5, s7
	v_add_co_u32_e64 v20, s[0:1], s6, v6
	v_addc_co_u32_e64 v21, s[0:1], v5, v7, s[0:1]
	s_cmp_eq_u32 s8, 1
	global_store_dword v[12:13], v17, off
	global_store_dword v[20:21], v16, off
	s_cbranch_scc1 .LBB27_8
; %bb.6:
	v_mov_b32_e32 v5, 0xff800000
	v_cmp_ne_u32_e64 s[0:1], 3, v19
	v_cndmask_b32_e64 v3, v5, v3, s[0:1]
	v_cmp_ne_u32_e64 s[0:1], 2, v19
	v_cndmask_b32_e64 v2, v5, v2, s[0:1]
	;; [unrolled: 2-line block ×4, first 2 shown]
	v_mov_b32_e32 v10, s7
	v_add_co_u32_e64 v6, s[0:1], s6, v6
	v_addc_co_u32_e64 v7, s[0:1], v7, v10, s[0:1]
	v_add_co_u32_e64 v6, s[0:1], 4, v6
	v_addc_co_u32_e64 v7, s[0:1], 0, v7, s[0:1]
	v_mov_b32_e32 v10, s5
	v_add_co_u32_e64 v8, s[0:1], s4, v8
	v_addc_co_u32_e64 v9, s[0:1], v9, v10, s[0:1]
	v_mov_b32_e32 v10, s13
	v_addc_co_u32_e32 v11, vcc, v11, v10, vcc
	v_add_co_u32_e64 v8, s[0:1], 4, v8
	v_add_co_u32_e32 v10, vcc, 4, v12
	s_add_i32 s19, s19, s18
	v_addc_co_u32_e64 v9, s[0:1], 0, v9, s[0:1]
	v_addc_co_u32_e32 v11, vcc, 0, v11, vcc
	s_add_i32 s4, s8, -1
	v_add3_u32 v12, s19, v15, v14
	v_mov_b32_e32 v13, 0x7f800000
.LBB27_7:                               ; =>This Inner Loop Header: Depth=1
	v_cmp_gt_f32_e32 vcc, v1, v0
	v_cndmask_b32_e32 v14, v0, v1, vcc
	v_cmp_gt_f32_e64 s[0:1], v2, v14
	v_cndmask_b32_e64 v14, v14, v2, s[0:1]
	v_cndmask_b32_e64 v15, 0, 1, vcc
	v_cmp_gt_f32_e32 vcc, v3, v14
	v_cndmask_b32_e64 v15, v15, 2, s[0:1]
	v_cndmask_b32_e64 v15, v15, 3, vcc
	v_cndmask_b32_e32 v14, v14, v3, vcc
	v_cmp_ne_u32_e64 s[2:3], 3, v15
	v_sub_f32_e32 v14, v14, v18
	v_cndmask_b32_e64 v3, v5, v3, s[2:3]
	v_cmp_ne_u32_e64 s[2:3], 2, v15
	v_cmp_le_i32_e32 vcc, s9, v15
	v_cmp_gt_i32_e64 s[0:1], s10, v15
	v_mul_f32_e32 v16, 0x3fb8aa3b, v14
	v_cndmask_b32_e64 v2, v5, v2, s[2:3]
	v_cmp_ne_u32_e64 s[2:3], 1, v15
	v_subrev_u32_e32 v19, s9, v15
	v_cndmask_b32_e64 v1, v5, v1, s[2:3]
	v_cmp_ne_u32_e64 s[2:3], 0, v15
	s_and_b64 s[0:1], vcc, s[0:1]
	v_fma_f32 v15, v14, s11, -v16
	v_rndne_f32_e32 v20, v16
	v_fmac_f32_e32 v15, 0x32a5705f, v14
	v_sub_f32_e32 v16, v16, v20
	s_and_b64 vcc, s[14:15], s[0:1]
	v_cndmask_b32_e32 v19, 4, v19, vcc
	v_add_f32_e32 v15, v16, v15
	v_cvt_i32_f32_e32 v20, v20
	global_store_dword v[8:9], v19, off
	global_store_dword v[6:7], v12, off
	v_add_co_u32_e32 v6, vcc, 4, v6
	v_exp_f32_e32 v15, v15
	v_addc_co_u32_e32 v7, vcc, 0, v7, vcc
	v_add_co_u32_e32 v8, vcc, 4, v8
	v_addc_co_u32_e32 v9, vcc, 0, v9, vcc
	v_ldexp_f32 v15, v15, v20
	v_cmp_ngt_f32_e32 vcc, s20, v14
	v_cndmask_b32_e32 v15, 0, v15, vcc
	v_cmp_nlt_f32_e32 vcc, s21, v14
	v_cndmask_b32_e32 v14, v13, v15, vcc
	s_add_i32 s4, s4, -1
	global_store_dword v[10:11], v14, off
	v_add_co_u32_e32 v10, vcc, 4, v10
	v_cndmask_b32_e64 v0, v5, v0, s[2:3]
	v_add_u32_e32 v12, s18, v12
	s_cmp_eq_u32 s4, 0
	v_add_f32_e32 v17, v17, v14
	v_addc_co_u32_e32 v11, vcc, 0, v11, vcc
	s_cbranch_scc0 .LBB27_7
.LBB27_8:
	v_cmp_neq_f32_e32 vcc, 0, v17
	s_and_b64 exec, exec, vcc
	s_cbranch_execz .LBB27_19
; %bb.9:
	s_andn2_b64 vcc, exec, s[16:17]
	s_cbranch_vccnz .LBB27_19
; %bb.10:
	v_div_scale_f32 v0, s[0:1], v17, v17, 1.0
	v_rcp_f32_e32 v1, v0
	v_div_scale_f32 v2, vcc, 1.0, v17, 1.0
	s_cmp_gt_u32 s8, 3
	v_fma_f32 v3, -v0, v1, 1.0
	v_fmac_f32_e32 v1, v3, v1
	v_mul_f32_e32 v3, v2, v1
	v_fma_f32 v5, -v0, v3, v2
	v_fmac_f32_e32 v3, v5, v1
	v_fma_f32 v0, -v0, v3, v2
	v_div_fmas_f32 v0, v0, v1, v3
	v_div_fixup_f32 v0, v0, v17, 1.0
	v_ashrrev_i32_e32 v5, 31, v4
	s_cbranch_scc0 .LBB27_14
; %bb.11:
	v_lshlrev_b64 v[2:3], 2, v[4:5]
	v_mov_b32_e32 v6, s13
	v_add_co_u32_e32 v2, vcc, s12, v2
	v_addc_co_u32_e32 v3, vcc, v3, v6, vcc
	s_and_b32 s4, s8, 0x7ffffffc
	v_add_co_u32_e32 v2, vcc, 8, v2
	v_mov_b32_e32 v1, v0
	v_addc_co_u32_e32 v3, vcc, 0, v3, vcc
	s_mov_b32 s0, s4
.LBB27_12:                              ; =>This Inner Loop Header: Depth=1
	global_load_dwordx4 v[6:9], v[2:3], off offset:-8
	s_add_i32 s0, s0, -4
	s_cmp_lg_u32 s0, 0
	s_waitcnt vmcnt(0)
	v_pk_mul_f32 v[6:7], v[0:1], v[6:7]
	v_pk_mul_f32 v[8:9], v[0:1], v[8:9]
	global_store_dwordx4 v[2:3], v[6:9], off offset:-8
	v_add_co_u32_e32 v2, vcc, 16, v2
	v_addc_co_u32_e32 v3, vcc, 0, v3, vcc
	s_cbranch_scc1 .LBB27_12
; %bb.13:
	s_cmp_lg_u32 s4, s8
	s_cselect_b64 s[0:1], -1, 0
	s_branch .LBB27_16
.LBB27_14:
	s_mov_b64 s[0:1], 0
                                        ; implicit-def: $sgpr4
	s_cbranch_execz .LBB27_16
; %bb.15:
	s_mov_b64 s[0:1], -1
	s_mov_b32 s4, 0
.LBB27_16:
	s_andn2_b64 vcc, exec, s[0:1]
	s_cbranch_vccnz .LBB27_19
; %bb.17:
	v_add_co_u32_e32 v2, vcc, s4, v4
	v_addc_co_u32_e32 v3, vcc, 0, v5, vcc
	v_lshlrev_b64 v[2:3], 2, v[2:3]
	v_mov_b32_e32 v1, s13
	v_add_co_u32_e32 v2, vcc, s12, v2
	s_sub_i32 s0, s8, s4
	v_addc_co_u32_e32 v3, vcc, v1, v3, vcc
.LBB27_18:                              ; =>This Inner Loop Header: Depth=1
	global_load_dword v1, v[2:3], off
	s_add_i32 s0, s0, -1
	s_cmp_lg_u32 s0, 0
	s_waitcnt vmcnt(0)
	v_mul_f32_e32 v1, v0, v1
	global_store_dword v[2:3], v1, off
	v_add_co_u32_e32 v2, vcc, 4, v2
	v_addc_co_u32_e32 v3, vcc, 0, v3, vcc
	s_cbranch_scc1 .LBB27_18
.LBB27_19:
	s_endpgm
	.section	.rodata,"a",@progbits
	.p2align	6, 0x0
	.amdhsa_kernel _ZN4vllm3moe17topkGatingSoftmaxIfLi4ELi4ELi8ELi16ELb1ELi4ELNS0_23SharedExpertScoringFuncE1EEEvPKT_PKbPfiPiS9_iiiiii
		.amdhsa_group_segment_fixed_size 0
		.amdhsa_private_segment_fixed_size 0
		.amdhsa_kernarg_size 72
		.amdhsa_user_sgpr_count 6
		.amdhsa_user_sgpr_private_segment_buffer 1
		.amdhsa_user_sgpr_dispatch_ptr 0
		.amdhsa_user_sgpr_queue_ptr 0
		.amdhsa_user_sgpr_kernarg_segment_ptr 1
		.amdhsa_user_sgpr_dispatch_id 0
		.amdhsa_user_sgpr_flat_scratch_init 0
		.amdhsa_user_sgpr_kernarg_preload_length 0
		.amdhsa_user_sgpr_kernarg_preload_offset 0
		.amdhsa_user_sgpr_private_segment_size 0
		.amdhsa_uses_dynamic_stack 0
		.amdhsa_system_sgpr_private_segment_wavefront_offset 0
		.amdhsa_system_sgpr_workgroup_id_x 1
		.amdhsa_system_sgpr_workgroup_id_y 0
		.amdhsa_system_sgpr_workgroup_id_z 0
		.amdhsa_system_sgpr_workgroup_info 0
		.amdhsa_system_vgpr_workitem_id 1
		.amdhsa_next_free_vgpr 22
		.amdhsa_next_free_sgpr 22
		.amdhsa_accum_offset 24
		.amdhsa_reserve_vcc 1
		.amdhsa_reserve_flat_scratch 0
		.amdhsa_float_round_mode_32 0
		.amdhsa_float_round_mode_16_64 0
		.amdhsa_float_denorm_mode_32 3
		.amdhsa_float_denorm_mode_16_64 3
		.amdhsa_dx10_clamp 1
		.amdhsa_ieee_mode 1
		.amdhsa_fp16_overflow 0
		.amdhsa_tg_split 0
		.amdhsa_exception_fp_ieee_invalid_op 0
		.amdhsa_exception_fp_denorm_src 0
		.amdhsa_exception_fp_ieee_div_zero 0
		.amdhsa_exception_fp_ieee_overflow 0
		.amdhsa_exception_fp_ieee_underflow 0
		.amdhsa_exception_fp_ieee_inexact 0
		.amdhsa_exception_int_div_zero 0
	.end_amdhsa_kernel
	.section	.text._ZN4vllm3moe17topkGatingSoftmaxIfLi4ELi4ELi8ELi16ELb1ELi4ELNS0_23SharedExpertScoringFuncE1EEEvPKT_PKbPfiPiS9_iiiiii,"axG",@progbits,_ZN4vllm3moe17topkGatingSoftmaxIfLi4ELi4ELi8ELi16ELb1ELi4ELNS0_23SharedExpertScoringFuncE1EEEvPKT_PKbPfiPiS9_iiiiii,comdat
.Lfunc_end27:
	.size	_ZN4vllm3moe17topkGatingSoftmaxIfLi4ELi4ELi8ELi16ELb1ELi4ELNS0_23SharedExpertScoringFuncE1EEEvPKT_PKbPfiPiS9_iiiiii, .Lfunc_end27-_ZN4vllm3moe17topkGatingSoftmaxIfLi4ELi4ELi8ELi16ELb1ELi4ELNS0_23SharedExpertScoringFuncE1EEEvPKT_PKbPfiPiS9_iiiiii
                                        ; -- End function
	.section	.AMDGPU.csdata,"",@progbits
; Kernel info:
; codeLenInByte = 2060
; NumSgprs: 26
; NumVgprs: 22
; NumAgprs: 0
; TotalNumVgprs: 22
; ScratchSize: 0
; MemoryBound: 0
; FloatMode: 240
; IeeeMode: 1
; LDSByteSize: 0 bytes/workgroup (compile time only)
; SGPRBlocks: 3
; VGPRBlocks: 2
; NumSGPRsForWavesPerEU: 26
; NumVGPRsForWavesPerEU: 22
; AccumOffset: 24
; Occupancy: 8
; WaveLimiterHint : 0
; COMPUTE_PGM_RSRC2:SCRATCH_EN: 0
; COMPUTE_PGM_RSRC2:USER_SGPR: 6
; COMPUTE_PGM_RSRC2:TRAP_HANDLER: 0
; COMPUTE_PGM_RSRC2:TGID_X_EN: 1
; COMPUTE_PGM_RSRC2:TGID_Y_EN: 0
; COMPUTE_PGM_RSRC2:TGID_Z_EN: 0
; COMPUTE_PGM_RSRC2:TIDIG_COMP_CNT: 1
; COMPUTE_PGM_RSRC3_GFX90A:ACCUM_OFFSET: 5
; COMPUTE_PGM_RSRC3_GFX90A:TG_SPLIT: 0
	.section	.text._ZN4vllm3moe17topkGatingSoftmaxIfLi4ELi4ELi8ELi16ELb0ELi4ELNS0_23SharedExpertScoringFuncE1EEEvPKT_PKbPfiPiS9_iiiiii,"axG",@progbits,_ZN4vllm3moe17topkGatingSoftmaxIfLi4ELi4ELi8ELi16ELb0ELi4ELNS0_23SharedExpertScoringFuncE1EEEvPKT_PKbPfiPiS9_iiiiii,comdat
	.protected	_ZN4vllm3moe17topkGatingSoftmaxIfLi4ELi4ELi8ELi16ELb0ELi4ELNS0_23SharedExpertScoringFuncE1EEEvPKT_PKbPfiPiS9_iiiiii ; -- Begin function _ZN4vllm3moe17topkGatingSoftmaxIfLi4ELi4ELi8ELi16ELb0ELi4ELNS0_23SharedExpertScoringFuncE1EEEvPKT_PKbPfiPiS9_iiiiii
	.globl	_ZN4vllm3moe17topkGatingSoftmaxIfLi4ELi4ELi8ELi16ELb0ELi4ELNS0_23SharedExpertScoringFuncE1EEEvPKT_PKbPfiPiS9_iiiiii
	.p2align	8
	.type	_ZN4vllm3moe17topkGatingSoftmaxIfLi4ELi4ELi8ELi16ELb0ELi4ELNS0_23SharedExpertScoringFuncE1EEEvPKT_PKbPfiPiS9_iiiiii,@function
_ZN4vllm3moe17topkGatingSoftmaxIfLi4ELi4ELi8ELi16ELb0ELi4ELNS0_23SharedExpertScoringFuncE1EEEvPKT_PKbPfiPiS9_iiiiii: ; @_ZN4vllm3moe17topkGatingSoftmaxIfLi4ELi4ELi8ELi16ELb0ELi4ELNS0_23SharedExpertScoringFuncE1EEEvPKT_PKbPfiPiS9_iiiiii
; %bb.0:
	s_load_dword s20, s[4:5], 0x18
	v_bfe_u32 v1, v0, 10, 10
	s_lshl_b32 s21, s6, 9
	v_lshlrev_b32_e32 v16, 6, v1
	v_and_b32_e32 v17, 0x3ff, v0
	v_add3_u32 v19, v16, v17, s21
	s_waitcnt lgkmcnt(0)
	v_cmp_gt_i32_e32 vcc, s20, v19
	s_and_saveexec_b64 s[0:1], vcc
	s_cbranch_execz .LBB28_19
; %bb.1:
	s_load_dwordx4 s[0:3], s[4:5], 0x0
	s_load_dwordx2 s[12:13], s[4:5], 0x10
	s_waitcnt lgkmcnt(0)
	s_cmp_eq_u64 s[2:3], 0
	s_cbranch_scc1 .LBB28_3
; %bb.2:
	v_ashrrev_i32_e32 v1, 31, v19
	v_mov_b32_e32 v2, s3
	v_add_co_u32_e32 v0, vcc, s2, v19
	v_addc_co_u32_e32 v1, vcc, v2, v1, vcc
	global_load_ubyte v0, v[0:1], off
	s_waitcnt vmcnt(0)
	v_and_b32_e32 v0, 1, v0
	v_cmp_eq_u32_e32 vcc, 1, v0
	s_xor_b64 s[2:3], vcc, -1
	s_orn2_b64 s[14:15], s[2:3], exec
	s_branch .LBB28_4
.LBB28_3:
	s_mov_b64 s[14:15], -1
.LBB28_4:
	s_load_dwordx2 s[18:19], s[4:5], 0x40
	s_load_dwordx4 s[8:11], s[4:5], 0x30
	v_mov_b32_e32 v2, s1
	s_mov_b32 s2, 0xbfb8aa3b
	s_mov_b32 s3, 0x42ce8ed0
	s_waitcnt lgkmcnt(0)
	v_mul_lo_u32 v0, v19, s19
	v_ashrrev_i32_e32 v1, 31, v0
	v_lshlrev_b64 v[0:1], 2, v[0:1]
	v_add_co_u32_e32 v8, vcc, s0, v0
	v_addc_co_u32_e32 v9, vcc, v2, v1, vcc
	global_load_dword v5, v[8:9], off offset:16
	global_load_dwordx4 v[0:3], v[8:9], off
	s_mov_b32 s6, 0xc2b17218
	v_mov_b32_e32 v7, 0x7f800000
	v_mul_lo_u32 v4, v19, s11
	v_mov_b32_e32 v6, s13
	s_cmp_gt_i32 s8, 0
	v_mov_b32_e32 v18, 0
	s_cselect_b64 s[16:17], -1, 0
	s_cmp_lt_i32 s8, 1
	s_waitcnt vmcnt(1)
	v_mul_f32_e32 v10, 0xbfb8aa3b, v5
	v_fma_f32 v11, v5, s2, -v10
	v_rndne_f32_e32 v12, v10
	v_fmac_f32_e32 v11, 0xb2a5705f, v5
	v_sub_f32_e32 v10, v10, v12
	v_add_f32_e32 v10, v10, v11
	v_cvt_i32_f32_e32 v12, v12
	v_exp_f32_e32 v13, v10
	v_cmp_nlt_f32_e32 vcc, s3, v5
	v_add_u32_e32 v10, s8, v4
	v_ashrrev_i32_e32 v11, 31, v10
	v_ldexp_f32 v12, v13, v12
	v_cndmask_b32_e32 v12, 0, v12, vcc
	v_cmp_ngt_f32_e32 vcc, s6, v5
	v_cndmask_b32_e32 v5, v7, v12, vcc
	v_add_f32_e32 v5, 1.0, v5
	v_div_scale_f32 v12, s[0:1], v5, v5, 1.0
	v_rcp_f32_e32 v13, v12
	v_lshlrev_b64 v[10:11], 2, v[10:11]
	v_add_co_u32_e32 v10, vcc, s12, v10
	v_addc_co_u32_e32 v11, vcc, v6, v11, vcc
	v_fma_f32 v14, -v12, v13, 1.0
	v_div_scale_f32 v6, vcc, 1.0, v5, 1.0
	v_fmac_f32_e32 v13, v14, v13
	v_mul_f32_e32 v14, v6, v13
	v_fma_f32 v15, -v12, v14, v6
	v_fmac_f32_e32 v14, v15, v13
	v_fma_f32 v6, -v12, v14, v6
	v_div_fmas_f32 v6, v6, v13, v14
	v_div_fixup_f32 v5, v6, v5, 1.0
	global_store_dword v[10:11], v5, off
	global_load_dword v5, v[8:9], off offset:20
	s_waitcnt vmcnt(0)
	v_mul_f32_e32 v6, 0xbfb8aa3b, v5
	v_fma_f32 v12, v5, s2, -v6
	v_rndne_f32_e32 v13, v6
	v_fmac_f32_e32 v12, 0xb2a5705f, v5
	v_sub_f32_e32 v6, v6, v13
	v_add_f32_e32 v6, v6, v12
	v_cvt_i32_f32_e32 v13, v13
	v_exp_f32_e32 v6, v6
	v_cmp_nlt_f32_e32 vcc, s3, v5
	v_ldexp_f32 v6, v6, v13
	v_cndmask_b32_e32 v6, 0, v6, vcc
	v_cmp_ngt_f32_e32 vcc, s6, v5
	v_cndmask_b32_e32 v5, v7, v6, vcc
	v_add_f32_e32 v5, 1.0, v5
	v_div_scale_f32 v6, s[0:1], v5, v5, 1.0
	v_rcp_f32_e32 v12, v6
	v_div_scale_f32 v13, vcc, 1.0, v5, 1.0
	v_fma_f32 v14, -v6, v12, 1.0
	v_fmac_f32_e32 v12, v14, v12
	v_mul_f32_e32 v14, v13, v12
	v_fma_f32 v15, -v6, v14, v13
	v_fmac_f32_e32 v14, v15, v12
	v_fma_f32 v6, -v6, v14, v13
	v_div_fmas_f32 v6, v6, v12, v14
	v_div_fixup_f32 v5, v6, v5, 1.0
	global_store_dword v[10:11], v5, off offset:4
	global_load_dword v5, v[8:9], off offset:24
	s_waitcnt vmcnt(0)
	v_mul_f32_e32 v6, 0xbfb8aa3b, v5
	v_fma_f32 v12, v5, s2, -v6
	v_rndne_f32_e32 v13, v6
	v_fmac_f32_e32 v12, 0xb2a5705f, v5
	v_sub_f32_e32 v6, v6, v13
	v_add_f32_e32 v6, v6, v12
	v_cvt_i32_f32_e32 v13, v13
	v_exp_f32_e32 v6, v6
	v_cmp_nlt_f32_e32 vcc, s3, v5
	v_ldexp_f32 v6, v6, v13
	v_cndmask_b32_e32 v6, 0, v6, vcc
	v_cmp_ngt_f32_e32 vcc, s6, v5
	v_cndmask_b32_e32 v5, v7, v6, vcc
	v_add_f32_e32 v5, 1.0, v5
	v_div_scale_f32 v6, s[0:1], v5, v5, 1.0
	v_rcp_f32_e32 v12, v6
	v_div_scale_f32 v13, vcc, 1.0, v5, 1.0
	v_cmp_lt_f32_e64 s[0:1], v0, v1
	v_fma_f32 v14, -v6, v12, 1.0
	v_fmac_f32_e32 v12, v14, v12
	v_mul_f32_e32 v14, v13, v12
	v_fma_f32 v15, -v6, v14, v13
	v_fmac_f32_e32 v14, v15, v12
	v_fma_f32 v6, -v6, v14, v13
	v_div_fmas_f32 v6, v6, v12, v14
	v_div_fixup_f32 v5, v6, v5, 1.0
	global_store_dword v[10:11], v5, off offset:8
	global_load_dword v5, v[8:9], off offset:28
	s_waitcnt vmcnt(0)
	v_mul_f32_e32 v6, 0xbfb8aa3b, v5
	v_fma_f32 v8, v5, s2, -v6
	v_rndne_f32_e32 v9, v6
	v_fmac_f32_e32 v8, 0xb2a5705f, v5
	v_sub_f32_e32 v6, v6, v9
	v_add_f32_e32 v6, v6, v8
	v_cvt_i32_f32_e32 v9, v9
	v_exp_f32_e32 v6, v6
	v_cmp_nlt_f32_e32 vcc, s3, v5
	v_cndmask_b32_e64 v8, v0, v1, s[0:1]
	v_ldexp_f32 v6, v6, v9
	v_cndmask_b32_e32 v6, 0, v6, vcc
	v_cmp_ngt_f32_e32 vcc, s6, v5
	v_cndmask_b32_e32 v5, v7, v6, vcc
	v_add_f32_e32 v5, 1.0, v5
	v_div_scale_f32 v6, s[2:3], v5, v5, 1.0
	v_rcp_f32_e32 v9, v6
	v_div_scale_f32 v12, vcc, 1.0, v5, 1.0
	v_cmp_lt_f32_e64 s[2:3], v8, v2
	v_fma_f32 v13, -v6, v9, 1.0
	v_fmac_f32_e32 v9, v13, v9
	v_mul_f32_e32 v13, v12, v9
	v_fma_f32 v14, -v6, v13, v12
	v_fmac_f32_e32 v13, v14, v9
	v_cndmask_b32_e64 v8, v8, v2, s[2:3]
	v_fma_f32 v6, -v6, v13, v12
	v_div_fmas_f32 v6, v6, v9, v13
	v_cmp_lt_f32_e32 vcc, v8, v3
	v_div_fixup_f32 v5, v6, v5, 1.0
	v_cndmask_b32_e32 v6, v8, v3, vcc
	global_store_dword v[10:11], v5, off offset:12
	s_cbranch_scc1 .LBB28_8
; %bb.5:
	v_cndmask_b32_e64 v5, 0, 1, s[0:1]
	v_cndmask_b32_e64 v5, v5, 2, s[2:3]
	v_cndmask_b32_e64 v22, v5, 3, vcc
	v_sub_f32_e32 v5, v6, v6
	v_mul_f32_e32 v9, 0x3fb8aa3b, v5
	s_mov_b32 s11, 0x3fb8aa3b
	v_rndne_f32_e32 v10, v9
	v_sub_f32_e32 v11, v9, v10
	v_fma_f32 v9, v5, s11, -v9
	v_fmac_f32_e32 v9, 0x32a5705f, v5
	v_add_f32_e32 v9, v11, v9
	v_exp_f32_e32 v9, v9
	v_cvt_i32_f32_e32 v10, v10
	v_mul_lo_u32 v8, v19, s18
	v_cmp_le_i32_e32 vcc, s9, v22
	v_cmp_gt_i32_e64 s[0:1], s10, v22
	s_mov_b32 s18, 0xc2ce8ed0
	s_and_b64 s[2:3], vcc, s[0:1]
	v_ldexp_f32 v9, v9, v10
	v_cmp_ngt_f32_e32 vcc, s18, v5
	s_mov_b32 s19, 0x42b17218
	s_load_dwordx4 s[4:7], s[4:5], 0x20
	v_cndmask_b32_e32 v9, 0, v9, vcc
	v_cmp_nlt_f32_e32 vcc, s19, v5
	v_ashrrev_i32_e32 v5, 31, v4
	v_lshlrev_b64 v[12:13], 2, v[4:5]
	v_cndmask_b32_e32 v18, v7, v9, vcc
	v_mov_b32_e32 v5, s13
	v_add_co_u32_e32 v14, vcc, s12, v12
	v_addc_co_u32_e64 v15, s[0:1], v5, v13, vcc
	v_ashrrev_i32_e32 v9, 31, v8
	v_subrev_u32_e32 v5, s9, v22
	s_and_b64 s[0:1], s[14:15], s[2:3]
	v_lshlrev_b64 v[10:11], 2, v[8:9]
	v_mul_lo_u32 v20, v19, s8
	v_cndmask_b32_e64 v5, 4, v5, s[0:1]
	s_waitcnt lgkmcnt(0)
	v_mov_b32_e32 v9, s5
	v_add_co_u32_e64 v8, s[0:1], s4, v10
	v_addc_co_u32_e64 v9, s[0:1], v9, v11, s[0:1]
	v_ashrrev_i32_e32 v21, 31, v20
	global_store_dword v[8:9], v5, off
	v_lshlrev_b64 v[8:9], 2, v[20:21]
	v_mov_b32_e32 v5, s7
	v_add_co_u32_e64 v20, s[0:1], s6, v8
	v_addc_co_u32_e64 v21, s[0:1], v5, v9, s[0:1]
	v_mov_b32_e32 v5, 0xff800000
	v_cmp_ne_u32_e64 s[0:1], 3, v22
	v_cndmask_b32_e64 v3, v5, v3, s[0:1]
	v_cmp_ne_u32_e64 s[0:1], 2, v22
	v_cndmask_b32_e64 v2, v5, v2, s[0:1]
	v_cmp_ne_u32_e64 s[0:1], 1, v22
	v_cndmask_b32_e64 v1, v5, v1, s[0:1]
	v_cmp_ne_u32_e64 s[0:1], 0, v22
	s_cmp_eq_u32 s8, 1
	v_cndmask_b32_e64 v0, v5, v0, s[0:1]
	global_store_dword v[14:15], v18, off
	global_store_dword v[20:21], v19, off
	s_cbranch_scc1 .LBB28_8
; %bb.6:
	v_mov_b32_e32 v12, s7
	v_add_co_u32_e64 v8, s[0:1], s6, v8
	v_addc_co_u32_e64 v9, s[0:1], v9, v12, s[0:1]
	v_add_co_u32_e64 v8, s[0:1], 4, v8
	v_addc_co_u32_e64 v9, s[0:1], 0, v9, s[0:1]
	v_mov_b32_e32 v12, s5
	v_add_co_u32_e64 v10, s[0:1], s4, v10
	v_addc_co_u32_e64 v11, s[0:1], v11, v12, s[0:1]
	v_mov_b32_e32 v12, s13
	v_addc_co_u32_e32 v13, vcc, v13, v12, vcc
	v_add_co_u32_e64 v10, s[0:1], 4, v10
	v_add_co_u32_e32 v12, vcc, 4, v14
	s_add_i32 s21, s21, s20
	v_addc_co_u32_e64 v11, s[0:1], 0, v11, s[0:1]
	v_addc_co_u32_e32 v13, vcc, 0, v13, vcc
	s_add_i32 s4, s8, -1
	v_add3_u32 v14, s21, v17, v16
	v_mov_b32_e32 v15, 0x7f800000
.LBB28_7:                               ; =>This Inner Loop Header: Depth=1
	v_cmp_gt_f32_e32 vcc, v1, v0
	v_cndmask_b32_e32 v16, v0, v1, vcc
	v_cmp_gt_f32_e64 s[0:1], v2, v16
	v_cndmask_b32_e64 v16, v16, v2, s[0:1]
	v_cndmask_b32_e64 v17, 0, 1, vcc
	v_cmp_gt_f32_e32 vcc, v3, v16
	v_cndmask_b32_e64 v17, v17, 2, s[0:1]
	v_cndmask_b32_e64 v17, v17, 3, vcc
	v_cndmask_b32_e32 v16, v16, v3, vcc
	v_cmp_ne_u32_e64 s[2:3], 3, v17
	v_sub_f32_e32 v16, v16, v6
	v_cndmask_b32_e64 v3, v5, v3, s[2:3]
	v_cmp_ne_u32_e64 s[2:3], 2, v17
	v_cmp_le_i32_e32 vcc, s9, v17
	v_cmp_gt_i32_e64 s[0:1], s10, v17
	v_mul_f32_e32 v19, 0x3fb8aa3b, v16
	v_cndmask_b32_e64 v2, v5, v2, s[2:3]
	v_cmp_ne_u32_e64 s[2:3], 1, v17
	v_subrev_u32_e32 v20, s9, v17
	v_cndmask_b32_e64 v1, v5, v1, s[2:3]
	v_cmp_ne_u32_e64 s[2:3], 0, v17
	s_and_b64 s[0:1], vcc, s[0:1]
	v_fma_f32 v17, v16, s11, -v19
	v_rndne_f32_e32 v21, v19
	v_fmac_f32_e32 v17, 0x32a5705f, v16
	v_sub_f32_e32 v19, v19, v21
	s_and_b64 vcc, s[14:15], s[0:1]
	v_cndmask_b32_e32 v20, 4, v20, vcc
	v_add_f32_e32 v17, v19, v17
	v_cvt_i32_f32_e32 v21, v21
	global_store_dword v[10:11], v20, off
	global_store_dword v[8:9], v14, off
	v_add_co_u32_e32 v8, vcc, 4, v8
	v_exp_f32_e32 v17, v17
	v_addc_co_u32_e32 v9, vcc, 0, v9, vcc
	v_add_co_u32_e32 v10, vcc, 4, v10
	v_addc_co_u32_e32 v11, vcc, 0, v11, vcc
	v_ldexp_f32 v17, v17, v21
	v_cmp_ngt_f32_e32 vcc, s18, v16
	v_cndmask_b32_e32 v17, 0, v17, vcc
	v_cmp_nlt_f32_e32 vcc, s19, v16
	v_cndmask_b32_e32 v16, v15, v17, vcc
	s_add_i32 s4, s4, -1
	global_store_dword v[12:13], v16, off
	v_add_co_u32_e32 v12, vcc, 4, v12
	v_cndmask_b32_e64 v0, v5, v0, s[2:3]
	v_add_u32_e32 v14, s20, v14
	s_cmp_eq_u32 s4, 0
	v_add_f32_e32 v18, v18, v16
	v_addc_co_u32_e32 v13, vcc, 0, v13, vcc
	s_cbranch_scc0 .LBB28_7
.LBB28_8:
	v_pk_add_f32 v[0:1], v[0:1], v[6:7] op_sel_hi:[1,0] neg_lo:[0,1] neg_hi:[0,1]
	s_mov_b32 s0, 0x3fb8aa3b
	v_mul_f32_e32 v5, 0x3fb8aa3b, v1
	v_fma_f32 v8, v1, s0, -v5
	v_rndne_f32_e32 v9, v5
	v_fmac_f32_e32 v8, 0x32a5705f, v1
	v_sub_f32_e32 v5, v5, v9
	v_add_f32_e32 v5, v5, v8
	v_exp_f32_e32 v5, v5
	v_cvt_i32_f32_e32 v8, v9
	s_mov_b32 s1, 0xc2ce8ed0
	v_cmp_ngt_f32_e32 vcc, s1, v1
	s_mov_b32 s2, 0x42b17218
	v_ldexp_f32 v5, v5, v8
	v_mul_f32_e32 v8, 0x3fb8aa3b, v0
	v_fma_f32 v9, v0, s0, -v8
	v_rndne_f32_e32 v10, v8
	v_fmac_f32_e32 v9, 0x32a5705f, v0
	v_sub_f32_e32 v8, v8, v10
	v_add_f32_e32 v8, v8, v9
	v_exp_f32_e32 v8, v8
	v_cvt_i32_f32_e32 v9, v10
	v_cndmask_b32_e32 v5, 0, v5, vcc
	v_cmp_nlt_f32_e32 vcc, s2, v1
	v_sub_f32_e32 v2, v2, v6
	v_cndmask_b32_e32 v1, v7, v5, vcc
	v_ldexp_f32 v5, v8, v9
	v_mul_f32_e32 v8, 0x3fb8aa3b, v2
	v_fma_f32 v9, v2, s0, -v8
	v_rndne_f32_e32 v10, v8
	v_fmac_f32_e32 v9, 0x32a5705f, v2
	v_sub_f32_e32 v8, v8, v10
	v_add_f32_e32 v8, v8, v9
	v_exp_f32_e32 v8, v8
	v_cvt_i32_f32_e32 v9, v10
	v_cmp_ngt_f32_e32 vcc, s1, v0
	v_cndmask_b32_e32 v5, 0, v5, vcc
	v_cmp_nlt_f32_e32 vcc, s2, v0
	v_sub_f32_e32 v3, v3, v6
	v_cndmask_b32_e32 v0, v7, v5, vcc
	v_mul_f32_e32 v5, 0x3fb8aa3b, v3
	v_add_f32_e32 v0, v0, v1
	v_ldexp_f32 v1, v8, v9
	v_fma_f32 v6, v3, s0, -v5
	v_rndne_f32_e32 v8, v5
	v_fmac_f32_e32 v6, 0x32a5705f, v3
	v_sub_f32_e32 v5, v5, v8
	v_add_f32_e32 v5, v5, v6
	v_exp_f32_e32 v5, v5
	v_cvt_i32_f32_e32 v6, v8
	v_cmp_ngt_f32_e32 vcc, s1, v2
	v_cndmask_b32_e32 v1, 0, v1, vcc
	v_cmp_nlt_f32_e32 vcc, s2, v2
	v_cndmask_b32_e32 v1, v7, v1, vcc
	v_add_f32_e32 v0, v0, v1
	v_ldexp_f32 v1, v5, v6
	v_cmp_ngt_f32_e32 vcc, s1, v3
	v_cndmask_b32_e32 v1, 0, v1, vcc
	v_cmp_nlt_f32_e32 vcc, s2, v3
	v_cndmask_b32_e32 v1, v7, v1, vcc
	v_add_f32_e32 v0, v0, v1
	v_add_f32_e32 v0, v18, v0
	v_cmp_neq_f32_e32 vcc, 0, v0
	s_and_b64 exec, exec, vcc
	s_cbranch_execz .LBB28_19
; %bb.9:
	s_andn2_b64 vcc, exec, s[16:17]
	s_cbranch_vccnz .LBB28_19
; %bb.10:
	v_div_scale_f32 v1, s[0:1], v0, v0, 1.0
	v_rcp_f32_e32 v2, v1
	v_div_scale_f32 v3, vcc, 1.0, v0, 1.0
	s_cmp_gt_u32 s8, 3
	v_fma_f32 v5, -v1, v2, 1.0
	v_fmac_f32_e32 v2, v5, v2
	v_mul_f32_e32 v5, v3, v2
	v_fma_f32 v6, -v1, v5, v3
	v_fmac_f32_e32 v5, v6, v2
	v_fma_f32 v1, -v1, v5, v3
	v_div_fmas_f32 v1, v1, v2, v5
	v_div_fixup_f32 v0, v1, v0, 1.0
	v_ashrrev_i32_e32 v5, 31, v4
	s_cbranch_scc0 .LBB28_14
; %bb.11:
	v_lshlrev_b64 v[2:3], 2, v[4:5]
	v_mov_b32_e32 v6, s13
	v_add_co_u32_e32 v2, vcc, s12, v2
	v_addc_co_u32_e32 v3, vcc, v3, v6, vcc
	s_and_b32 s4, s8, 0x7ffffffc
	v_add_co_u32_e32 v2, vcc, 8, v2
	v_mov_b32_e32 v1, v0
	v_addc_co_u32_e32 v3, vcc, 0, v3, vcc
	s_mov_b32 s0, s4
.LBB28_12:                              ; =>This Inner Loop Header: Depth=1
	global_load_dwordx4 v[6:9], v[2:3], off offset:-8
	s_add_i32 s0, s0, -4
	s_cmp_lg_u32 s0, 0
	s_waitcnt vmcnt(0)
	v_pk_mul_f32 v[6:7], v[0:1], v[6:7]
	v_pk_mul_f32 v[8:9], v[0:1], v[8:9]
	global_store_dwordx4 v[2:3], v[6:9], off offset:-8
	v_add_co_u32_e32 v2, vcc, 16, v2
	v_addc_co_u32_e32 v3, vcc, 0, v3, vcc
	s_cbranch_scc1 .LBB28_12
; %bb.13:
	s_cmp_lg_u32 s4, s8
	s_cselect_b64 s[0:1], -1, 0
	s_branch .LBB28_16
.LBB28_14:
	s_mov_b64 s[0:1], 0
                                        ; implicit-def: $sgpr4
	s_cbranch_execz .LBB28_16
; %bb.15:
	s_mov_b64 s[0:1], -1
	s_mov_b32 s4, 0
.LBB28_16:
	s_andn2_b64 vcc, exec, s[0:1]
	s_cbranch_vccnz .LBB28_19
; %bb.17:
	v_add_co_u32_e32 v2, vcc, s4, v4
	v_addc_co_u32_e32 v3, vcc, 0, v5, vcc
	v_lshlrev_b64 v[2:3], 2, v[2:3]
	v_mov_b32_e32 v1, s13
	v_add_co_u32_e32 v2, vcc, s12, v2
	s_sub_i32 s0, s8, s4
	v_addc_co_u32_e32 v3, vcc, v1, v3, vcc
.LBB28_18:                              ; =>This Inner Loop Header: Depth=1
	global_load_dword v1, v[2:3], off
	s_add_i32 s0, s0, -1
	s_cmp_lg_u32 s0, 0
	s_waitcnt vmcnt(0)
	v_mul_f32_e32 v1, v0, v1
	global_store_dword v[2:3], v1, off
	v_add_co_u32_e32 v2, vcc, 4, v2
	v_addc_co_u32_e32 v3, vcc, 0, v3, vcc
	s_cbranch_scc1 .LBB28_18
.LBB28_19:
	s_endpgm
	.section	.rodata,"a",@progbits
	.p2align	6, 0x0
	.amdhsa_kernel _ZN4vllm3moe17topkGatingSoftmaxIfLi4ELi4ELi8ELi16ELb0ELi4ELNS0_23SharedExpertScoringFuncE1EEEvPKT_PKbPfiPiS9_iiiiii
		.amdhsa_group_segment_fixed_size 0
		.amdhsa_private_segment_fixed_size 0
		.amdhsa_kernarg_size 72
		.amdhsa_user_sgpr_count 6
		.amdhsa_user_sgpr_private_segment_buffer 1
		.amdhsa_user_sgpr_dispatch_ptr 0
		.amdhsa_user_sgpr_queue_ptr 0
		.amdhsa_user_sgpr_kernarg_segment_ptr 1
		.amdhsa_user_sgpr_dispatch_id 0
		.amdhsa_user_sgpr_flat_scratch_init 0
		.amdhsa_user_sgpr_kernarg_preload_length 0
		.amdhsa_user_sgpr_kernarg_preload_offset 0
		.amdhsa_user_sgpr_private_segment_size 0
		.amdhsa_uses_dynamic_stack 0
		.amdhsa_system_sgpr_private_segment_wavefront_offset 0
		.amdhsa_system_sgpr_workgroup_id_x 1
		.amdhsa_system_sgpr_workgroup_id_y 0
		.amdhsa_system_sgpr_workgroup_id_z 0
		.amdhsa_system_sgpr_workgroup_info 0
		.amdhsa_system_vgpr_workitem_id 1
		.amdhsa_next_free_vgpr 23
		.amdhsa_next_free_sgpr 22
		.amdhsa_accum_offset 24
		.amdhsa_reserve_vcc 1
		.amdhsa_reserve_flat_scratch 0
		.amdhsa_float_round_mode_32 0
		.amdhsa_float_round_mode_16_64 0
		.amdhsa_float_denorm_mode_32 3
		.amdhsa_float_denorm_mode_16_64 3
		.amdhsa_dx10_clamp 1
		.amdhsa_ieee_mode 1
		.amdhsa_fp16_overflow 0
		.amdhsa_tg_split 0
		.amdhsa_exception_fp_ieee_invalid_op 0
		.amdhsa_exception_fp_denorm_src 0
		.amdhsa_exception_fp_ieee_div_zero 0
		.amdhsa_exception_fp_ieee_overflow 0
		.amdhsa_exception_fp_ieee_underflow 0
		.amdhsa_exception_fp_ieee_inexact 0
		.amdhsa_exception_int_div_zero 0
	.end_amdhsa_kernel
	.section	.text._ZN4vllm3moe17topkGatingSoftmaxIfLi4ELi4ELi8ELi16ELb0ELi4ELNS0_23SharedExpertScoringFuncE1EEEvPKT_PKbPfiPiS9_iiiiii,"axG",@progbits,_ZN4vllm3moe17topkGatingSoftmaxIfLi4ELi4ELi8ELi16ELb0ELi4ELNS0_23SharedExpertScoringFuncE1EEEvPKT_PKbPfiPiS9_iiiiii,comdat
.Lfunc_end28:
	.size	_ZN4vllm3moe17topkGatingSoftmaxIfLi4ELi4ELi8ELi16ELb0ELi4ELNS0_23SharedExpertScoringFuncE1EEEvPKT_PKbPfiPiS9_iiiiii, .Lfunc_end28-_ZN4vllm3moe17topkGatingSoftmaxIfLi4ELi4ELi8ELi16ELb0ELi4ELNS0_23SharedExpertScoringFuncE1EEEvPKT_PKbPfiPiS9_iiiiii
                                        ; -- End function
	.section	.AMDGPU.csdata,"",@progbits
; Kernel info:
; codeLenInByte = 2404
; NumSgprs: 26
; NumVgprs: 23
; NumAgprs: 0
; TotalNumVgprs: 23
; ScratchSize: 0
; MemoryBound: 0
; FloatMode: 240
; IeeeMode: 1
; LDSByteSize: 0 bytes/workgroup (compile time only)
; SGPRBlocks: 3
; VGPRBlocks: 2
; NumSGPRsForWavesPerEU: 26
; NumVGPRsForWavesPerEU: 23
; AccumOffset: 24
; Occupancy: 8
; WaveLimiterHint : 0
; COMPUTE_PGM_RSRC2:SCRATCH_EN: 0
; COMPUTE_PGM_RSRC2:USER_SGPR: 6
; COMPUTE_PGM_RSRC2:TRAP_HANDLER: 0
; COMPUTE_PGM_RSRC2:TGID_X_EN: 1
; COMPUTE_PGM_RSRC2:TGID_Y_EN: 0
; COMPUTE_PGM_RSRC2:TGID_Z_EN: 0
; COMPUTE_PGM_RSRC2:TIDIG_COMP_CNT: 1
; COMPUTE_PGM_RSRC3_GFX90A:ACCUM_OFFSET: 5
; COMPUTE_PGM_RSRC3_GFX90A:TG_SPLIT: 0
	.section	.text._ZN4vllm3moe17topkGatingSoftmaxIfLi4ELi4ELi8ELi16ELb1ELi8ELNS0_23SharedExpertScoringFuncE1EEEvPKT_PKbPfiPiS9_iiiiii,"axG",@progbits,_ZN4vllm3moe17topkGatingSoftmaxIfLi4ELi4ELi8ELi16ELb1ELi8ELNS0_23SharedExpertScoringFuncE1EEEvPKT_PKbPfiPiS9_iiiiii,comdat
	.protected	_ZN4vllm3moe17topkGatingSoftmaxIfLi4ELi4ELi8ELi16ELb1ELi8ELNS0_23SharedExpertScoringFuncE1EEEvPKT_PKbPfiPiS9_iiiiii ; -- Begin function _ZN4vllm3moe17topkGatingSoftmaxIfLi4ELi4ELi8ELi16ELb1ELi8ELNS0_23SharedExpertScoringFuncE1EEEvPKT_PKbPfiPiS9_iiiiii
	.globl	_ZN4vllm3moe17topkGatingSoftmaxIfLi4ELi4ELi8ELi16ELb1ELi8ELNS0_23SharedExpertScoringFuncE1EEEvPKT_PKbPfiPiS9_iiiiii
	.p2align	8
	.type	_ZN4vllm3moe17topkGatingSoftmaxIfLi4ELi4ELi8ELi16ELb1ELi8ELNS0_23SharedExpertScoringFuncE1EEEvPKT_PKbPfiPiS9_iiiiii,@function
_ZN4vllm3moe17topkGatingSoftmaxIfLi4ELi4ELi8ELi16ELb1ELi8ELNS0_23SharedExpertScoringFuncE1EEEvPKT_PKbPfiPiS9_iiiiii: ; @_ZN4vllm3moe17topkGatingSoftmaxIfLi4ELi4ELi8ELi16ELb1ELi8ELNS0_23SharedExpertScoringFuncE1EEEvPKT_PKbPfiPiS9_iiiiii
; %bb.0:
	s_load_dword s18, s[4:5], 0x18
	v_bfe_u32 v1, v0, 10, 10
	s_lshl_b32 s19, s6, 9
	v_lshlrev_b32_e32 v14, 6, v1
	v_and_b32_e32 v15, 0x3ff, v0
	v_add3_u32 v16, v14, v15, s19
	s_waitcnt lgkmcnt(0)
	v_cmp_gt_i32_e32 vcc, s18, v16
	s_and_saveexec_b64 s[0:1], vcc
	s_cbranch_execz .LBB29_19
; %bb.1:
	s_load_dwordx4 s[0:3], s[4:5], 0x0
	s_load_dwordx2 s[12:13], s[4:5], 0x10
	s_waitcnt lgkmcnt(0)
	s_cmp_eq_u64 s[2:3], 0
	s_cbranch_scc1 .LBB29_3
; %bb.2:
	v_ashrrev_i32_e32 v1, 31, v16
	v_mov_b32_e32 v2, s3
	v_add_co_u32_e32 v0, vcc, s2, v16
	v_addc_co_u32_e32 v1, vcc, v2, v1, vcc
	global_load_ubyte v0, v[0:1], off
	s_waitcnt vmcnt(0)
	v_and_b32_e32 v0, 1, v0
	v_cmp_eq_u32_e32 vcc, 1, v0
	s_xor_b64 s[2:3], vcc, -1
	s_orn2_b64 s[14:15], s[2:3], exec
	s_branch .LBB29_4
.LBB29_3:
	s_mov_b64 s[14:15], -1
.LBB29_4:
	s_load_dwordx2 s[2:3], s[4:5], 0x40
	s_load_dwordx4 s[8:11], s[4:5], 0x30
	v_mov_b32_e32 v2, s1
	s_mov_b32 s1, 0xc2b17218
	v_mov_b32_e32 v5, 0x7f800000
	s_waitcnt lgkmcnt(0)
	v_mul_lo_u32 v0, v16, s3
	v_ashrrev_i32_e32 v1, 31, v0
	v_lshlrev_b64 v[0:1], 2, v[0:1]
	v_add_co_u32_e32 v6, vcc, s0, v0
	v_addc_co_u32_e32 v7, vcc, v2, v1, vcc
	global_load_dword v10, v[6:7], off offset:16
	global_load_dwordx4 v[0:3], v[6:7], off
	s_mov_b32 s3, 0xbfb8aa3b
	s_mov_b32 s0, 0x42ce8ed0
	v_mul_lo_u32 v4, v16, s11
	v_mov_b32_e32 v11, s13
	s_cmp_gt_i32 s8, 0
	s_cselect_b64 s[16:17], -1, 0
	s_cmp_lt_i32 s8, 1
	s_waitcnt vmcnt(1)
	v_mul_f32_e32 v8, 0xbfb8aa3b, v10
	v_fma_f32 v9, v10, s3, -v8
	v_rndne_f32_e32 v12, v8
	v_fmac_f32_e32 v9, 0xb2a5705f, v10
	v_sub_f32_e32 v8, v8, v12
	v_add_f32_e32 v8, v8, v9
	v_cvt_i32_f32_e32 v12, v12
	v_exp_f32_e32 v13, v8
	v_cmp_nlt_f32_e32 vcc, s0, v10
	v_add_u32_e32 v8, s8, v4
	v_ashrrev_i32_e32 v9, 31, v8
	v_ldexp_f32 v12, v13, v12
	v_cndmask_b32_e32 v12, 0, v12, vcc
	v_cmp_ngt_f32_e32 vcc, s1, v10
	v_cndmask_b32_e32 v10, v5, v12, vcc
	v_add_f32_e32 v10, 1.0, v10
	v_div_scale_f32 v12, s[6:7], v10, v10, 1.0
	v_rcp_f32_e32 v13, v12
	v_lshlrev_b64 v[8:9], 2, v[8:9]
	v_add_co_u32_e32 v8, vcc, s12, v8
	v_addc_co_u32_e32 v9, vcc, v11, v9, vcc
	v_fma_f32 v17, -v12, v13, 1.0
	v_div_scale_f32 v11, vcc, 1.0, v10, 1.0
	v_fmac_f32_e32 v13, v17, v13
	v_mul_f32_e32 v17, v11, v13
	v_fma_f32 v18, -v12, v17, v11
	v_fmac_f32_e32 v17, v18, v13
	v_fma_f32 v11, -v12, v17, v11
	v_div_fmas_f32 v11, v11, v13, v17
	v_div_fixup_f32 v10, v11, v10, 1.0
	global_store_dword v[8:9], v10, off
	global_load_dword v10, v[6:7], off offset:20
	s_waitcnt vmcnt(0)
	v_mul_f32_e32 v11, 0xbfb8aa3b, v10
	v_fma_f32 v12, v10, s3, -v11
	v_rndne_f32_e32 v13, v11
	v_fmac_f32_e32 v12, 0xb2a5705f, v10
	v_sub_f32_e32 v11, v11, v13
	v_add_f32_e32 v11, v11, v12
	v_cvt_i32_f32_e32 v13, v13
	v_exp_f32_e32 v11, v11
	v_cmp_nlt_f32_e32 vcc, s0, v10
	v_ldexp_f32 v11, v11, v13
	v_cndmask_b32_e32 v11, 0, v11, vcc
	v_cmp_ngt_f32_e32 vcc, s1, v10
	v_cndmask_b32_e32 v10, v5, v11, vcc
	v_add_f32_e32 v10, 1.0, v10
	v_div_scale_f32 v11, s[6:7], v10, v10, 1.0
	v_rcp_f32_e32 v12, v11
	v_div_scale_f32 v13, vcc, 1.0, v10, 1.0
	v_fma_f32 v17, -v11, v12, 1.0
	v_fmac_f32_e32 v12, v17, v12
	v_mul_f32_e32 v17, v13, v12
	v_fma_f32 v18, -v11, v17, v13
	v_fmac_f32_e32 v17, v18, v12
	v_fma_f32 v11, -v11, v17, v13
	v_div_fmas_f32 v11, v11, v12, v17
	v_div_fixup_f32 v10, v11, v10, 1.0
	global_store_dword v[8:9], v10, off offset:4
	global_load_dword v10, v[6:7], off offset:24
	s_waitcnt vmcnt(0)
	v_mul_f32_e32 v11, 0xbfb8aa3b, v10
	v_fma_f32 v12, v10, s3, -v11
	v_rndne_f32_e32 v13, v11
	v_fmac_f32_e32 v12, 0xb2a5705f, v10
	v_sub_f32_e32 v11, v11, v13
	v_add_f32_e32 v11, v11, v12
	v_cvt_i32_f32_e32 v13, v13
	v_exp_f32_e32 v11, v11
	v_cmp_nlt_f32_e32 vcc, s0, v10
	v_ldexp_f32 v11, v11, v13
	v_cndmask_b32_e32 v11, 0, v11, vcc
	v_cmp_ngt_f32_e32 vcc, s1, v10
	v_cndmask_b32_e32 v10, v5, v11, vcc
	v_add_f32_e32 v10, 1.0, v10
	v_div_scale_f32 v11, s[6:7], v10, v10, 1.0
	v_rcp_f32_e32 v12, v11
	v_div_scale_f32 v13, vcc, 1.0, v10, 1.0
	v_fma_f32 v17, -v11, v12, 1.0
	v_fmac_f32_e32 v12, v17, v12
	v_mul_f32_e32 v17, v13, v12
	v_fma_f32 v18, -v11, v17, v13
	v_fmac_f32_e32 v17, v18, v12
	v_fma_f32 v11, -v11, v17, v13
	v_div_fmas_f32 v11, v11, v12, v17
	v_div_fixup_f32 v10, v11, v10, 1.0
	global_store_dword v[8:9], v10, off offset:8
	;; [unrolled: 28-line block ×6, first 2 shown]
	global_load_dword v6, v[6:7], off offset:44
	v_mov_b32_e32 v17, 0
	s_waitcnt vmcnt(0)
	v_mul_f32_e32 v7, 0xbfb8aa3b, v6
	v_fma_f32 v10, v6, s3, -v7
	v_rndne_f32_e32 v11, v7
	v_fmac_f32_e32 v10, 0xb2a5705f, v6
	v_sub_f32_e32 v7, v7, v11
	v_add_f32_e32 v7, v7, v10
	v_cvt_i32_f32_e32 v11, v11
	v_exp_f32_e32 v7, v7
	v_cmp_nlt_f32_e32 vcc, s0, v6
	v_ldexp_f32 v7, v7, v11
	v_cndmask_b32_e32 v7, 0, v7, vcc
	v_cmp_ngt_f32_e32 vcc, s1, v6
	v_cndmask_b32_e32 v6, v5, v7, vcc
	v_add_f32_e32 v6, 1.0, v6
	v_div_scale_f32 v7, s[0:1], v6, v6, 1.0
	v_rcp_f32_e32 v10, v7
	v_div_scale_f32 v11, vcc, 1.0, v6, 1.0
	v_fma_f32 v12, -v7, v10, 1.0
	v_fmac_f32_e32 v10, v12, v10
	v_mul_f32_e32 v12, v11, v10
	v_fma_f32 v13, -v7, v12, v11
	v_fmac_f32_e32 v12, v13, v10
	v_fma_f32 v7, -v7, v12, v11
	v_div_fmas_f32 v7, v7, v10, v12
	v_div_fixup_f32 v6, v7, v6, 1.0
	global_store_dword v[8:9], v6, off offset:28
	s_cbranch_scc1 .LBB29_8
; %bb.5:
	v_cmp_lt_f32_e32 vcc, v0, v1
	v_cndmask_b32_e32 v7, v0, v1, vcc
	v_cndmask_b32_e64 v6, 0, 1, vcc
	v_cmp_lt_f32_e32 vcc, v7, v2
	v_cndmask_b32_e32 v7, v7, v2, vcc
	v_cndmask_b32_e64 v6, v6, 2, vcc
	v_cmp_lt_f32_e32 vcc, v7, v3
	v_cndmask_b32_e32 v18, v7, v3, vcc
	v_sub_f32_e32 v7, v18, v18
	s_mov_b32 s11, 0x3fb8aa3b
	v_mul_f32_e32 v8, 0x3fb8aa3b, v7
	v_fma_f32 v9, v7, s11, -v8
	v_rndne_f32_e32 v10, v8
	v_fmac_f32_e32 v9, 0x32a5705f, v7
	v_sub_f32_e32 v8, v8, v10
	v_add_f32_e32 v8, v8, v9
	v_exp_f32_e32 v8, v8
	v_cvt_i32_f32_e32 v9, v10
	v_cndmask_b32_e64 v19, v6, 3, vcc
	v_cmp_le_i32_e32 vcc, s9, v19
	v_cmp_gt_i32_e64 s[0:1], s10, v19
	s_mov_b32 s20, 0xc2ce8ed0
	v_mul_lo_u32 v6, v16, s2
	s_and_b64 s[2:3], vcc, s[0:1]
	v_ldexp_f32 v8, v8, v9
	v_cmp_ngt_f32_e32 vcc, s20, v7
	s_mov_b32 s21, 0x42b17218
	v_cndmask_b32_e32 v8, 0, v8, vcc
	v_cmp_nlt_f32_e32 vcc, s21, v7
	s_load_dwordx4 s[4:7], s[4:5], 0x20
	v_cndmask_b32_e32 v17, v5, v8, vcc
	v_ashrrev_i32_e32 v5, 31, v4
	v_lshlrev_b64 v[10:11], 2, v[4:5]
	v_mov_b32_e32 v5, s13
	v_add_co_u32_e32 v12, vcc, s12, v10
	v_addc_co_u32_e64 v13, s[0:1], v5, v11, vcc
	v_ashrrev_i32_e32 v7, 31, v6
	v_subrev_u32_e32 v5, s9, v19
	s_and_b64 s[0:1], s[14:15], s[2:3]
	v_lshlrev_b64 v[8:9], 2, v[6:7]
	v_mul_lo_u32 v20, v16, s8
	v_cndmask_b32_e64 v5, 4, v5, s[0:1]
	s_waitcnt lgkmcnt(0)
	v_mov_b32_e32 v7, s5
	v_add_co_u32_e64 v6, s[0:1], s4, v8
	v_addc_co_u32_e64 v7, s[0:1], v7, v9, s[0:1]
	v_ashrrev_i32_e32 v21, 31, v20
	global_store_dword v[6:7], v5, off
	v_lshlrev_b64 v[6:7], 2, v[20:21]
	v_mov_b32_e32 v5, s7
	v_add_co_u32_e64 v20, s[0:1], s6, v6
	v_addc_co_u32_e64 v21, s[0:1], v5, v7, s[0:1]
	s_cmp_eq_u32 s8, 1
	global_store_dword v[12:13], v17, off
	global_store_dword v[20:21], v16, off
	s_cbranch_scc1 .LBB29_8
; %bb.6:
	v_mov_b32_e32 v5, 0xff800000
	v_cmp_ne_u32_e64 s[0:1], 3, v19
	v_cndmask_b32_e64 v3, v5, v3, s[0:1]
	v_cmp_ne_u32_e64 s[0:1], 2, v19
	v_cndmask_b32_e64 v2, v5, v2, s[0:1]
	;; [unrolled: 2-line block ×4, first 2 shown]
	v_mov_b32_e32 v10, s7
	v_add_co_u32_e64 v6, s[0:1], s6, v6
	v_addc_co_u32_e64 v7, s[0:1], v7, v10, s[0:1]
	v_add_co_u32_e64 v6, s[0:1], 4, v6
	v_addc_co_u32_e64 v7, s[0:1], 0, v7, s[0:1]
	v_mov_b32_e32 v10, s5
	v_add_co_u32_e64 v8, s[0:1], s4, v8
	v_addc_co_u32_e64 v9, s[0:1], v9, v10, s[0:1]
	v_mov_b32_e32 v10, s13
	v_addc_co_u32_e32 v11, vcc, v11, v10, vcc
	v_add_co_u32_e64 v8, s[0:1], 4, v8
	v_add_co_u32_e32 v10, vcc, 4, v12
	s_add_i32 s19, s19, s18
	v_addc_co_u32_e64 v9, s[0:1], 0, v9, s[0:1]
	v_addc_co_u32_e32 v11, vcc, 0, v11, vcc
	s_add_i32 s4, s8, -1
	v_add3_u32 v12, s19, v15, v14
	v_mov_b32_e32 v13, 0x7f800000
.LBB29_7:                               ; =>This Inner Loop Header: Depth=1
	v_cmp_gt_f32_e32 vcc, v1, v0
	v_cndmask_b32_e32 v14, v0, v1, vcc
	v_cmp_gt_f32_e64 s[0:1], v2, v14
	v_cndmask_b32_e64 v14, v14, v2, s[0:1]
	v_cndmask_b32_e64 v15, 0, 1, vcc
	v_cmp_gt_f32_e32 vcc, v3, v14
	v_cndmask_b32_e64 v15, v15, 2, s[0:1]
	v_cndmask_b32_e64 v15, v15, 3, vcc
	v_cndmask_b32_e32 v14, v14, v3, vcc
	v_cmp_ne_u32_e64 s[2:3], 3, v15
	v_sub_f32_e32 v14, v14, v18
	v_cndmask_b32_e64 v3, v5, v3, s[2:3]
	v_cmp_ne_u32_e64 s[2:3], 2, v15
	v_cmp_le_i32_e32 vcc, s9, v15
	v_cmp_gt_i32_e64 s[0:1], s10, v15
	v_mul_f32_e32 v16, 0x3fb8aa3b, v14
	v_cndmask_b32_e64 v2, v5, v2, s[2:3]
	v_cmp_ne_u32_e64 s[2:3], 1, v15
	v_subrev_u32_e32 v19, s9, v15
	v_cndmask_b32_e64 v1, v5, v1, s[2:3]
	v_cmp_ne_u32_e64 s[2:3], 0, v15
	s_and_b64 s[0:1], vcc, s[0:1]
	v_fma_f32 v15, v14, s11, -v16
	v_rndne_f32_e32 v20, v16
	v_fmac_f32_e32 v15, 0x32a5705f, v14
	v_sub_f32_e32 v16, v16, v20
	s_and_b64 vcc, s[14:15], s[0:1]
	v_cndmask_b32_e32 v19, 4, v19, vcc
	v_add_f32_e32 v15, v16, v15
	v_cvt_i32_f32_e32 v20, v20
	global_store_dword v[8:9], v19, off
	global_store_dword v[6:7], v12, off
	v_add_co_u32_e32 v6, vcc, 4, v6
	v_exp_f32_e32 v15, v15
	v_addc_co_u32_e32 v7, vcc, 0, v7, vcc
	v_add_co_u32_e32 v8, vcc, 4, v8
	v_addc_co_u32_e32 v9, vcc, 0, v9, vcc
	v_ldexp_f32 v15, v15, v20
	v_cmp_ngt_f32_e32 vcc, s20, v14
	v_cndmask_b32_e32 v15, 0, v15, vcc
	v_cmp_nlt_f32_e32 vcc, s21, v14
	v_cndmask_b32_e32 v14, v13, v15, vcc
	s_add_i32 s4, s4, -1
	global_store_dword v[10:11], v14, off
	v_add_co_u32_e32 v10, vcc, 4, v10
	v_cndmask_b32_e64 v0, v5, v0, s[2:3]
	v_add_u32_e32 v12, s18, v12
	s_cmp_eq_u32 s4, 0
	v_add_f32_e32 v17, v17, v14
	v_addc_co_u32_e32 v11, vcc, 0, v11, vcc
	s_cbranch_scc0 .LBB29_7
.LBB29_8:
	v_cmp_neq_f32_e32 vcc, 0, v17
	s_and_b64 exec, exec, vcc
	s_cbranch_execz .LBB29_19
; %bb.9:
	s_andn2_b64 vcc, exec, s[16:17]
	s_cbranch_vccnz .LBB29_19
; %bb.10:
	v_div_scale_f32 v0, s[0:1], v17, v17, 1.0
	v_rcp_f32_e32 v1, v0
	v_div_scale_f32 v2, vcc, 1.0, v17, 1.0
	s_cmp_gt_u32 s8, 3
	v_fma_f32 v3, -v0, v1, 1.0
	v_fmac_f32_e32 v1, v3, v1
	v_mul_f32_e32 v3, v2, v1
	v_fma_f32 v5, -v0, v3, v2
	v_fmac_f32_e32 v3, v5, v1
	v_fma_f32 v0, -v0, v3, v2
	v_div_fmas_f32 v0, v0, v1, v3
	v_div_fixup_f32 v0, v0, v17, 1.0
	v_ashrrev_i32_e32 v5, 31, v4
	s_cbranch_scc0 .LBB29_14
; %bb.11:
	v_lshlrev_b64 v[2:3], 2, v[4:5]
	v_mov_b32_e32 v6, s13
	v_add_co_u32_e32 v2, vcc, s12, v2
	v_addc_co_u32_e32 v3, vcc, v3, v6, vcc
	s_and_b32 s4, s8, 0x7ffffffc
	v_add_co_u32_e32 v2, vcc, 8, v2
	v_mov_b32_e32 v1, v0
	v_addc_co_u32_e32 v3, vcc, 0, v3, vcc
	s_mov_b32 s0, s4
.LBB29_12:                              ; =>This Inner Loop Header: Depth=1
	global_load_dwordx4 v[6:9], v[2:3], off offset:-8
	s_add_i32 s0, s0, -4
	s_cmp_lg_u32 s0, 0
	s_waitcnt vmcnt(0)
	v_pk_mul_f32 v[6:7], v[0:1], v[6:7]
	v_pk_mul_f32 v[8:9], v[0:1], v[8:9]
	global_store_dwordx4 v[2:3], v[6:9], off offset:-8
	v_add_co_u32_e32 v2, vcc, 16, v2
	v_addc_co_u32_e32 v3, vcc, 0, v3, vcc
	s_cbranch_scc1 .LBB29_12
; %bb.13:
	s_cmp_lg_u32 s4, s8
	s_cselect_b64 s[0:1], -1, 0
	s_branch .LBB29_16
.LBB29_14:
	s_mov_b64 s[0:1], 0
                                        ; implicit-def: $sgpr4
	s_cbranch_execz .LBB29_16
; %bb.15:
	s_mov_b64 s[0:1], -1
	s_mov_b32 s4, 0
.LBB29_16:
	s_andn2_b64 vcc, exec, s[0:1]
	s_cbranch_vccnz .LBB29_19
; %bb.17:
	v_add_co_u32_e32 v2, vcc, s4, v4
	v_addc_co_u32_e32 v3, vcc, 0, v5, vcc
	v_lshlrev_b64 v[2:3], 2, v[2:3]
	v_mov_b32_e32 v1, s13
	v_add_co_u32_e32 v2, vcc, s12, v2
	s_sub_i32 s0, s8, s4
	v_addc_co_u32_e32 v3, vcc, v1, v3, vcc
.LBB29_18:                              ; =>This Inner Loop Header: Depth=1
	global_load_dword v1, v[2:3], off
	s_add_i32 s0, s0, -1
	s_cmp_lg_u32 s0, 0
	s_waitcnt vmcnt(0)
	v_mul_f32_e32 v1, v0, v1
	global_store_dword v[2:3], v1, off
	v_add_co_u32_e32 v2, vcc, 4, v2
	v_addc_co_u32_e32 v3, vcc, 0, v3, vcc
	s_cbranch_scc1 .LBB29_18
.LBB29_19:
	s_endpgm
	.section	.rodata,"a",@progbits
	.p2align	6, 0x0
	.amdhsa_kernel _ZN4vllm3moe17topkGatingSoftmaxIfLi4ELi4ELi8ELi16ELb1ELi8ELNS0_23SharedExpertScoringFuncE1EEEvPKT_PKbPfiPiS9_iiiiii
		.amdhsa_group_segment_fixed_size 0
		.amdhsa_private_segment_fixed_size 0
		.amdhsa_kernarg_size 72
		.amdhsa_user_sgpr_count 6
		.amdhsa_user_sgpr_private_segment_buffer 1
		.amdhsa_user_sgpr_dispatch_ptr 0
		.amdhsa_user_sgpr_queue_ptr 0
		.amdhsa_user_sgpr_kernarg_segment_ptr 1
		.amdhsa_user_sgpr_dispatch_id 0
		.amdhsa_user_sgpr_flat_scratch_init 0
		.amdhsa_user_sgpr_kernarg_preload_length 0
		.amdhsa_user_sgpr_kernarg_preload_offset 0
		.amdhsa_user_sgpr_private_segment_size 0
		.amdhsa_uses_dynamic_stack 0
		.amdhsa_system_sgpr_private_segment_wavefront_offset 0
		.amdhsa_system_sgpr_workgroup_id_x 1
		.amdhsa_system_sgpr_workgroup_id_y 0
		.amdhsa_system_sgpr_workgroup_id_z 0
		.amdhsa_system_sgpr_workgroup_info 0
		.amdhsa_system_vgpr_workitem_id 1
		.amdhsa_next_free_vgpr 22
		.amdhsa_next_free_sgpr 22
		.amdhsa_accum_offset 24
		.amdhsa_reserve_vcc 1
		.amdhsa_reserve_flat_scratch 0
		.amdhsa_float_round_mode_32 0
		.amdhsa_float_round_mode_16_64 0
		.amdhsa_float_denorm_mode_32 3
		.amdhsa_float_denorm_mode_16_64 3
		.amdhsa_dx10_clamp 1
		.amdhsa_ieee_mode 1
		.amdhsa_fp16_overflow 0
		.amdhsa_tg_split 0
		.amdhsa_exception_fp_ieee_invalid_op 0
		.amdhsa_exception_fp_denorm_src 0
		.amdhsa_exception_fp_ieee_div_zero 0
		.amdhsa_exception_fp_ieee_overflow 0
		.amdhsa_exception_fp_ieee_underflow 0
		.amdhsa_exception_fp_ieee_inexact 0
		.amdhsa_exception_int_div_zero 0
	.end_amdhsa_kernel
	.section	.text._ZN4vllm3moe17topkGatingSoftmaxIfLi4ELi4ELi8ELi16ELb1ELi8ELNS0_23SharedExpertScoringFuncE1EEEvPKT_PKbPfiPiS9_iiiiii,"axG",@progbits,_ZN4vllm3moe17topkGatingSoftmaxIfLi4ELi4ELi8ELi16ELb1ELi8ELNS0_23SharedExpertScoringFuncE1EEEvPKT_PKbPfiPiS9_iiiiii,comdat
.Lfunc_end29:
	.size	_ZN4vllm3moe17topkGatingSoftmaxIfLi4ELi4ELi8ELi16ELb1ELi8ELNS0_23SharedExpertScoringFuncE1EEEvPKT_PKbPfiPiS9_iiiiii, .Lfunc_end29-_ZN4vllm3moe17topkGatingSoftmaxIfLi4ELi4ELi8ELi16ELb1ELi8ELNS0_23SharedExpertScoringFuncE1EEEvPKT_PKbPfiPiS9_iiiiii
                                        ; -- End function
	.section	.AMDGPU.csdata,"",@progbits
; Kernel info:
; codeLenInByte = 2716
; NumSgprs: 26
; NumVgprs: 22
; NumAgprs: 0
; TotalNumVgprs: 22
; ScratchSize: 0
; MemoryBound: 0
; FloatMode: 240
; IeeeMode: 1
; LDSByteSize: 0 bytes/workgroup (compile time only)
; SGPRBlocks: 3
; VGPRBlocks: 2
; NumSGPRsForWavesPerEU: 26
; NumVGPRsForWavesPerEU: 22
; AccumOffset: 24
; Occupancy: 8
; WaveLimiterHint : 0
; COMPUTE_PGM_RSRC2:SCRATCH_EN: 0
; COMPUTE_PGM_RSRC2:USER_SGPR: 6
; COMPUTE_PGM_RSRC2:TRAP_HANDLER: 0
; COMPUTE_PGM_RSRC2:TGID_X_EN: 1
; COMPUTE_PGM_RSRC2:TGID_Y_EN: 0
; COMPUTE_PGM_RSRC2:TGID_Z_EN: 0
; COMPUTE_PGM_RSRC2:TIDIG_COMP_CNT: 1
; COMPUTE_PGM_RSRC3_GFX90A:ACCUM_OFFSET: 5
; COMPUTE_PGM_RSRC3_GFX90A:TG_SPLIT: 0
	.section	.text._ZN4vllm3moe17topkGatingSoftmaxIfLi4ELi4ELi8ELi16ELb0ELi8ELNS0_23SharedExpertScoringFuncE1EEEvPKT_PKbPfiPiS9_iiiiii,"axG",@progbits,_ZN4vllm3moe17topkGatingSoftmaxIfLi4ELi4ELi8ELi16ELb0ELi8ELNS0_23SharedExpertScoringFuncE1EEEvPKT_PKbPfiPiS9_iiiiii,comdat
	.protected	_ZN4vllm3moe17topkGatingSoftmaxIfLi4ELi4ELi8ELi16ELb0ELi8ELNS0_23SharedExpertScoringFuncE1EEEvPKT_PKbPfiPiS9_iiiiii ; -- Begin function _ZN4vllm3moe17topkGatingSoftmaxIfLi4ELi4ELi8ELi16ELb0ELi8ELNS0_23SharedExpertScoringFuncE1EEEvPKT_PKbPfiPiS9_iiiiii
	.globl	_ZN4vllm3moe17topkGatingSoftmaxIfLi4ELi4ELi8ELi16ELb0ELi8ELNS0_23SharedExpertScoringFuncE1EEEvPKT_PKbPfiPiS9_iiiiii
	.p2align	8
	.type	_ZN4vllm3moe17topkGatingSoftmaxIfLi4ELi4ELi8ELi16ELb0ELi8ELNS0_23SharedExpertScoringFuncE1EEEvPKT_PKbPfiPiS9_iiiiii,@function
_ZN4vllm3moe17topkGatingSoftmaxIfLi4ELi4ELi8ELi16ELb0ELi8ELNS0_23SharedExpertScoringFuncE1EEEvPKT_PKbPfiPiS9_iiiiii: ; @_ZN4vllm3moe17topkGatingSoftmaxIfLi4ELi4ELi8ELi16ELb0ELi8ELNS0_23SharedExpertScoringFuncE1EEEvPKT_PKbPfiPiS9_iiiiii
; %bb.0:
	s_load_dword s20, s[4:5], 0x18
	v_bfe_u32 v1, v0, 10, 10
	s_lshl_b32 s21, s6, 9
	v_lshlrev_b32_e32 v17, 6, v1
	v_and_b32_e32 v18, 0x3ff, v0
	v_add3_u32 v19, v17, v18, s21
	s_waitcnt lgkmcnt(0)
	v_cmp_gt_i32_e32 vcc, s20, v19
	s_and_saveexec_b64 s[0:1], vcc
	s_cbranch_execz .LBB30_19
; %bb.1:
	s_load_dwordx4 s[0:3], s[4:5], 0x0
	s_load_dwordx2 s[12:13], s[4:5], 0x10
	s_waitcnt lgkmcnt(0)
	s_cmp_eq_u64 s[2:3], 0
	s_cbranch_scc1 .LBB30_3
; %bb.2:
	v_ashrrev_i32_e32 v1, 31, v19
	v_mov_b32_e32 v2, s3
	v_add_co_u32_e32 v0, vcc, s2, v19
	v_addc_co_u32_e32 v1, vcc, v2, v1, vcc
	global_load_ubyte v0, v[0:1], off
	s_waitcnt vmcnt(0)
	v_and_b32_e32 v0, 1, v0
	v_cmp_eq_u32_e32 vcc, 1, v0
	s_xor_b64 s[2:3], vcc, -1
	s_orn2_b64 s[14:15], s[2:3], exec
	s_branch .LBB30_4
.LBB30_3:
	s_mov_b64 s[14:15], -1
.LBB30_4:
	s_load_dwordx2 s[16:17], s[4:5], 0x40
	s_load_dwordx4 s[8:11], s[4:5], 0x30
	v_mov_b32_e32 v2, s1
	s_mov_b32 s2, 0x42ce8ed0
	s_mov_b32 s3, 0xc2b17218
	s_waitcnt lgkmcnt(0)
	v_mul_lo_u32 v0, v19, s17
	v_ashrrev_i32_e32 v1, 31, v0
	v_lshlrev_b64 v[0:1], 2, v[0:1]
	v_add_co_u32_e32 v6, vcc, s0, v0
	v_addc_co_u32_e32 v7, vcc, v2, v1, vcc
	global_load_dword v5, v[6:7], off offset:16
	global_load_dwordx4 v[0:3], v[6:7], off
	s_mov_b32 s0, 0xbfb8aa3b
	v_mov_b32_e32 v16, 0x7f800000
	v_mul_lo_u32 v4, v19, s11
	v_mov_b32_e32 v10, s13
	s_cmp_gt_i32 s8, 0
	s_cselect_b64 s[18:19], -1, 0
	s_cmp_lt_i32 s8, 1
	s_waitcnt vmcnt(1)
	v_mul_f32_e32 v8, 0xbfb8aa3b, v5
	v_fma_f32 v9, v5, s0, -v8
	v_rndne_f32_e32 v11, v8
	v_fmac_f32_e32 v9, 0xb2a5705f, v5
	v_sub_f32_e32 v8, v8, v11
	v_add_f32_e32 v8, v8, v9
	v_cvt_i32_f32_e32 v11, v11
	v_exp_f32_e32 v12, v8
	v_cmp_nlt_f32_e32 vcc, s2, v5
	v_add_u32_e32 v8, s8, v4
	v_ashrrev_i32_e32 v9, 31, v8
	v_ldexp_f32 v11, v12, v11
	v_cndmask_b32_e32 v11, 0, v11, vcc
	v_cmp_ngt_f32_e32 vcc, s3, v5
	v_cndmask_b32_e32 v5, v16, v11, vcc
	v_add_f32_e32 v5, 1.0, v5
	v_div_scale_f32 v11, s[6:7], v5, v5, 1.0
	v_rcp_f32_e32 v12, v11
	v_lshlrev_b64 v[8:9], 2, v[8:9]
	v_add_co_u32_e32 v8, vcc, s12, v8
	v_addc_co_u32_e32 v9, vcc, v10, v9, vcc
	v_fma_f32 v13, -v11, v12, 1.0
	v_div_scale_f32 v10, vcc, 1.0, v5, 1.0
	v_fmac_f32_e32 v12, v13, v12
	v_mul_f32_e32 v13, v10, v12
	v_fma_f32 v14, -v11, v13, v10
	v_fmac_f32_e32 v13, v14, v12
	v_fma_f32 v10, -v11, v13, v10
	v_div_fmas_f32 v10, v10, v12, v13
	v_div_fixup_f32 v5, v10, v5, 1.0
	global_store_dword v[8:9], v5, off
	global_load_dword v5, v[6:7], off offset:20
	s_waitcnt vmcnt(0)
	v_mul_f32_e32 v10, 0xbfb8aa3b, v5
	v_fma_f32 v11, v5, s0, -v10
	v_rndne_f32_e32 v12, v10
	v_fmac_f32_e32 v11, 0xb2a5705f, v5
	v_sub_f32_e32 v10, v10, v12
	v_add_f32_e32 v10, v10, v11
	v_cvt_i32_f32_e32 v12, v12
	v_exp_f32_e32 v10, v10
	v_cmp_nlt_f32_e32 vcc, s2, v5
	v_ldexp_f32 v10, v10, v12
	v_cndmask_b32_e32 v10, 0, v10, vcc
	v_cmp_ngt_f32_e32 vcc, s3, v5
	v_cndmask_b32_e32 v5, v16, v10, vcc
	v_add_f32_e32 v5, 1.0, v5
	v_div_scale_f32 v10, s[6:7], v5, v5, 1.0
	v_rcp_f32_e32 v11, v10
	v_div_scale_f32 v12, vcc, 1.0, v5, 1.0
	v_fma_f32 v13, -v10, v11, 1.0
	v_fmac_f32_e32 v11, v13, v11
	v_mul_f32_e32 v13, v12, v11
	v_fma_f32 v14, -v10, v13, v12
	v_fmac_f32_e32 v13, v14, v11
	v_fma_f32 v10, -v10, v13, v12
	v_div_fmas_f32 v10, v10, v11, v13
	v_div_fixup_f32 v5, v10, v5, 1.0
	global_store_dword v[8:9], v5, off offset:4
	global_load_dword v5, v[6:7], off offset:24
	s_waitcnt vmcnt(0)
	v_mul_f32_e32 v10, 0xbfb8aa3b, v5
	v_fma_f32 v11, v5, s0, -v10
	v_rndne_f32_e32 v12, v10
	v_fmac_f32_e32 v11, 0xb2a5705f, v5
	v_sub_f32_e32 v10, v10, v12
	v_add_f32_e32 v10, v10, v11
	v_cvt_i32_f32_e32 v12, v12
	v_exp_f32_e32 v10, v10
	v_cmp_nlt_f32_e32 vcc, s2, v5
	v_ldexp_f32 v10, v10, v12
	v_cndmask_b32_e32 v10, 0, v10, vcc
	v_cmp_ngt_f32_e32 vcc, s3, v5
	v_cndmask_b32_e32 v5, v16, v10, vcc
	v_add_f32_e32 v5, 1.0, v5
	v_div_scale_f32 v10, s[6:7], v5, v5, 1.0
	v_rcp_f32_e32 v11, v10
	v_div_scale_f32 v12, vcc, 1.0, v5, 1.0
	v_fma_f32 v13, -v10, v11, 1.0
	v_fmac_f32_e32 v11, v13, v11
	v_mul_f32_e32 v13, v12, v11
	v_fma_f32 v14, -v10, v13, v12
	v_fmac_f32_e32 v13, v14, v11
	v_fma_f32 v10, -v10, v13, v12
	v_div_fmas_f32 v10, v10, v11, v13
	v_div_fixup_f32 v5, v10, v5, 1.0
	global_store_dword v[8:9], v5, off offset:8
	global_load_dword v5, v[6:7], off offset:28
	s_waitcnt vmcnt(0)
	v_mul_f32_e32 v10, 0xbfb8aa3b, v5
	v_fma_f32 v11, v5, s0, -v10
	v_rndne_f32_e32 v12, v10
	v_fmac_f32_e32 v11, 0xb2a5705f, v5
	v_sub_f32_e32 v10, v10, v12
	v_add_f32_e32 v10, v10, v11
	v_cvt_i32_f32_e32 v12, v12
	v_exp_f32_e32 v10, v10
	v_cmp_nlt_f32_e32 vcc, s2, v5
	v_ldexp_f32 v10, v10, v12
	v_cndmask_b32_e32 v10, 0, v10, vcc
	v_cmp_ngt_f32_e32 vcc, s3, v5
	v_cndmask_b32_e32 v5, v16, v10, vcc
	v_add_f32_e32 v5, 1.0, v5
	v_div_scale_f32 v10, s[6:7], v5, v5, 1.0
	v_rcp_f32_e32 v11, v10
	v_div_scale_f32 v12, vcc, 1.0, v5, 1.0
	v_fma_f32 v13, -v10, v11, 1.0
	v_fmac_f32_e32 v11, v13, v11
	v_mul_f32_e32 v13, v12, v11
	v_fma_f32 v14, -v10, v13, v12
	v_fmac_f32_e32 v13, v14, v11
	v_fma_f32 v10, -v10, v13, v12
	v_div_fmas_f32 v10, v10, v11, v13
	v_div_fixup_f32 v5, v10, v5, 1.0
	global_store_dword v[8:9], v5, off offset:12
	global_load_dword v5, v[6:7], off offset:32
	s_waitcnt vmcnt(0)
	v_mul_f32_e32 v10, 0xbfb8aa3b, v5
	v_fma_f32 v11, v5, s0, -v10
	v_rndne_f32_e32 v12, v10
	v_fmac_f32_e32 v11, 0xb2a5705f, v5
	v_sub_f32_e32 v10, v10, v12
	v_add_f32_e32 v10, v10, v11
	v_cvt_i32_f32_e32 v12, v12
	v_exp_f32_e32 v10, v10
	v_cmp_nlt_f32_e32 vcc, s2, v5
	v_ldexp_f32 v10, v10, v12
	v_cndmask_b32_e32 v10, 0, v10, vcc
	v_cmp_ngt_f32_e32 vcc, s3, v5
	v_cndmask_b32_e32 v5, v16, v10, vcc
	v_add_f32_e32 v5, 1.0, v5
	v_div_scale_f32 v10, s[6:7], v5, v5, 1.0
	v_rcp_f32_e32 v11, v10
	v_div_scale_f32 v12, vcc, 1.0, v5, 1.0
	v_fma_f32 v13, -v10, v11, 1.0
	v_fmac_f32_e32 v11, v13, v11
	v_mul_f32_e32 v13, v12, v11
	v_fma_f32 v14, -v10, v13, v12
	v_fmac_f32_e32 v13, v14, v11
	v_fma_f32 v10, -v10, v13, v12
	v_div_fmas_f32 v10, v10, v11, v13
	v_div_fixup_f32 v5, v10, v5, 1.0
	global_store_dword v[8:9], v5, off offset:16
	global_load_dword v5, v[6:7], off offset:36
	s_waitcnt vmcnt(0)
	v_mul_f32_e32 v10, 0xbfb8aa3b, v5
	v_fma_f32 v11, v5, s0, -v10
	v_rndne_f32_e32 v12, v10
	v_fmac_f32_e32 v11, 0xb2a5705f, v5
	v_sub_f32_e32 v10, v10, v12
	v_add_f32_e32 v10, v10, v11
	v_cvt_i32_f32_e32 v12, v12
	v_exp_f32_e32 v10, v10
	v_cmp_nlt_f32_e32 vcc, s2, v5
	v_ldexp_f32 v10, v10, v12
	v_cndmask_b32_e32 v10, 0, v10, vcc
	v_cmp_ngt_f32_e32 vcc, s3, v5
	v_cndmask_b32_e32 v5, v16, v10, vcc
	v_add_f32_e32 v5, 1.0, v5
	v_div_scale_f32 v10, s[6:7], v5, v5, 1.0
	v_rcp_f32_e32 v11, v10
	v_div_scale_f32 v12, vcc, 1.0, v5, 1.0
	v_fma_f32 v13, -v10, v11, 1.0
	v_fmac_f32_e32 v11, v13, v11
	v_mul_f32_e32 v13, v12, v11
	v_fma_f32 v14, -v10, v13, v12
	v_fmac_f32_e32 v13, v14, v11
	v_fma_f32 v10, -v10, v13, v12
	v_div_fmas_f32 v10, v10, v11, v13
	v_div_fixup_f32 v5, v10, v5, 1.0
	global_store_dword v[8:9], v5, off offset:20
	global_load_dword v5, v[6:7], off offset:40
	s_waitcnt vmcnt(0)
	v_mul_f32_e32 v10, 0xbfb8aa3b, v5
	v_fma_f32 v11, v5, s0, -v10
	v_rndne_f32_e32 v12, v10
	v_fmac_f32_e32 v11, 0xb2a5705f, v5
	v_sub_f32_e32 v10, v10, v12
	v_add_f32_e32 v10, v10, v11
	v_cvt_i32_f32_e32 v12, v12
	v_exp_f32_e32 v10, v10
	v_cmp_nlt_f32_e32 vcc, s2, v5
	v_ldexp_f32 v10, v10, v12
	v_cndmask_b32_e32 v10, 0, v10, vcc
	v_cmp_ngt_f32_e32 vcc, s3, v5
	v_cndmask_b32_e32 v5, v16, v10, vcc
	v_add_f32_e32 v5, 1.0, v5
	v_div_scale_f32 v10, s[6:7], v5, v5, 1.0
	v_rcp_f32_e32 v11, v10
	v_div_scale_f32 v12, vcc, 1.0, v5, 1.0
	v_fma_f32 v13, -v10, v11, 1.0
	v_fmac_f32_e32 v11, v13, v11
	v_mul_f32_e32 v13, v12, v11
	v_fma_f32 v14, -v10, v13, v12
	v_fmac_f32_e32 v13, v14, v11
	v_fma_f32 v10, -v10, v13, v12
	v_div_fmas_f32 v10, v10, v11, v13
	v_div_fixup_f32 v5, v10, v5, 1.0
	global_store_dword v[8:9], v5, off offset:24
	global_load_dword v5, v[6:7], off offset:44
	v_mov_b32_e32 v7, 0
	s_waitcnt vmcnt(0)
	v_mul_f32_e32 v6, 0xbfb8aa3b, v5
	v_fma_f32 v10, v5, s0, -v6
	v_rndne_f32_e32 v11, v6
	v_fmac_f32_e32 v10, 0xb2a5705f, v5
	v_sub_f32_e32 v6, v6, v11
	v_add_f32_e32 v6, v6, v10
	v_cvt_i32_f32_e32 v11, v11
	v_exp_f32_e32 v6, v6
	v_cmp_nlt_f32_e32 vcc, s2, v5
	v_cmp_lt_f32_e64 s[0:1], v0, v1
	v_cndmask_b32_e64 v10, v0, v1, s[0:1]
	v_ldexp_f32 v6, v6, v11
	v_cndmask_b32_e32 v6, 0, v6, vcc
	v_cmp_ngt_f32_e32 vcc, s3, v5
	v_cndmask_b32_e32 v5, v16, v6, vcc
	v_add_f32_e32 v5, 1.0, v5
	v_div_scale_f32 v6, s[2:3], v5, v5, 1.0
	v_rcp_f32_e32 v11, v6
	v_div_scale_f32 v12, vcc, 1.0, v5, 1.0
	v_cmp_lt_f32_e64 s[2:3], v10, v2
	v_fma_f32 v13, -v6, v11, 1.0
	v_fmac_f32_e32 v11, v13, v11
	v_mul_f32_e32 v13, v12, v11
	v_fma_f32 v14, -v6, v13, v12
	v_fmac_f32_e32 v13, v14, v11
	v_cndmask_b32_e64 v10, v10, v2, s[2:3]
	v_fma_f32 v6, -v6, v13, v12
	v_div_fmas_f32 v6, v6, v11, v13
	v_cmp_lt_f32_e32 vcc, v10, v3
	v_div_fixup_f32 v5, v6, v5, 1.0
	v_cndmask_b32_e32 v6, v10, v3, vcc
	global_store_dword v[8:9], v5, off offset:28
	s_cbranch_scc1 .LBB30_8
; %bb.5:
	v_cndmask_b32_e64 v5, 0, 1, s[0:1]
	v_cndmask_b32_e64 v5, v5, 2, s[2:3]
	v_cndmask_b32_e64 v22, v5, 3, vcc
	v_sub_f32_e32 v5, v6, v6
	v_mul_f32_e32 v7, 0x3fb8aa3b, v5
	s_mov_b32 s11, 0x3fb8aa3b
	v_rndne_f32_e32 v9, v7
	v_sub_f32_e32 v10, v7, v9
	v_fma_f32 v7, v5, s11, -v7
	v_fmac_f32_e32 v7, 0x32a5705f, v5
	v_add_f32_e32 v7, v10, v7
	v_exp_f32_e32 v7, v7
	v_cvt_i32_f32_e32 v9, v9
	v_mul_lo_u32 v8, v19, s16
	v_cmp_le_i32_e32 vcc, s9, v22
	v_cmp_gt_i32_e64 s[0:1], s10, v22
	s_mov_b32 s16, 0xc2ce8ed0
	s_and_b64 s[2:3], vcc, s[0:1]
	v_ldexp_f32 v7, v7, v9
	v_cmp_ngt_f32_e32 vcc, s16, v5
	s_mov_b32 s17, 0x42b17218
	s_load_dwordx4 s[4:7], s[4:5], 0x20
	v_cndmask_b32_e32 v7, 0, v7, vcc
	v_cmp_nlt_f32_e32 vcc, s17, v5
	v_ashrrev_i32_e32 v5, 31, v4
	v_lshlrev_b64 v[12:13], 2, v[4:5]
	v_cndmask_b32_e32 v7, v16, v7, vcc
	v_mov_b32_e32 v5, s13
	v_add_co_u32_e32 v14, vcc, s12, v12
	v_addc_co_u32_e64 v15, s[0:1], v5, v13, vcc
	v_ashrrev_i32_e32 v9, 31, v8
	v_subrev_u32_e32 v5, s9, v22
	s_and_b64 s[0:1], s[14:15], s[2:3]
	v_lshlrev_b64 v[10:11], 2, v[8:9]
	v_mul_lo_u32 v20, v19, s8
	v_cndmask_b32_e64 v5, 4, v5, s[0:1]
	s_waitcnt lgkmcnt(0)
	v_mov_b32_e32 v9, s5
	v_add_co_u32_e64 v8, s[0:1], s4, v10
	v_addc_co_u32_e64 v9, s[0:1], v9, v11, s[0:1]
	v_ashrrev_i32_e32 v21, 31, v20
	global_store_dword v[8:9], v5, off
	v_lshlrev_b64 v[8:9], 2, v[20:21]
	v_mov_b32_e32 v5, s7
	v_add_co_u32_e64 v20, s[0:1], s6, v8
	v_addc_co_u32_e64 v21, s[0:1], v5, v9, s[0:1]
	v_mov_b32_e32 v5, 0xff800000
	v_cmp_ne_u32_e64 s[0:1], 3, v22
	v_cndmask_b32_e64 v3, v5, v3, s[0:1]
	v_cmp_ne_u32_e64 s[0:1], 2, v22
	v_cndmask_b32_e64 v2, v5, v2, s[0:1]
	;; [unrolled: 2-line block ×3, first 2 shown]
	v_cmp_ne_u32_e64 s[0:1], 0, v22
	s_cmp_eq_u32 s8, 1
	v_cndmask_b32_e64 v0, v5, v0, s[0:1]
	global_store_dword v[14:15], v7, off
	global_store_dword v[20:21], v19, off
	s_cbranch_scc1 .LBB30_8
; %bb.6:
	v_mov_b32_e32 v12, s7
	v_add_co_u32_e64 v8, s[0:1], s6, v8
	v_addc_co_u32_e64 v9, s[0:1], v9, v12, s[0:1]
	v_add_co_u32_e64 v8, s[0:1], 4, v8
	v_addc_co_u32_e64 v9, s[0:1], 0, v9, s[0:1]
	v_mov_b32_e32 v12, s5
	v_add_co_u32_e64 v10, s[0:1], s4, v10
	v_addc_co_u32_e64 v11, s[0:1], v11, v12, s[0:1]
	v_mov_b32_e32 v12, s13
	v_addc_co_u32_e32 v13, vcc, v13, v12, vcc
	v_add_co_u32_e64 v10, s[0:1], 4, v10
	v_add_co_u32_e32 v12, vcc, 4, v14
	s_add_i32 s21, s21, s20
	v_addc_co_u32_e64 v11, s[0:1], 0, v11, s[0:1]
	v_addc_co_u32_e32 v13, vcc, 0, v13, vcc
	s_add_i32 s4, s8, -1
	v_add3_u32 v14, s21, v18, v17
	v_mov_b32_e32 v15, 0x7f800000
.LBB30_7:                               ; =>This Inner Loop Header: Depth=1
	v_cmp_gt_f32_e32 vcc, v1, v0
	v_cndmask_b32_e32 v17, v0, v1, vcc
	v_cmp_gt_f32_e64 s[0:1], v2, v17
	v_cndmask_b32_e64 v17, v17, v2, s[0:1]
	v_cndmask_b32_e64 v18, 0, 1, vcc
	v_cmp_gt_f32_e32 vcc, v3, v17
	v_cndmask_b32_e64 v18, v18, 2, s[0:1]
	v_cndmask_b32_e64 v18, v18, 3, vcc
	v_cndmask_b32_e32 v17, v17, v3, vcc
	v_cmp_ne_u32_e64 s[2:3], 3, v18
	v_sub_f32_e32 v17, v17, v6
	v_cndmask_b32_e64 v3, v5, v3, s[2:3]
	v_cmp_ne_u32_e64 s[2:3], 2, v18
	v_cmp_le_i32_e32 vcc, s9, v18
	v_cmp_gt_i32_e64 s[0:1], s10, v18
	v_mul_f32_e32 v19, 0x3fb8aa3b, v17
	v_cndmask_b32_e64 v2, v5, v2, s[2:3]
	v_cmp_ne_u32_e64 s[2:3], 1, v18
	v_subrev_u32_e32 v20, s9, v18
	v_cndmask_b32_e64 v1, v5, v1, s[2:3]
	v_cmp_ne_u32_e64 s[2:3], 0, v18
	s_and_b64 s[0:1], vcc, s[0:1]
	v_fma_f32 v18, v17, s11, -v19
	v_rndne_f32_e32 v21, v19
	v_fmac_f32_e32 v18, 0x32a5705f, v17
	v_sub_f32_e32 v19, v19, v21
	s_and_b64 vcc, s[14:15], s[0:1]
	v_cndmask_b32_e32 v20, 4, v20, vcc
	v_add_f32_e32 v18, v19, v18
	v_cvt_i32_f32_e32 v21, v21
	global_store_dword v[10:11], v20, off
	global_store_dword v[8:9], v14, off
	v_add_co_u32_e32 v8, vcc, 4, v8
	v_exp_f32_e32 v18, v18
	v_addc_co_u32_e32 v9, vcc, 0, v9, vcc
	v_add_co_u32_e32 v10, vcc, 4, v10
	v_addc_co_u32_e32 v11, vcc, 0, v11, vcc
	v_ldexp_f32 v18, v18, v21
	v_cmp_ngt_f32_e32 vcc, s16, v17
	v_cndmask_b32_e32 v18, 0, v18, vcc
	v_cmp_nlt_f32_e32 vcc, s17, v17
	v_cndmask_b32_e32 v17, v15, v18, vcc
	s_add_i32 s4, s4, -1
	global_store_dword v[12:13], v17, off
	v_add_co_u32_e32 v12, vcc, 4, v12
	v_cndmask_b32_e64 v0, v5, v0, s[2:3]
	v_add_u32_e32 v14, s20, v14
	s_cmp_eq_u32 s4, 0
	v_add_f32_e32 v7, v7, v17
	v_addc_co_u32_e32 v13, vcc, 0, v13, vcc
	s_cbranch_scc0 .LBB30_7
.LBB30_8:
	v_pk_add_f32 v[0:1], v[0:1], v[6:7] op_sel_hi:[1,0] neg_lo:[0,1] neg_hi:[0,1]
	s_mov_b32 s0, 0x3fb8aa3b
	v_mul_f32_e32 v5, 0x3fb8aa3b, v1
	v_fma_f32 v8, v1, s0, -v5
	v_rndne_f32_e32 v9, v5
	v_fmac_f32_e32 v8, 0x32a5705f, v1
	v_sub_f32_e32 v5, v5, v9
	v_add_f32_e32 v5, v5, v8
	v_exp_f32_e32 v5, v5
	v_cvt_i32_f32_e32 v8, v9
	s_mov_b32 s1, 0xc2ce8ed0
	v_cmp_ngt_f32_e32 vcc, s1, v1
	s_mov_b32 s2, 0x42b17218
	v_ldexp_f32 v5, v5, v8
	v_mul_f32_e32 v8, 0x3fb8aa3b, v0
	v_fma_f32 v9, v0, s0, -v8
	v_rndne_f32_e32 v10, v8
	v_fmac_f32_e32 v9, 0x32a5705f, v0
	v_sub_f32_e32 v8, v8, v10
	v_add_f32_e32 v8, v8, v9
	v_exp_f32_e32 v8, v8
	v_cvt_i32_f32_e32 v9, v10
	v_cndmask_b32_e32 v5, 0, v5, vcc
	v_cmp_nlt_f32_e32 vcc, s2, v1
	v_sub_f32_e32 v2, v2, v6
	v_cndmask_b32_e32 v1, v16, v5, vcc
	v_ldexp_f32 v5, v8, v9
	v_mul_f32_e32 v8, 0x3fb8aa3b, v2
	v_fma_f32 v9, v2, s0, -v8
	v_rndne_f32_e32 v10, v8
	v_fmac_f32_e32 v9, 0x32a5705f, v2
	v_sub_f32_e32 v8, v8, v10
	v_add_f32_e32 v8, v8, v9
	v_exp_f32_e32 v8, v8
	v_cvt_i32_f32_e32 v9, v10
	v_cmp_ngt_f32_e32 vcc, s1, v0
	v_cndmask_b32_e32 v5, 0, v5, vcc
	v_cmp_nlt_f32_e32 vcc, s2, v0
	v_sub_f32_e32 v3, v3, v6
	v_cndmask_b32_e32 v0, v16, v5, vcc
	v_mul_f32_e32 v5, 0x3fb8aa3b, v3
	v_add_f32_e32 v0, v0, v1
	v_ldexp_f32 v1, v8, v9
	v_fma_f32 v6, v3, s0, -v5
	v_rndne_f32_e32 v8, v5
	v_fmac_f32_e32 v6, 0x32a5705f, v3
	v_sub_f32_e32 v5, v5, v8
	v_add_f32_e32 v5, v5, v6
	v_exp_f32_e32 v5, v5
	v_cvt_i32_f32_e32 v6, v8
	v_cmp_ngt_f32_e32 vcc, s1, v2
	v_cndmask_b32_e32 v1, 0, v1, vcc
	v_cmp_nlt_f32_e32 vcc, s2, v2
	v_cndmask_b32_e32 v1, v16, v1, vcc
	v_add_f32_e32 v0, v0, v1
	v_ldexp_f32 v1, v5, v6
	v_cmp_ngt_f32_e32 vcc, s1, v3
	v_cndmask_b32_e32 v1, 0, v1, vcc
	v_cmp_nlt_f32_e32 vcc, s2, v3
	v_cndmask_b32_e32 v1, v16, v1, vcc
	v_add_f32_e32 v0, v0, v1
	v_add_f32_e32 v0, v7, v0
	v_cmp_neq_f32_e32 vcc, 0, v0
	s_and_b64 exec, exec, vcc
	s_cbranch_execz .LBB30_19
; %bb.9:
	s_andn2_b64 vcc, exec, s[18:19]
	s_cbranch_vccnz .LBB30_19
; %bb.10:
	v_div_scale_f32 v1, s[0:1], v0, v0, 1.0
	v_rcp_f32_e32 v2, v1
	v_div_scale_f32 v3, vcc, 1.0, v0, 1.0
	s_cmp_gt_u32 s8, 3
	v_fma_f32 v5, -v1, v2, 1.0
	v_fmac_f32_e32 v2, v5, v2
	v_mul_f32_e32 v5, v3, v2
	v_fma_f32 v6, -v1, v5, v3
	v_fmac_f32_e32 v5, v6, v2
	v_fma_f32 v1, -v1, v5, v3
	v_div_fmas_f32 v1, v1, v2, v5
	v_div_fixup_f32 v0, v1, v0, 1.0
	v_ashrrev_i32_e32 v5, 31, v4
	s_cbranch_scc0 .LBB30_14
; %bb.11:
	v_lshlrev_b64 v[2:3], 2, v[4:5]
	v_mov_b32_e32 v6, s13
	v_add_co_u32_e32 v2, vcc, s12, v2
	v_addc_co_u32_e32 v3, vcc, v3, v6, vcc
	s_and_b32 s4, s8, 0x7ffffffc
	v_add_co_u32_e32 v2, vcc, 8, v2
	v_mov_b32_e32 v1, v0
	v_addc_co_u32_e32 v3, vcc, 0, v3, vcc
	s_mov_b32 s0, s4
.LBB30_12:                              ; =>This Inner Loop Header: Depth=1
	global_load_dwordx4 v[6:9], v[2:3], off offset:-8
	s_add_i32 s0, s0, -4
	s_cmp_lg_u32 s0, 0
	s_waitcnt vmcnt(0)
	v_pk_mul_f32 v[6:7], v[0:1], v[6:7]
	v_pk_mul_f32 v[8:9], v[0:1], v[8:9]
	global_store_dwordx4 v[2:3], v[6:9], off offset:-8
	v_add_co_u32_e32 v2, vcc, 16, v2
	v_addc_co_u32_e32 v3, vcc, 0, v3, vcc
	s_cbranch_scc1 .LBB30_12
; %bb.13:
	s_cmp_lg_u32 s4, s8
	s_cselect_b64 s[0:1], -1, 0
	s_branch .LBB30_16
.LBB30_14:
	s_mov_b64 s[0:1], 0
                                        ; implicit-def: $sgpr4
	s_cbranch_execz .LBB30_16
; %bb.15:
	s_mov_b64 s[0:1], -1
	s_mov_b32 s4, 0
.LBB30_16:
	s_andn2_b64 vcc, exec, s[0:1]
	s_cbranch_vccnz .LBB30_19
; %bb.17:
	v_add_co_u32_e32 v2, vcc, s4, v4
	v_addc_co_u32_e32 v3, vcc, 0, v5, vcc
	v_lshlrev_b64 v[2:3], 2, v[2:3]
	v_mov_b32_e32 v1, s13
	v_add_co_u32_e32 v2, vcc, s12, v2
	s_sub_i32 s0, s8, s4
	v_addc_co_u32_e32 v3, vcc, v1, v3, vcc
.LBB30_18:                              ; =>This Inner Loop Header: Depth=1
	global_load_dword v1, v[2:3], off
	s_add_i32 s0, s0, -1
	s_cmp_lg_u32 s0, 0
	s_waitcnt vmcnt(0)
	v_mul_f32_e32 v1, v0, v1
	global_store_dword v[2:3], v1, off
	v_add_co_u32_e32 v2, vcc, 4, v2
	v_addc_co_u32_e32 v3, vcc, 0, v3, vcc
	s_cbranch_scc1 .LBB30_18
.LBB30_19:
	s_endpgm
	.section	.rodata,"a",@progbits
	.p2align	6, 0x0
	.amdhsa_kernel _ZN4vllm3moe17topkGatingSoftmaxIfLi4ELi4ELi8ELi16ELb0ELi8ELNS0_23SharedExpertScoringFuncE1EEEvPKT_PKbPfiPiS9_iiiiii
		.amdhsa_group_segment_fixed_size 0
		.amdhsa_private_segment_fixed_size 0
		.amdhsa_kernarg_size 72
		.amdhsa_user_sgpr_count 6
		.amdhsa_user_sgpr_private_segment_buffer 1
		.amdhsa_user_sgpr_dispatch_ptr 0
		.amdhsa_user_sgpr_queue_ptr 0
		.amdhsa_user_sgpr_kernarg_segment_ptr 1
		.amdhsa_user_sgpr_dispatch_id 0
		.amdhsa_user_sgpr_flat_scratch_init 0
		.amdhsa_user_sgpr_kernarg_preload_length 0
		.amdhsa_user_sgpr_kernarg_preload_offset 0
		.amdhsa_user_sgpr_private_segment_size 0
		.amdhsa_uses_dynamic_stack 0
		.amdhsa_system_sgpr_private_segment_wavefront_offset 0
		.amdhsa_system_sgpr_workgroup_id_x 1
		.amdhsa_system_sgpr_workgroup_id_y 0
		.amdhsa_system_sgpr_workgroup_id_z 0
		.amdhsa_system_sgpr_workgroup_info 0
		.amdhsa_system_vgpr_workitem_id 1
		.amdhsa_next_free_vgpr 23
		.amdhsa_next_free_sgpr 22
		.amdhsa_accum_offset 24
		.amdhsa_reserve_vcc 1
		.amdhsa_reserve_flat_scratch 0
		.amdhsa_float_round_mode_32 0
		.amdhsa_float_round_mode_16_64 0
		.amdhsa_float_denorm_mode_32 3
		.amdhsa_float_denorm_mode_16_64 3
		.amdhsa_dx10_clamp 1
		.amdhsa_ieee_mode 1
		.amdhsa_fp16_overflow 0
		.amdhsa_tg_split 0
		.amdhsa_exception_fp_ieee_invalid_op 0
		.amdhsa_exception_fp_denorm_src 0
		.amdhsa_exception_fp_ieee_div_zero 0
		.amdhsa_exception_fp_ieee_overflow 0
		.amdhsa_exception_fp_ieee_underflow 0
		.amdhsa_exception_fp_ieee_inexact 0
		.amdhsa_exception_int_div_zero 0
	.end_amdhsa_kernel
	.section	.text._ZN4vllm3moe17topkGatingSoftmaxIfLi4ELi4ELi8ELi16ELb0ELi8ELNS0_23SharedExpertScoringFuncE1EEEvPKT_PKbPfiPiS9_iiiiii,"axG",@progbits,_ZN4vllm3moe17topkGatingSoftmaxIfLi4ELi4ELi8ELi16ELb0ELi8ELNS0_23SharedExpertScoringFuncE1EEEvPKT_PKbPfiPiS9_iiiiii,comdat
.Lfunc_end30:
	.size	_ZN4vllm3moe17topkGatingSoftmaxIfLi4ELi4ELi8ELi16ELb0ELi8ELNS0_23SharedExpertScoringFuncE1EEEvPKT_PKbPfiPiS9_iiiiii, .Lfunc_end30-_ZN4vllm3moe17topkGatingSoftmaxIfLi4ELi4ELi8ELi16ELb0ELi8ELNS0_23SharedExpertScoringFuncE1EEEvPKT_PKbPfiPiS9_iiiiii
                                        ; -- End function
	.section	.AMDGPU.csdata,"",@progbits
; Kernel info:
; codeLenInByte = 3060
; NumSgprs: 26
; NumVgprs: 23
; NumAgprs: 0
; TotalNumVgprs: 23
; ScratchSize: 0
; MemoryBound: 0
; FloatMode: 240
; IeeeMode: 1
; LDSByteSize: 0 bytes/workgroup (compile time only)
; SGPRBlocks: 3
; VGPRBlocks: 2
; NumSGPRsForWavesPerEU: 26
; NumVGPRsForWavesPerEU: 23
; AccumOffset: 24
; Occupancy: 8
; WaveLimiterHint : 0
; COMPUTE_PGM_RSRC2:SCRATCH_EN: 0
; COMPUTE_PGM_RSRC2:USER_SGPR: 6
; COMPUTE_PGM_RSRC2:TRAP_HANDLER: 0
; COMPUTE_PGM_RSRC2:TGID_X_EN: 1
; COMPUTE_PGM_RSRC2:TGID_Y_EN: 0
; COMPUTE_PGM_RSRC2:TGID_Z_EN: 0
; COMPUTE_PGM_RSRC2:TIDIG_COMP_CNT: 1
; COMPUTE_PGM_RSRC3_GFX90A:ACCUM_OFFSET: 5
; COMPUTE_PGM_RSRC3_GFX90A:TG_SPLIT: 0
	.section	.text._ZN4vllm3moe17topkGatingSoftmaxIfLi8ELi8ELi8ELi32ELb1ELi0ELNS0_23SharedExpertScoringFuncE0EEEvPKT_PKbPfiPiS9_iiiiii,"axG",@progbits,_ZN4vllm3moe17topkGatingSoftmaxIfLi8ELi8ELi8ELi32ELb1ELi0ELNS0_23SharedExpertScoringFuncE0EEEvPKT_PKbPfiPiS9_iiiiii,comdat
	.protected	_ZN4vllm3moe17topkGatingSoftmaxIfLi8ELi8ELi8ELi32ELb1ELi0ELNS0_23SharedExpertScoringFuncE0EEEvPKT_PKbPfiPiS9_iiiiii ; -- Begin function _ZN4vllm3moe17topkGatingSoftmaxIfLi8ELi8ELi8ELi32ELb1ELi0ELNS0_23SharedExpertScoringFuncE0EEEvPKT_PKbPfiPiS9_iiiiii
	.globl	_ZN4vllm3moe17topkGatingSoftmaxIfLi8ELi8ELi8ELi32ELb1ELi0ELNS0_23SharedExpertScoringFuncE0EEEvPKT_PKbPfiPiS9_iiiiii
	.p2align	8
	.type	_ZN4vllm3moe17topkGatingSoftmaxIfLi8ELi8ELi8ELi32ELb1ELi0ELNS0_23SharedExpertScoringFuncE0EEEvPKT_PKbPfiPiS9_iiiiii,@function
_ZN4vllm3moe17topkGatingSoftmaxIfLi8ELi8ELi8ELi32ELb1ELi0ELNS0_23SharedExpertScoringFuncE0EEEvPKT_PKbPfiPiS9_iiiiii: ; @_ZN4vllm3moe17topkGatingSoftmaxIfLi8ELi8ELi8ELi32ELb1ELi0ELNS0_23SharedExpertScoringFuncE0EEEvPKT_PKbPfiPiS9_iiiiii
; %bb.0:
	s_load_dword s28, s[4:5], 0x18
	v_bfe_u32 v1, v0, 10, 10
	s_lshl_b32 s6, s6, 9
	v_lshlrev_b32_e32 v18, 6, v1
	v_and_b32_e32 v19, 0x3ff, v0
	v_add3_u32 v16, v18, v19, s6
	s_waitcnt lgkmcnt(0)
	v_cmp_gt_i32_e32 vcc, s28, v16
	s_and_saveexec_b64 s[0:1], vcc
	s_cbranch_execz .LBB31_20
; %bb.1:
	s_load_dwordx4 s[0:3], s[4:5], 0x0
	s_load_dwordx2 s[18:19], s[4:5], 0x10
	s_waitcnt lgkmcnt(0)
	s_cmp_eq_u64 s[2:3], 0
	s_cbranch_scc1 .LBB31_3
; %bb.2:
	v_ashrrev_i32_e32 v1, 31, v16
	v_mov_b32_e32 v2, s3
	v_add_co_u32_e32 v0, vcc, s2, v16
	v_addc_co_u32_e32 v1, vcc, v2, v1, vcc
	global_load_ubyte v0, v[0:1], off
	s_waitcnt vmcnt(0)
	v_and_b32_e32 v0, 1, v0
	v_cmp_eq_u32_e32 vcc, 1, v0
	s_xor_b64 s[2:3], vcc, -1
	s_orn2_b64 s[26:27], s[2:3], exec
	s_branch .LBB31_4
.LBB31_3:
	s_mov_b64 s[26:27], -1
.LBB31_4:
	s_load_dwordx4 s[20:23], s[4:5], 0x30
	s_waitcnt lgkmcnt(0)
	s_cmp_gt_i32 s20, 0
	s_cselect_b64 s[24:25], -1, 0
	s_cmp_lt_i32 s20, 1
	s_cbranch_scc1 .LBB31_9
; %bb.5:
	s_load_dwordx2 s[2:3], s[4:5], 0x40
	s_load_dwordx4 s[8:11], s[4:5], 0x20
	v_mov_b32_e32 v2, s1
	v_mul_lo_u32 v10, v16, s20
	v_mov_b32_e32 v15, s19
	s_waitcnt lgkmcnt(0)
	v_mul_lo_u32 v0, v16, s3
	v_ashrrev_i32_e32 v1, 31, v0
	v_lshlrev_b64 v[0:1], 2, v[0:1]
	v_add_co_u32_e32 v8, vcc, s0, v0
	v_addc_co_u32_e32 v9, vcc, v2, v1, vcc
	global_load_dwordx4 v[0:3], v[8:9], off
	global_load_dwordx4 v[4:7], v[8:9], off offset:16
	v_mul_lo_u32 v8, v16, s23
	v_ashrrev_i32_e32 v9, 31, v8
	v_lshlrev_b64 v[12:13], 2, v[8:9]
	v_ashrrev_i32_e32 v11, 31, v10
	v_add_co_u32_e32 v14, vcc, s18, v12
	v_lshlrev_b64 v[8:9], 2, v[10:11]
	v_addc_co_u32_e64 v15, s[0:1], v15, v13, vcc
	v_mul_lo_u32 v10, v16, s2
	v_mov_b32_e32 v20, s11
	v_ashrrev_i32_e32 v11, 31, v10
	v_add_co_u32_e64 v24, s[0:1], s10, v8
	v_addc_co_u32_e64 v25, s[0:1], v20, v9, s[0:1]
	v_lshlrev_b64 v[10:11], 2, v[10:11]
	v_mov_b32_e32 v12, s9
	v_add_co_u32_e64 v26, s[0:1], s8, v10
	v_addc_co_u32_e64 v27, s[0:1], v12, v11, s[0:1]
	s_mov_b32 s29, 0x3fb8aa3b
	s_mov_b32 s30, 0xc2ce8ed0
	;; [unrolled: 1-line block ×3, first 2 shown]
	v_mov_b32_e32 v17, 0x7f800000
	s_waitcnt vmcnt(1)
	v_cmp_lt_f32_e64 s[0:1], v0, v1
	v_cndmask_b32_e64 v20, v0, v1, s[0:1]
	v_cndmask_b32_e64 v12, 0, 1, s[0:1]
	v_cmp_lt_f32_e64 s[0:1], v20, v2
	v_cndmask_b32_e64 v20, v20, v2, s[0:1]
	v_cndmask_b32_e64 v12, v12, 2, s[0:1]
	;; [unrolled: 3-line block ×3, first 2 shown]
	s_waitcnt vmcnt(0)
	v_cmp_lt_f32_e64 s[0:1], v20, v4
	v_cndmask_b32_e64 v20, v20, v4, s[0:1]
	v_cndmask_b32_e64 v12, v12, 4, s[0:1]
	v_cmp_lt_f32_e64 s[0:1], v20, v5
	v_cndmask_b32_e64 v20, v20, v5, s[0:1]
	v_cndmask_b32_e64 v12, v12, 5, s[0:1]
	;; [unrolled: 3-line block ×3, first 2 shown]
	v_cmp_lt_f32_e64 s[0:1], v20, v7
	v_cndmask_b32_e64 v21, v20, v7, s[0:1]
	v_sub_f32_e32 v20, v21, v21
	v_mul_f32_e32 v23, 0x3fb8aa3b, v20
	v_fma_f32 v28, v20, s29, -v23
	v_rndne_f32_e32 v29, v23
	v_fmac_f32_e32 v28, 0x32a5705f, v20
	v_sub_f32_e32 v23, v23, v29
	v_cndmask_b32_e64 v22, v12, 7, s[0:1]
	v_add_f32_e32 v23, v23, v28
	v_cmp_le_i32_e64 s[0:1], s21, v22
	v_cmp_gt_i32_e64 s[2:3], s22, v22
	v_cvt_i32_f32_e32 v29, v29
	v_exp_f32_e32 v23, v23
	s_and_b64 s[0:1], s[0:1], s[2:3]
	v_subrev_u32_e32 v12, s21, v22
	s_and_b64 s[0:1], s[26:27], s[0:1]
	v_cndmask_b32_e64 v12, 8, v12, s[0:1]
	global_store_dword v[26:27], v12, off
	v_ldexp_f32 v12, v23, v29
	v_cmp_ngt_f32_e64 s[0:1], s30, v20
	v_cndmask_b32_e64 v12, 0, v12, s[0:1]
	v_cmp_nlt_f32_e64 s[0:1], s31, v20
	s_cmp_eq_u32 s20, 1
	v_cndmask_b32_e64 v20, v17, v12, s[0:1]
	global_store_dword v[14:15], v20, off
	global_store_dword v[24:25], v16, off
	s_cbranch_scc1 .LBB31_8
; %bb.6:
	v_mov_b32_e32 v12, s11
	v_add_co_u32_e64 v8, s[4:5], s10, v8
	v_addc_co_u32_e64 v9, s[4:5], v9, v12, s[4:5]
	v_add_co_u32_e64 v8, s[4:5], 4, v8
	v_addc_co_u32_e64 v9, s[4:5], 0, v9, s[4:5]
	v_mov_b32_e32 v15, 0xff800000
	v_cmp_ne_u32_e64 s[0:1], 7, v22
	v_mov_b32_e32 v12, s9
	v_add_co_u32_e64 v10, s[4:5], s8, v10
	v_cndmask_b32_e64 v7, v15, v7, s[0:1]
	v_cmp_ne_u32_e64 s[0:1], 6, v22
	v_addc_co_u32_e64 v11, s[4:5], v11, v12, s[4:5]
	v_mov_b32_e32 v12, s19
	v_cndmask_b32_e64 v6, v15, v6, s[0:1]
	v_cmp_ne_u32_e64 s[0:1], 5, v22
	v_addc_co_u32_e32 v13, vcc, v13, v12, vcc
	v_cndmask_b32_e64 v5, v15, v5, s[0:1]
	v_cmp_ne_u32_e64 s[0:1], 4, v22
	v_add_co_u32_e32 v12, vcc, 4, v14
	v_cndmask_b32_e64 v4, v15, v4, s[0:1]
	v_cmp_ne_u32_e64 s[0:1], 3, v22
	v_addc_co_u32_e32 v13, vcc, 0, v13, vcc
	v_cndmask_b32_e64 v3, v15, v3, s[0:1]
	v_cmp_ne_u32_e64 s[0:1], 1, v22
	v_cmp_ne_u32_e64 s[2:3], 0, v22
	v_add_co_u32_e64 v10, s[4:5], 4, v10
	s_add_i32 s6, s6, s28
	v_cmp_ne_u32_e32 vcc, 2, v22
	v_addc_co_u32_e64 v11, s[4:5], 0, v11, s[4:5]
	v_add3_u32 v14, s6, v19, v18
	v_cndmask_b32_e32 v2, v15, v2, vcc
	s_add_i32 s33, s20, -1
	v_cndmask_b32_e64 v1, v15, v1, s[0:1]
	v_cndmask_b32_e64 v0, v15, v0, s[2:3]
.LBB31_7:                               ; =>This Inner Loop Header: Depth=1
	v_cmp_gt_f32_e32 vcc, v1, v0
	v_cndmask_b32_e32 v18, v0, v1, vcc
	v_cmp_gt_f32_e64 s[0:1], v2, v18
	v_cndmask_b32_e64 v18, v18, v2, s[0:1]
	v_cmp_gt_f32_e64 s[2:3], v3, v18
	v_cndmask_b32_e64 v18, v18, v3, s[2:3]
	;; [unrolled: 2-line block ×6, first 2 shown]
	v_sub_f32_e32 v18, v18, v21
	v_mul_f32_e32 v19, 0x3fb8aa3b, v18
	v_fma_f32 v22, v18, s29, -v19
	v_rndne_f32_e32 v23, v19
	v_fmac_f32_e32 v22, 0x32a5705f, v18
	v_sub_f32_e32 v19, v19, v23
	v_add_f32_e32 v19, v19, v22
	v_cndmask_b32_e64 v22, 0, 1, vcc
	v_cndmask_b32_e64 v22, v22, 2, s[0:1]
	v_cndmask_b32_e64 v22, v22, 3, s[2:3]
	;; [unrolled: 1-line block ×6, first 2 shown]
	v_cmp_le_i32_e32 vcc, s21, v22
	v_cmp_gt_i32_e64 s[0:1], s22, v22
	s_and_b64 s[0:1], vcc, s[0:1]
	v_cmp_ne_u32_e64 s[2:3], 7, v22
	v_cmp_ne_u32_e64 s[4:5], 6, v22
	;; [unrolled: 1-line block ×8, first 2 shown]
	v_subrev_u32_e32 v22, s21, v22
	s_and_b64 vcc, s[26:27], s[0:1]
	v_cndmask_b32_e32 v22, 8, v22, vcc
	global_store_dword v[10:11], v22, off
	v_cvt_i32_f32_e32 v22, v23
	v_exp_f32_e32 v19, v19
	v_cmp_ngt_f32_e32 vcc, s30, v18
	global_store_dword v[8:9], v14, off
	s_add_i32 s33, s33, -1
	v_ldexp_f32 v19, v19, v22
	v_cndmask_b32_e32 v19, 0, v19, vcc
	v_cmp_nlt_f32_e32 vcc, s31, v18
	v_cndmask_b32_e32 v18, v17, v19, vcc
	v_add_co_u32_e32 v8, vcc, 4, v8
	v_addc_co_u32_e32 v9, vcc, 0, v9, vcc
	v_add_co_u32_e32 v10, vcc, 4, v10
	v_addc_co_u32_e32 v11, vcc, 0, v11, vcc
	global_store_dword v[12:13], v18, off
	v_add_co_u32_e32 v12, vcc, 4, v12
	v_add_f32_e32 v20, v20, v18
	v_cndmask_b32_e64 v7, v15, v7, s[2:3]
	v_cndmask_b32_e64 v6, v15, v6, s[4:5]
	;; [unrolled: 1-line block ×8, first 2 shown]
	v_add_u32_e32 v14, s28, v14
	s_cmp_eq_u32 s33, 0
	v_addc_co_u32_e32 v13, vcc, 0, v13, vcc
	s_cbranch_scc0 .LBB31_7
.LBB31_8:
	v_cmp_neq_f32_e32 vcc, 0, v20
	s_and_b64 exec, exec, vcc
	s_cbranch_execnz .LBB31_10
	s_branch .LBB31_20
.LBB31_9:
	v_mov_b32_e32 v20, 0
	v_cmp_neq_f32_e32 vcc, 0, v20
	s_and_b64 exec, exec, vcc
	s_cbranch_execz .LBB31_20
.LBB31_10:
	s_andn2_b64 vcc, exec, s[24:25]
	s_cbranch_vccnz .LBB31_20
; %bb.11:
	v_div_scale_f32 v0, s[0:1], v20, v20, 1.0
	v_rcp_f32_e32 v1, v0
	v_div_scale_f32 v2, vcc, 1.0, v20, 1.0
	s_cmp_gt_u32 s20, 3
	v_fma_f32 v3, -v0, v1, 1.0
	v_fmac_f32_e32 v1, v3, v1
	v_mul_f32_e32 v3, v2, v1
	v_fma_f32 v4, -v0, v3, v2
	v_fmac_f32_e32 v3, v4, v1
	v_fma_f32 v0, -v0, v3, v2
	v_div_fmas_f32 v0, v0, v1, v3
	v_mul_lo_u32 v2, v16, s23
	v_div_fixup_f32 v0, v0, v20, 1.0
	v_ashrrev_i32_e32 v3, 31, v2
	s_cbranch_scc0 .LBB31_15
; %bb.12:
	v_lshlrev_b64 v[4:5], 2, v[2:3]
	v_mov_b32_e32 v6, s19
	v_add_co_u32_e32 v4, vcc, s18, v4
	v_addc_co_u32_e32 v5, vcc, v5, v6, vcc
	s_and_b32 s4, s20, 0x7ffffffc
	v_add_co_u32_e32 v4, vcc, 8, v4
	v_mov_b32_e32 v1, v0
	v_addc_co_u32_e32 v5, vcc, 0, v5, vcc
	s_mov_b32 s0, s4
.LBB31_13:                              ; =>This Inner Loop Header: Depth=1
	global_load_dwordx4 v[6:9], v[4:5], off offset:-8
	s_add_i32 s0, s0, -4
	s_cmp_lg_u32 s0, 0
	s_waitcnt vmcnt(0)
	v_pk_mul_f32 v[6:7], v[0:1], v[6:7]
	v_pk_mul_f32 v[8:9], v[0:1], v[8:9]
	global_store_dwordx4 v[4:5], v[6:9], off offset:-8
	v_add_co_u32_e32 v4, vcc, 16, v4
	v_addc_co_u32_e32 v5, vcc, 0, v5, vcc
	s_cbranch_scc1 .LBB31_13
; %bb.14:
	s_cmp_lg_u32 s4, s20
	s_cselect_b64 s[0:1], -1, 0
	s_branch .LBB31_17
.LBB31_15:
	s_mov_b64 s[0:1], 0
                                        ; implicit-def: $sgpr4
	s_cbranch_execz .LBB31_17
; %bb.16:
	s_mov_b64 s[0:1], -1
	s_mov_b32 s4, 0
.LBB31_17:
	s_andn2_b64 vcc, exec, s[0:1]
	s_cbranch_vccnz .LBB31_20
; %bb.18:
	v_add_co_u32_e32 v2, vcc, s4, v2
	v_addc_co_u32_e32 v3, vcc, 0, v3, vcc
	v_lshlrev_b64 v[2:3], 2, v[2:3]
	v_mov_b32_e32 v1, s19
	v_add_co_u32_e32 v2, vcc, s18, v2
	s_sub_i32 s0, s20, s4
	v_addc_co_u32_e32 v3, vcc, v1, v3, vcc
.LBB31_19:                              ; =>This Inner Loop Header: Depth=1
	global_load_dword v1, v[2:3], off
	s_add_i32 s0, s0, -1
	s_cmp_lg_u32 s0, 0
	s_waitcnt vmcnt(0)
	v_mul_f32_e32 v1, v0, v1
	global_store_dword v[2:3], v1, off
	v_add_co_u32_e32 v2, vcc, 4, v2
	v_addc_co_u32_e32 v3, vcc, 0, v3, vcc
	s_cbranch_scc1 .LBB31_19
.LBB31_20:
	s_endpgm
	.section	.rodata,"a",@progbits
	.p2align	6, 0x0
	.amdhsa_kernel _ZN4vllm3moe17topkGatingSoftmaxIfLi8ELi8ELi8ELi32ELb1ELi0ELNS0_23SharedExpertScoringFuncE0EEEvPKT_PKbPfiPiS9_iiiiii
		.amdhsa_group_segment_fixed_size 0
		.amdhsa_private_segment_fixed_size 0
		.amdhsa_kernarg_size 72
		.amdhsa_user_sgpr_count 6
		.amdhsa_user_sgpr_private_segment_buffer 1
		.amdhsa_user_sgpr_dispatch_ptr 0
		.amdhsa_user_sgpr_queue_ptr 0
		.amdhsa_user_sgpr_kernarg_segment_ptr 1
		.amdhsa_user_sgpr_dispatch_id 0
		.amdhsa_user_sgpr_flat_scratch_init 0
		.amdhsa_user_sgpr_kernarg_preload_length 0
		.amdhsa_user_sgpr_kernarg_preload_offset 0
		.amdhsa_user_sgpr_private_segment_size 0
		.amdhsa_uses_dynamic_stack 0
		.amdhsa_system_sgpr_private_segment_wavefront_offset 0
		.amdhsa_system_sgpr_workgroup_id_x 1
		.amdhsa_system_sgpr_workgroup_id_y 0
		.amdhsa_system_sgpr_workgroup_id_z 0
		.amdhsa_system_sgpr_workgroup_info 0
		.amdhsa_system_vgpr_workitem_id 1
		.amdhsa_next_free_vgpr 30
		.amdhsa_next_free_sgpr 34
		.amdhsa_accum_offset 32
		.amdhsa_reserve_vcc 1
		.amdhsa_reserve_flat_scratch 0
		.amdhsa_float_round_mode_32 0
		.amdhsa_float_round_mode_16_64 0
		.amdhsa_float_denorm_mode_32 3
		.amdhsa_float_denorm_mode_16_64 3
		.amdhsa_dx10_clamp 1
		.amdhsa_ieee_mode 1
		.amdhsa_fp16_overflow 0
		.amdhsa_tg_split 0
		.amdhsa_exception_fp_ieee_invalid_op 0
		.amdhsa_exception_fp_denorm_src 0
		.amdhsa_exception_fp_ieee_div_zero 0
		.amdhsa_exception_fp_ieee_overflow 0
		.amdhsa_exception_fp_ieee_underflow 0
		.amdhsa_exception_fp_ieee_inexact 0
		.amdhsa_exception_int_div_zero 0
	.end_amdhsa_kernel
	.section	.text._ZN4vllm3moe17topkGatingSoftmaxIfLi8ELi8ELi8ELi32ELb1ELi0ELNS0_23SharedExpertScoringFuncE0EEEvPKT_PKbPfiPiS9_iiiiii,"axG",@progbits,_ZN4vllm3moe17topkGatingSoftmaxIfLi8ELi8ELi8ELi32ELb1ELi0ELNS0_23SharedExpertScoringFuncE0EEEvPKT_PKbPfiPiS9_iiiiii,comdat
.Lfunc_end31:
	.size	_ZN4vllm3moe17topkGatingSoftmaxIfLi8ELi8ELi8ELi32ELb1ELi0ELNS0_23SharedExpertScoringFuncE0EEEvPKT_PKbPfiPiS9_iiiiii, .Lfunc_end31-_ZN4vllm3moe17topkGatingSoftmaxIfLi8ELi8ELi8ELi32ELb1ELi0ELNS0_23SharedExpertScoringFuncE0EEEvPKT_PKbPfiPiS9_iiiiii
                                        ; -- End function
	.section	.AMDGPU.csdata,"",@progbits
; Kernel info:
; codeLenInByte = 1748
; NumSgprs: 38
; NumVgprs: 30
; NumAgprs: 0
; TotalNumVgprs: 30
; ScratchSize: 0
; MemoryBound: 0
; FloatMode: 240
; IeeeMode: 1
; LDSByteSize: 0 bytes/workgroup (compile time only)
; SGPRBlocks: 4
; VGPRBlocks: 3
; NumSGPRsForWavesPerEU: 38
; NumVGPRsForWavesPerEU: 30
; AccumOffset: 32
; Occupancy: 8
; WaveLimiterHint : 0
; COMPUTE_PGM_RSRC2:SCRATCH_EN: 0
; COMPUTE_PGM_RSRC2:USER_SGPR: 6
; COMPUTE_PGM_RSRC2:TRAP_HANDLER: 0
; COMPUTE_PGM_RSRC2:TGID_X_EN: 1
; COMPUTE_PGM_RSRC2:TGID_Y_EN: 0
; COMPUTE_PGM_RSRC2:TGID_Z_EN: 0
; COMPUTE_PGM_RSRC2:TIDIG_COMP_CNT: 1
; COMPUTE_PGM_RSRC3_GFX90A:ACCUM_OFFSET: 7
; COMPUTE_PGM_RSRC3_GFX90A:TG_SPLIT: 0
	.section	.text._ZN4vllm3moe17topkGatingSoftmaxIfLi8ELi8ELi8ELi32ELb0ELi0ELNS0_23SharedExpertScoringFuncE0EEEvPKT_PKbPfiPiS9_iiiiii,"axG",@progbits,_ZN4vllm3moe17topkGatingSoftmaxIfLi8ELi8ELi8ELi32ELb0ELi0ELNS0_23SharedExpertScoringFuncE0EEEvPKT_PKbPfiPiS9_iiiiii,comdat
	.protected	_ZN4vllm3moe17topkGatingSoftmaxIfLi8ELi8ELi8ELi32ELb0ELi0ELNS0_23SharedExpertScoringFuncE0EEEvPKT_PKbPfiPiS9_iiiiii ; -- Begin function _ZN4vllm3moe17topkGatingSoftmaxIfLi8ELi8ELi8ELi32ELb0ELi0ELNS0_23SharedExpertScoringFuncE0EEEvPKT_PKbPfiPiS9_iiiiii
	.globl	_ZN4vllm3moe17topkGatingSoftmaxIfLi8ELi8ELi8ELi32ELb0ELi0ELNS0_23SharedExpertScoringFuncE0EEEvPKT_PKbPfiPiS9_iiiiii
	.p2align	8
	.type	_ZN4vllm3moe17topkGatingSoftmaxIfLi8ELi8ELi8ELi32ELb0ELi0ELNS0_23SharedExpertScoringFuncE0EEEvPKT_PKbPfiPiS9_iiiiii,@function
_ZN4vllm3moe17topkGatingSoftmaxIfLi8ELi8ELi8ELi32ELb0ELi0ELNS0_23SharedExpertScoringFuncE0EEEvPKT_PKbPfiPiS9_iiiiii: ; @_ZN4vllm3moe17topkGatingSoftmaxIfLi8ELi8ELi8ELi32ELb0ELi0ELNS0_23SharedExpertScoringFuncE0EEEvPKT_PKbPfiPiS9_iiiiii
; %bb.0:
	s_load_dword s30, s[4:5], 0x18
	v_bfe_u32 v1, v0, 10, 10
	s_lshl_b32 s31, s6, 9
	v_lshlrev_b32_e32 v20, 6, v1
	v_and_b32_e32 v21, 0x3ff, v0
	v_add3_u32 v9, v20, v21, s31
	s_waitcnt lgkmcnt(0)
	v_cmp_gt_i32_e32 vcc, s30, v9
	s_and_saveexec_b64 s[0:1], vcc
	s_cbranch_execz .LBB32_20
; %bb.1:
	s_load_dwordx4 s[0:3], s[4:5], 0x0
	s_load_dwordx2 s[14:15], s[4:5], 0x10
	s_waitcnt lgkmcnt(0)
	s_cmp_eq_u64 s[2:3], 0
	s_cbranch_scc1 .LBB32_3
; %bb.2:
	v_ashrrev_i32_e32 v1, 31, v9
	v_mov_b32_e32 v2, s3
	v_add_co_u32_e32 v0, vcc, s2, v9
	v_addc_co_u32_e32 v1, vcc, v2, v1, vcc
	global_load_ubyte v0, v[0:1], off
	s_waitcnt vmcnt(0)
	v_and_b32_e32 v0, 1, v0
	v_cmp_eq_u32_e32 vcc, 1, v0
	s_xor_b64 s[2:3], vcc, -1
	s_orn2_b64 s[26:27], s[2:3], exec
	s_branch .LBB32_4
.LBB32_3:
	s_mov_b64 s[26:27], -1
.LBB32_4:
	s_load_dwordx2 s[28:29], s[4:5], 0x40
	s_load_dwordx4 s[16:19], s[4:5], 0x30
	v_mov_b32_e32 v2, s1
	s_waitcnt lgkmcnt(0)
	v_mul_lo_u32 v0, v9, s29
	v_ashrrev_i32_e32 v1, 31, v0
	v_lshlrev_b64 v[0:1], 2, v[0:1]
	v_add_co_u32_e32 v10, vcc, s0, v0
	v_addc_co_u32_e32 v11, vcc, v2, v1, vcc
	global_load_dwordx4 v[4:7], v[10:11], off
	global_load_dwordx4 v[0:3], v[10:11], off offset:16
	s_cmp_gt_i32 s16, 0
	s_cselect_b64 s[24:25], -1, 0
	s_cmp_lt_i32 s16, 1
	s_waitcnt vmcnt(1)
	v_cmp_lt_f32_e32 vcc, v4, v5
	v_cndmask_b32_e32 v8, v4, v5, vcc
	v_cmp_lt_f32_e64 s[0:1], v8, v6
	v_cndmask_b32_e64 v8, v8, v6, s[0:1]
	v_cmp_lt_f32_e64 s[2:3], v8, v7
	v_cndmask_b32_e64 v8, v8, v7, s[2:3]
	s_waitcnt vmcnt(0)
	v_cmp_lt_f32_e64 s[6:7], v8, v0
	v_cndmask_b32_e64 v8, v8, v0, s[6:7]
	v_cmp_lt_f32_e64 s[8:9], v8, v1
	v_cndmask_b32_e64 v8, v8, v1, s[8:9]
	;; [unrolled: 2-line block ×4, first 2 shown]
	s_cbranch_scc1 .LBB32_8
; %bb.5:
	v_sub_f32_e32 v11, v8, v8
	v_mul_f32_e32 v13, 0x3fb8aa3b, v11
	s_load_dwordx4 s[20:23], s[4:5], 0x20
	v_cndmask_b32_e64 v10, 0, 1, vcc
	s_mov_b32 s4, 0x3fb8aa3b
	v_rndne_f32_e32 v14, v13
	v_cndmask_b32_e64 v10, v10, 2, s[0:1]
	v_sub_f32_e32 v15, v13, v14
	v_fma_f32 v13, v11, s4, -v13
	v_cndmask_b32_e64 v10, v10, 3, s[2:3]
	v_fmac_f32_e32 v13, 0x32a5705f, v11
	v_cndmask_b32_e64 v10, v10, 4, s[6:7]
	v_add_f32_e32 v13, v15, v13
	v_cndmask_b32_e64 v10, v10, 5, s[8:9]
	v_exp_f32_e32 v13, v13
	v_cvt_i32_f32_e32 v14, v14
	v_cndmask_b32_e64 v10, v10, 6, s[10:11]
	v_cndmask_b32_e64 v24, v10, 7, s[12:13]
	v_cmp_le_i32_e32 vcc, s17, v24
	v_cmp_gt_i32_e64 s[0:1], s18, v24
	s_mov_b32 s5, 0xc2ce8ed0
	v_mul_lo_u32 v10, v9, s19
	s_and_b64 s[2:3], vcc, s[0:1]
	v_ldexp_f32 v13, v13, v14
	v_cmp_ngt_f32_e32 vcc, s5, v11
	s_mov_b32 s6, 0x42b17218
	v_cndmask_b32_e32 v13, 0, v13, vcc
	v_cmp_nlt_f32_e32 vcc, s6, v11
	v_ashrrev_i32_e32 v11, 31, v10
	v_mov_b32_e32 v19, 0x7f800000
	v_lshlrev_b64 v[14:15], 2, v[10:11]
	v_mul_lo_u32 v12, v9, s28
	v_cndmask_b32_e32 v18, v19, v13, vcc
	v_mov_b32_e32 v10, s15
	v_add_co_u32_e32 v16, vcc, s14, v14
	v_addc_co_u32_e64 v17, s[0:1], v10, v15, vcc
	v_ashrrev_i32_e32 v13, 31, v12
	v_subrev_u32_e32 v10, s17, v24
	s_and_b64 s[0:1], s[26:27], s[2:3]
	v_lshlrev_b64 v[12:13], 2, v[12:13]
	v_mul_lo_u32 v22, v9, s16
	v_cndmask_b32_e64 v14, 8, v10, s[0:1]
	s_waitcnt lgkmcnt(0)
	v_mov_b32_e32 v11, s21
	v_add_co_u32_e64 v10, s[0:1], s20, v12
	v_addc_co_u32_e64 v11, s[0:1], v11, v13, s[0:1]
	v_ashrrev_i32_e32 v23, 31, v22
	global_store_dword v[10:11], v14, off
	v_lshlrev_b64 v[10:11], 2, v[22:23]
	v_mov_b32_e32 v14, s23
	v_add_co_u32_e64 v22, s[0:1], s22, v10
	v_addc_co_u32_e64 v23, s[0:1], v14, v11, s[0:1]
	global_store_dword v[16:17], v18, off
	v_mov_b32_e32 v17, 0xff800000
	v_cmp_ne_u32_e64 s[0:1], 7, v24
	v_cndmask_b32_e64 v3, v17, v3, s[0:1]
	v_cmp_ne_u32_e64 s[0:1], 6, v24
	v_cndmask_b32_e64 v2, v17, v2, s[0:1]
	;; [unrolled: 2-line block ×7, first 2 shown]
	v_cmp_ne_u32_e64 s[0:1], 0, v24
	s_cmp_eq_u32 s16, 1
	v_cndmask_b32_e64 v4, v17, v4, s[0:1]
	global_store_dword v[22:23], v9, off
	s_cbranch_scc1 .LBB32_9
; %bb.6:
	v_mov_b32_e32 v14, s23
	v_add_co_u32_e64 v10, s[0:1], s22, v10
	v_addc_co_u32_e64 v11, s[0:1], v11, v14, s[0:1]
	v_add_co_u32_e64 v10, s[0:1], 4, v10
	v_addc_co_u32_e64 v11, s[0:1], 0, v11, s[0:1]
	v_mov_b32_e32 v14, s21
	v_add_co_u32_e64 v12, s[0:1], s20, v12
	v_addc_co_u32_e64 v13, s[0:1], v13, v14, s[0:1]
	v_mov_b32_e32 v14, s15
	v_addc_co_u32_e32 v15, vcc, v15, v14, vcc
	v_add_co_u32_e64 v12, s[0:1], 4, v12
	v_add_co_u32_e32 v14, vcc, 4, v16
	s_add_i32 s31, s31, s30
	v_addc_co_u32_e64 v13, s[0:1], 0, v13, s[0:1]
	v_addc_co_u32_e32 v15, vcc, 0, v15, vcc
	s_add_i32 s7, s16, -1
	v_add3_u32 v16, s31, v21, v20
.LBB32_7:                               ; =>This Inner Loop Header: Depth=1
	v_cmp_gt_f32_e32 vcc, v5, v4
	v_cndmask_b32_e32 v20, v4, v5, vcc
	v_cmp_gt_f32_e64 s[0:1], v6, v20
	v_cndmask_b32_e64 v20, v20, v6, s[0:1]
	v_cndmask_b32_e64 v21, 0, 1, vcc
	v_cmp_gt_f32_e32 vcc, v7, v20
	v_cndmask_b32_e32 v20, v20, v7, vcc
	v_cndmask_b32_e64 v21, v21, 2, s[0:1]
	v_cmp_gt_f32_e64 s[0:1], v0, v20
	v_cndmask_b32_e64 v20, v20, v0, s[0:1]
	v_cndmask_b32_e64 v21, v21, 3, vcc
	v_cmp_gt_f32_e32 vcc, v1, v20
	v_cndmask_b32_e32 v20, v20, v1, vcc
	v_cndmask_b32_e64 v21, v21, 4, s[0:1]
	v_cmp_gt_f32_e64 s[0:1], v2, v20
	v_cndmask_b32_e64 v20, v20, v2, s[0:1]
	v_cndmask_b32_e64 v21, v21, 5, vcc
	v_cmp_gt_f32_e32 vcc, v3, v20
	v_cndmask_b32_e64 v21, v21, 6, s[0:1]
	v_cndmask_b32_e64 v21, v21, 7, vcc
	v_cmp_ne_u32_e64 s[2:3], 7, v21
	v_cndmask_b32_e32 v20, v20, v3, vcc
	v_cndmask_b32_e64 v3, v17, v3, s[2:3]
	v_cmp_ne_u32_e64 s[2:3], 6, v21
	v_cndmask_b32_e64 v2, v17, v2, s[2:3]
	v_cmp_ne_u32_e64 s[2:3], 5, v21
	;; [unrolled: 2-line block ×4, first 2 shown]
	v_sub_f32_e32 v20, v20, v8
	v_cndmask_b32_e64 v7, v17, v7, s[2:3]
	v_cmp_ne_u32_e64 s[2:3], 2, v21
	v_cmp_le_i32_e32 vcc, s17, v21
	v_cmp_gt_i32_e64 s[0:1], s18, v21
	v_mul_f32_e32 v22, 0x3fb8aa3b, v20
	v_cndmask_b32_e64 v6, v17, v6, s[2:3]
	v_cmp_ne_u32_e64 s[2:3], 1, v21
	v_subrev_u32_e32 v23, s17, v21
	v_cndmask_b32_e64 v5, v17, v5, s[2:3]
	v_cmp_ne_u32_e64 s[2:3], 0, v21
	s_and_b64 s[0:1], vcc, s[0:1]
	v_fma_f32 v21, v20, s4, -v22
	v_rndne_f32_e32 v24, v22
	v_fmac_f32_e32 v21, 0x32a5705f, v20
	v_sub_f32_e32 v22, v22, v24
	s_and_b64 vcc, s[26:27], s[0:1]
	v_cndmask_b32_e32 v23, 8, v23, vcc
	v_add_f32_e32 v21, v22, v21
	v_cvt_i32_f32_e32 v24, v24
	global_store_dword v[12:13], v23, off
	global_store_dword v[10:11], v16, off
	v_add_co_u32_e32 v10, vcc, 4, v10
	v_exp_f32_e32 v21, v21
	v_addc_co_u32_e32 v11, vcc, 0, v11, vcc
	v_add_co_u32_e32 v12, vcc, 4, v12
	v_addc_co_u32_e32 v13, vcc, 0, v13, vcc
	v_ldexp_f32 v21, v21, v24
	v_cmp_ngt_f32_e32 vcc, s5, v20
	v_cndmask_b32_e32 v21, 0, v21, vcc
	v_cmp_nlt_f32_e32 vcc, s6, v20
	v_cndmask_b32_e32 v20, v19, v21, vcc
	s_add_i32 s7, s7, -1
	global_store_dword v[14:15], v20, off
	v_add_co_u32_e32 v14, vcc, 4, v14
	v_cndmask_b32_e64 v4, v17, v4, s[2:3]
	v_add_u32_e32 v16, s30, v16
	s_cmp_eq_u32 s7, 0
	v_add_f32_e32 v18, v18, v20
	v_addc_co_u32_e32 v15, vcc, 0, v15, vcc
	s_cbranch_scc0 .LBB32_7
	s_branch .LBB32_9
.LBB32_8:
	v_mov_b32_e32 v18, 0
.LBB32_9:
	v_pk_add_f32 v[4:5], v[4:5], v[8:9] op_sel_hi:[1,0] neg_lo:[0,1] neg_hi:[0,1]
	s_mov_b32 s0, 0x3fb8aa3b
	v_mul_f32_e32 v10, 0x3fb8aa3b, v5
	v_fma_f32 v11, v5, s0, -v10
	v_rndne_f32_e32 v12, v10
	v_fmac_f32_e32 v11, 0x32a5705f, v5
	v_sub_f32_e32 v10, v10, v12
	v_add_f32_e32 v10, v10, v11
	v_exp_f32_e32 v10, v10
	v_cvt_i32_f32_e32 v11, v12
	s_mov_b32 s1, 0xc2ce8ed0
	v_cmp_ngt_f32_e32 vcc, s1, v5
	s_mov_b32 s2, 0x42b17218
	v_ldexp_f32 v10, v10, v11
	v_mul_f32_e32 v11, 0x3fb8aa3b, v4
	v_fma_f32 v12, v4, s0, -v11
	v_rndne_f32_e32 v13, v11
	v_fmac_f32_e32 v12, 0x32a5705f, v4
	v_sub_f32_e32 v11, v11, v13
	v_add_f32_e32 v11, v11, v12
	v_exp_f32_e32 v11, v11
	v_cvt_i32_f32_e32 v12, v13
	v_cndmask_b32_e32 v10, 0, v10, vcc
	v_mov_b32_e32 v13, 0x7f800000
	v_cmp_nlt_f32_e32 vcc, s2, v5
	v_sub_f32_e32 v6, v6, v8
	v_cndmask_b32_e32 v5, v13, v10, vcc
	v_ldexp_f32 v10, v11, v12
	v_mul_f32_e32 v11, 0x3fb8aa3b, v6
	v_fma_f32 v12, v6, s0, -v11
	v_rndne_f32_e32 v14, v11
	v_fmac_f32_e32 v12, 0x32a5705f, v6
	v_sub_f32_e32 v11, v11, v14
	v_add_f32_e32 v11, v11, v12
	v_exp_f32_e32 v11, v11
	v_cvt_i32_f32_e32 v12, v14
	v_cmp_ngt_f32_e32 vcc, s1, v4
	v_cndmask_b32_e32 v10, 0, v10, vcc
	v_cmp_nlt_f32_e32 vcc, s2, v4
	v_sub_f32_e32 v7, v7, v8
	v_cndmask_b32_e32 v4, v13, v10, vcc
	v_mul_f32_e32 v10, 0x3fb8aa3b, v7
	v_add_f32_e32 v4, v4, v5
	v_ldexp_f32 v5, v11, v12
	v_fma_f32 v11, v7, s0, -v10
	v_rndne_f32_e32 v12, v10
	v_fmac_f32_e32 v11, 0x32a5705f, v7
	v_sub_f32_e32 v10, v10, v12
	v_add_f32_e32 v10, v10, v11
	v_exp_f32_e32 v10, v10
	v_cvt_i32_f32_e32 v11, v12
	v_cmp_ngt_f32_e32 vcc, s1, v6
	v_cndmask_b32_e32 v5, 0, v5, vcc
	v_cmp_nlt_f32_e32 vcc, s2, v6
	v_sub_f32_e32 v0, v0, v8
	v_cndmask_b32_e32 v5, v13, v5, vcc
	v_mul_f32_e32 v6, 0x3fb8aa3b, v0
	v_add_f32_e32 v4, v4, v5
	v_ldexp_f32 v5, v10, v11
	v_fma_f32 v10, v0, s0, -v6
	v_rndne_f32_e32 v11, v6
	v_fmac_f32_e32 v10, 0x32a5705f, v0
	v_sub_f32_e32 v6, v6, v11
	v_add_f32_e32 v6, v6, v10
	v_exp_f32_e32 v6, v6
	v_cvt_i32_f32_e32 v10, v11
	v_cmp_ngt_f32_e32 vcc, s1, v7
	v_cndmask_b32_e32 v5, 0, v5, vcc
	v_cmp_nlt_f32_e32 vcc, s2, v7
	v_cndmask_b32_e32 v5, v13, v5, vcc
	v_sub_f32_e32 v1, v1, v8
	v_add_f32_e32 v4, v4, v5
	v_ldexp_f32 v5, v6, v10
	v_mul_f32_e32 v6, 0x3fb8aa3b, v1
	v_fma_f32 v7, v1, s0, -v6
	v_rndne_f32_e32 v10, v6
	v_fmac_f32_e32 v7, 0x32a5705f, v1
	v_sub_f32_e32 v6, v6, v10
	v_add_f32_e32 v6, v6, v7
	v_exp_f32_e32 v6, v6
	v_cvt_i32_f32_e32 v7, v10
	v_cmp_ngt_f32_e32 vcc, s1, v0
	v_cndmask_b32_e32 v5, 0, v5, vcc
	v_cmp_nlt_f32_e32 vcc, s2, v0
	v_sub_f32_e32 v2, v2, v8
	v_cndmask_b32_e32 v0, v13, v5, vcc
	v_mul_f32_e32 v5, 0x3fb8aa3b, v2
	v_add_f32_e32 v0, v4, v0
	v_ldexp_f32 v4, v6, v7
	v_fma_f32 v6, v2, s0, -v5
	v_rndne_f32_e32 v7, v5
	v_fmac_f32_e32 v6, 0x32a5705f, v2
	v_sub_f32_e32 v5, v5, v7
	v_add_f32_e32 v5, v5, v6
	v_exp_f32_e32 v5, v5
	v_cvt_i32_f32_e32 v6, v7
	v_cmp_ngt_f32_e32 vcc, s1, v1
	v_cndmask_b32_e32 v4, 0, v4, vcc
	v_cmp_nlt_f32_e32 vcc, s2, v1
	v_sub_f32_e32 v3, v3, v8
	v_cndmask_b32_e32 v1, v13, v4, vcc
	v_mul_f32_e32 v4, 0x3fb8aa3b, v3
	v_add_f32_e32 v0, v0, v1
	v_ldexp_f32 v1, v5, v6
	v_fma_f32 v5, v3, s0, -v4
	v_rndne_f32_e32 v6, v4
	v_fmac_f32_e32 v5, 0x32a5705f, v3
	v_sub_f32_e32 v4, v4, v6
	v_add_f32_e32 v4, v4, v5
	v_exp_f32_e32 v4, v4
	v_cvt_i32_f32_e32 v5, v6
	v_cmp_ngt_f32_e32 vcc, s1, v2
	v_cndmask_b32_e32 v1, 0, v1, vcc
	v_cmp_nlt_f32_e32 vcc, s2, v2
	v_cndmask_b32_e32 v1, v13, v1, vcc
	v_add_f32_e32 v0, v0, v1
	v_ldexp_f32 v1, v4, v5
	v_cmp_ngt_f32_e32 vcc, s1, v3
	v_cndmask_b32_e32 v1, 0, v1, vcc
	v_cmp_nlt_f32_e32 vcc, s2, v3
	v_cndmask_b32_e32 v1, v13, v1, vcc
	v_add_f32_e32 v0, v0, v1
	v_add_f32_e32 v0, v18, v0
	v_cmp_neq_f32_e32 vcc, 0, v0
	s_and_b64 exec, exec, vcc
	s_cbranch_execz .LBB32_20
; %bb.10:
	s_andn2_b64 vcc, exec, s[24:25]
	s_cbranch_vccnz .LBB32_20
; %bb.11:
	v_div_scale_f32 v1, s[0:1], v0, v0, 1.0
	v_rcp_f32_e32 v2, v1
	v_div_scale_f32 v3, vcc, 1.0, v0, 1.0
	s_cmp_gt_u32 s16, 3
	v_fma_f32 v4, -v1, v2, 1.0
	v_fmac_f32_e32 v2, v4, v2
	v_mul_f32_e32 v4, v3, v2
	v_fma_f32 v5, -v1, v4, v3
	v_fmac_f32_e32 v4, v5, v2
	v_fma_f32 v1, -v1, v4, v3
	v_div_fmas_f32 v1, v1, v2, v4
	v_mul_lo_u32 v2, v9, s19
	v_div_fixup_f32 v0, v1, v0, 1.0
	v_ashrrev_i32_e32 v3, 31, v2
	s_cbranch_scc0 .LBB32_15
; %bb.12:
	v_lshlrev_b64 v[4:5], 2, v[2:3]
	v_mov_b32_e32 v6, s15
	v_add_co_u32_e32 v4, vcc, s14, v4
	v_addc_co_u32_e32 v5, vcc, v5, v6, vcc
	s_and_b32 s4, s16, 0x7ffffffc
	v_add_co_u32_e32 v4, vcc, 8, v4
	v_mov_b32_e32 v1, v0
	v_addc_co_u32_e32 v5, vcc, 0, v5, vcc
	s_mov_b32 s0, s4
.LBB32_13:                              ; =>This Inner Loop Header: Depth=1
	global_load_dwordx4 v[6:9], v[4:5], off offset:-8
	s_add_i32 s0, s0, -4
	s_cmp_lg_u32 s0, 0
	s_waitcnt vmcnt(0)
	v_pk_mul_f32 v[6:7], v[0:1], v[6:7]
	v_pk_mul_f32 v[8:9], v[0:1], v[8:9]
	global_store_dwordx4 v[4:5], v[6:9], off offset:-8
	v_add_co_u32_e32 v4, vcc, 16, v4
	v_addc_co_u32_e32 v5, vcc, 0, v5, vcc
	s_cbranch_scc1 .LBB32_13
; %bb.14:
	s_cmp_lg_u32 s4, s16
	s_cselect_b64 s[0:1], -1, 0
	s_branch .LBB32_17
.LBB32_15:
	s_mov_b64 s[0:1], 0
                                        ; implicit-def: $sgpr4
	s_cbranch_execz .LBB32_17
; %bb.16:
	s_mov_b64 s[0:1], -1
	s_mov_b32 s4, 0
.LBB32_17:
	s_andn2_b64 vcc, exec, s[0:1]
	s_cbranch_vccnz .LBB32_20
; %bb.18:
	v_add_co_u32_e32 v2, vcc, s4, v2
	v_addc_co_u32_e32 v3, vcc, 0, v3, vcc
	v_lshlrev_b64 v[2:3], 2, v[2:3]
	v_mov_b32_e32 v1, s15
	v_add_co_u32_e32 v2, vcc, s14, v2
	s_sub_i32 s0, s16, s4
	v_addc_co_u32_e32 v3, vcc, v1, v3, vcc
.LBB32_19:                              ; =>This Inner Loop Header: Depth=1
	global_load_dword v1, v[2:3], off
	s_add_i32 s0, s0, -1
	s_cmp_lg_u32 s0, 0
	s_waitcnt vmcnt(0)
	v_mul_f32_e32 v1, v0, v1
	global_store_dword v[2:3], v1, off
	v_add_co_u32_e32 v2, vcc, 4, v2
	v_addc_co_u32_e32 v3, vcc, 0, v3, vcc
	s_cbranch_scc1 .LBB32_19
.LBB32_20:
	s_endpgm
	.section	.rodata,"a",@progbits
	.p2align	6, 0x0
	.amdhsa_kernel _ZN4vllm3moe17topkGatingSoftmaxIfLi8ELi8ELi8ELi32ELb0ELi0ELNS0_23SharedExpertScoringFuncE0EEEvPKT_PKbPfiPiS9_iiiiii
		.amdhsa_group_segment_fixed_size 0
		.amdhsa_private_segment_fixed_size 0
		.amdhsa_kernarg_size 72
		.amdhsa_user_sgpr_count 6
		.amdhsa_user_sgpr_private_segment_buffer 1
		.amdhsa_user_sgpr_dispatch_ptr 0
		.amdhsa_user_sgpr_queue_ptr 0
		.amdhsa_user_sgpr_kernarg_segment_ptr 1
		.amdhsa_user_sgpr_dispatch_id 0
		.amdhsa_user_sgpr_flat_scratch_init 0
		.amdhsa_user_sgpr_kernarg_preload_length 0
		.amdhsa_user_sgpr_kernarg_preload_offset 0
		.amdhsa_user_sgpr_private_segment_size 0
		.amdhsa_uses_dynamic_stack 0
		.amdhsa_system_sgpr_private_segment_wavefront_offset 0
		.amdhsa_system_sgpr_workgroup_id_x 1
		.amdhsa_system_sgpr_workgroup_id_y 0
		.amdhsa_system_sgpr_workgroup_id_z 0
		.amdhsa_system_sgpr_workgroup_info 0
		.amdhsa_system_vgpr_workitem_id 1
		.amdhsa_next_free_vgpr 25
		.amdhsa_next_free_sgpr 32
		.amdhsa_accum_offset 28
		.amdhsa_reserve_vcc 1
		.amdhsa_reserve_flat_scratch 0
		.amdhsa_float_round_mode_32 0
		.amdhsa_float_round_mode_16_64 0
		.amdhsa_float_denorm_mode_32 3
		.amdhsa_float_denorm_mode_16_64 3
		.amdhsa_dx10_clamp 1
		.amdhsa_ieee_mode 1
		.amdhsa_fp16_overflow 0
		.amdhsa_tg_split 0
		.amdhsa_exception_fp_ieee_invalid_op 0
		.amdhsa_exception_fp_denorm_src 0
		.amdhsa_exception_fp_ieee_div_zero 0
		.amdhsa_exception_fp_ieee_overflow 0
		.amdhsa_exception_fp_ieee_underflow 0
		.amdhsa_exception_fp_ieee_inexact 0
		.amdhsa_exception_int_div_zero 0
	.end_amdhsa_kernel
	.section	.text._ZN4vllm3moe17topkGatingSoftmaxIfLi8ELi8ELi8ELi32ELb0ELi0ELNS0_23SharedExpertScoringFuncE0EEEvPKT_PKbPfiPiS9_iiiiii,"axG",@progbits,_ZN4vllm3moe17topkGatingSoftmaxIfLi8ELi8ELi8ELi32ELb0ELi0ELNS0_23SharedExpertScoringFuncE0EEEvPKT_PKbPfiPiS9_iiiiii,comdat
.Lfunc_end32:
	.size	_ZN4vllm3moe17topkGatingSoftmaxIfLi8ELi8ELi8ELi32ELb0ELi0ELNS0_23SharedExpertScoringFuncE0EEEvPKT_PKbPfiPiS9_iiiiii, .Lfunc_end32-_ZN4vllm3moe17topkGatingSoftmaxIfLi8ELi8ELi8ELi32ELb0ELi0ELNS0_23SharedExpertScoringFuncE0EEEvPKT_PKbPfiPiS9_iiiiii
                                        ; -- End function
	.section	.AMDGPU.csdata,"",@progbits
; Kernel info:
; codeLenInByte = 2332
; NumSgprs: 36
; NumVgprs: 25
; NumAgprs: 0
; TotalNumVgprs: 25
; ScratchSize: 0
; MemoryBound: 0
; FloatMode: 240
; IeeeMode: 1
; LDSByteSize: 0 bytes/workgroup (compile time only)
; SGPRBlocks: 4
; VGPRBlocks: 3
; NumSGPRsForWavesPerEU: 36
; NumVGPRsForWavesPerEU: 25
; AccumOffset: 28
; Occupancy: 8
; WaveLimiterHint : 0
; COMPUTE_PGM_RSRC2:SCRATCH_EN: 0
; COMPUTE_PGM_RSRC2:USER_SGPR: 6
; COMPUTE_PGM_RSRC2:TRAP_HANDLER: 0
; COMPUTE_PGM_RSRC2:TGID_X_EN: 1
; COMPUTE_PGM_RSRC2:TGID_Y_EN: 0
; COMPUTE_PGM_RSRC2:TGID_Z_EN: 0
; COMPUTE_PGM_RSRC2:TIDIG_COMP_CNT: 1
; COMPUTE_PGM_RSRC3_GFX90A:ACCUM_OFFSET: 6
; COMPUTE_PGM_RSRC3_GFX90A:TG_SPLIT: 0
	.section	.text._ZN4vllm3moe17topkGatingSoftmaxIfLi8ELi8ELi8ELi32ELb1ELi1ELNS0_23SharedExpertScoringFuncE1EEEvPKT_PKbPfiPiS9_iiiiii,"axG",@progbits,_ZN4vllm3moe17topkGatingSoftmaxIfLi8ELi8ELi8ELi32ELb1ELi1ELNS0_23SharedExpertScoringFuncE1EEEvPKT_PKbPfiPiS9_iiiiii,comdat
	.protected	_ZN4vllm3moe17topkGatingSoftmaxIfLi8ELi8ELi8ELi32ELb1ELi1ELNS0_23SharedExpertScoringFuncE1EEEvPKT_PKbPfiPiS9_iiiiii ; -- Begin function _ZN4vllm3moe17topkGatingSoftmaxIfLi8ELi8ELi8ELi32ELb1ELi1ELNS0_23SharedExpertScoringFuncE1EEEvPKT_PKbPfiPiS9_iiiiii
	.globl	_ZN4vllm3moe17topkGatingSoftmaxIfLi8ELi8ELi8ELi32ELb1ELi1ELNS0_23SharedExpertScoringFuncE1EEEvPKT_PKbPfiPiS9_iiiiii
	.p2align	8
	.type	_ZN4vllm3moe17topkGatingSoftmaxIfLi8ELi8ELi8ELi32ELb1ELi1ELNS0_23SharedExpertScoringFuncE1EEEvPKT_PKbPfiPiS9_iiiiii,@function
_ZN4vllm3moe17topkGatingSoftmaxIfLi8ELi8ELi8ELi32ELb1ELi1ELNS0_23SharedExpertScoringFuncE1EEEvPKT_PKbPfiPiS9_iiiiii: ; @_ZN4vllm3moe17topkGatingSoftmaxIfLi8ELi8ELi8ELi32ELb1ELi1ELNS0_23SharedExpertScoringFuncE1EEEvPKT_PKbPfiPiS9_iiiiii
; %bb.0:
	s_load_dword s28, s[4:5], 0x18
	v_bfe_u32 v1, v0, 10, 10
	s_lshl_b32 s6, s6, 9
	v_lshlrev_b32_e32 v19, 6, v1
	v_and_b32_e32 v20, 0x3ff, v0
	v_add3_u32 v22, v19, v20, s6
	s_waitcnt lgkmcnt(0)
	v_cmp_gt_i32_e32 vcc, s28, v22
	s_and_saveexec_b64 s[0:1], vcc
	s_cbranch_execz .LBB33_19
; %bb.1:
	s_load_dwordx4 s[0:3], s[4:5], 0x0
	s_load_dwordx2 s[18:19], s[4:5], 0x10
	s_waitcnt lgkmcnt(0)
	s_cmp_eq_u64 s[2:3], 0
	s_cbranch_scc1 .LBB33_3
; %bb.2:
	v_ashrrev_i32_e32 v1, 31, v22
	v_mov_b32_e32 v2, s3
	v_add_co_u32_e32 v0, vcc, s2, v22
	v_addc_co_u32_e32 v1, vcc, v2, v1, vcc
	global_load_ubyte v0, v[0:1], off
	s_waitcnt vmcnt(0)
	v_and_b32_e32 v0, 1, v0
	v_cmp_eq_u32_e32 vcc, 1, v0
	s_xor_b64 s[2:3], vcc, -1
	s_orn2_b64 s[24:25], s[2:3], exec
	s_branch .LBB33_4
.LBB33_3:
	s_mov_b64 s[24:25], -1
.LBB33_4:
	s_load_dwordx2 s[2:3], s[4:5], 0x40
	s_load_dwordx4 s[20:23], s[4:5], 0x30
	v_mov_b32_e32 v2, s1
	s_mov_b32 s1, 0x42ce8ed0
	v_mov_b32_e32 v13, s19
	s_waitcnt lgkmcnt(0)
	v_mul_lo_u32 v0, v22, s3
	v_ashrrev_i32_e32 v1, 31, v0
	v_lshlrev_b64 v[0:1], 2, v[0:1]
	v_add_co_u32_e32 v8, vcc, s0, v0
	v_addc_co_u32_e32 v9, vcc, v2, v1, vcc
	global_load_dword v12, v[8:9], off offset:32
	global_load_dwordx4 v[4:7], v[8:9], off offset:16
	global_load_dwordx4 v[0:3], v[8:9], off
	s_mov_b32 s0, 0xbfb8aa3b
	s_mov_b32 s3, 0xc2b17218
	v_mov_b32_e32 v9, 0x7f800000
	v_mul_lo_u32 v8, v22, s23
	v_add_u32_e32 v10, s20, v8
	s_cmp_gt_i32 s20, 0
	v_mov_b32_e32 v18, 0
	s_cselect_b64 s[26:27], -1, 0
	s_cmp_lt_i32 s20, 1
	s_waitcnt vmcnt(2)
	v_mul_f32_e32 v11, 0xbfb8aa3b, v12
	v_fma_f32 v14, v12, s0, -v11
	v_rndne_f32_e32 v15, v11
	v_fmac_f32_e32 v14, 0xb2a5705f, v12
	v_sub_f32_e32 v11, v11, v15
	v_add_f32_e32 v11, v11, v14
	v_cvt_i32_f32_e32 v15, v15
	v_exp_f32_e32 v14, v11
	v_cmp_nlt_f32_e32 vcc, s1, v12
	v_ashrrev_i32_e32 v11, 31, v10
	v_lshlrev_b64 v[10:11], 2, v[10:11]
	v_ldexp_f32 v14, v14, v15
	v_cndmask_b32_e32 v14, 0, v14, vcc
	v_cmp_ngt_f32_e32 vcc, s3, v12
	v_cndmask_b32_e32 v12, v9, v14, vcc
	v_add_f32_e32 v12, 1.0, v12
	v_div_scale_f32 v14, s[0:1], v12, v12, 1.0
	v_rcp_f32_e32 v15, v14
	v_add_co_u32_e32 v10, vcc, s18, v10
	v_addc_co_u32_e32 v11, vcc, v13, v11, vcc
	v_fma_f32 v16, -v14, v15, 1.0
	v_div_scale_f32 v13, vcc, 1.0, v12, 1.0
	v_fmac_f32_e32 v15, v16, v15
	v_mul_f32_e32 v16, v13, v15
	v_fma_f32 v17, -v14, v16, v13
	v_fmac_f32_e32 v16, v17, v15
	v_fma_f32 v13, -v14, v16, v13
	v_div_fmas_f32 v13, v13, v15, v16
	v_div_fixup_f32 v12, v13, v12, 1.0
	global_store_dword v[10:11], v12, off
	s_cbranch_scc1 .LBB33_8
; %bb.5:
	s_waitcnt vmcnt(1)
	v_cmp_lt_f32_e32 vcc, v0, v1
	v_cndmask_b32_e32 v11, v0, v1, vcc
	v_cndmask_b32_e64 v10, 0, 1, vcc
	v_cmp_lt_f32_e32 vcc, v11, v2
	v_cndmask_b32_e32 v11, v11, v2, vcc
	v_cndmask_b32_e64 v10, v10, 2, vcc
	;; [unrolled: 3-line block ×6, first 2 shown]
	v_cmp_lt_f32_e32 vcc, v11, v7
	v_cndmask_b32_e32 v21, v11, v7, vcc
	v_sub_f32_e32 v11, v21, v21
	s_mov_b32 s23, 0x3fb8aa3b
	v_mul_f32_e32 v12, 0x3fb8aa3b, v11
	v_fma_f32 v13, v11, s23, -v12
	v_rndne_f32_e32 v14, v12
	v_fmac_f32_e32 v13, 0x32a5705f, v11
	v_sub_f32_e32 v12, v12, v14
	v_add_f32_e32 v12, v12, v13
	v_exp_f32_e32 v12, v12
	v_cvt_i32_f32_e32 v13, v14
	v_cndmask_b32_e64 v23, v10, 7, vcc
	v_cmp_le_i32_e32 vcc, s21, v23
	v_cmp_gt_i32_e64 s[0:1], s22, v23
	s_mov_b32 s29, 0xc2ce8ed0
	v_mul_lo_u32 v10, v22, s2
	s_and_b64 s[2:3], vcc, s[0:1]
	v_ldexp_f32 v12, v12, v13
	v_cmp_ngt_f32_e32 vcc, s29, v11
	s_mov_b32 s30, 0x42b17218
	v_cndmask_b32_e32 v12, 0, v12, vcc
	v_cmp_nlt_f32_e32 vcc, s30, v11
	s_load_dwordx4 s[8:11], s[4:5], 0x20
	v_cndmask_b32_e32 v18, v9, v12, vcc
	v_ashrrev_i32_e32 v9, 31, v8
	v_lshlrev_b64 v[14:15], 2, v[8:9]
	v_mov_b32_e32 v9, s19
	v_add_co_u32_e32 v16, vcc, s18, v14
	v_addc_co_u32_e64 v17, s[0:1], v9, v15, vcc
	v_ashrrev_i32_e32 v11, 31, v10
	v_subrev_u32_e32 v9, s21, v23
	s_and_b64 s[0:1], s[24:25], s[2:3]
	v_lshlrev_b64 v[12:13], 2, v[10:11]
	v_mul_lo_u32 v24, v22, s20
	v_cndmask_b32_e64 v9, 8, v9, s[0:1]
	s_waitcnt lgkmcnt(0)
	v_mov_b32_e32 v11, s9
	v_add_co_u32_e64 v10, s[0:1], s8, v12
	v_addc_co_u32_e64 v11, s[0:1], v11, v13, s[0:1]
	v_ashrrev_i32_e32 v25, 31, v24
	global_store_dword v[10:11], v9, off
	v_lshlrev_b64 v[10:11], 2, v[24:25]
	v_mov_b32_e32 v9, s11
	v_add_co_u32_e64 v24, s[0:1], s10, v10
	v_addc_co_u32_e64 v25, s[0:1], v9, v11, s[0:1]
	s_cmp_eq_u32 s20, 1
	global_store_dword v[16:17], v18, off
	global_store_dword v[24:25], v22, off
	s_cbranch_scc1 .LBB33_8
; %bb.6:
	v_mov_b32_e32 v14, s11
	v_add_co_u32_e64 v10, s[4:5], s10, v10
	v_addc_co_u32_e64 v11, s[4:5], v11, v14, s[4:5]
	v_add_co_u32_e64 v10, s[4:5], 4, v10
	v_addc_co_u32_e64 v11, s[4:5], 0, v11, s[4:5]
	v_mov_b32_e32 v9, 0xff800000
	v_cmp_ne_u32_e64 s[0:1], 7, v23
	v_mov_b32_e32 v14, s9
	v_add_co_u32_e64 v12, s[4:5], s8, v12
	v_cndmask_b32_e64 v7, v9, v7, s[0:1]
	v_cmp_ne_u32_e64 s[0:1], 6, v23
	v_addc_co_u32_e64 v13, s[4:5], v13, v14, s[4:5]
	v_mov_b32_e32 v14, s19
	v_cndmask_b32_e64 v6, v9, v6, s[0:1]
	v_cmp_ne_u32_e64 s[0:1], 5, v23
	v_addc_co_u32_e32 v15, vcc, v15, v14, vcc
	v_cndmask_b32_e64 v5, v9, v5, s[0:1]
	v_cmp_ne_u32_e64 s[0:1], 4, v23
	v_add_co_u32_e32 v14, vcc, 4, v16
	v_cndmask_b32_e64 v4, v9, v4, s[0:1]
	v_cmp_ne_u32_e64 s[0:1], 3, v23
	v_addc_co_u32_e32 v15, vcc, 0, v15, vcc
	v_cndmask_b32_e64 v3, v9, v3, s[0:1]
	v_cmp_ne_u32_e64 s[0:1], 1, v23
	v_cmp_ne_u32_e64 s[2:3], 0, v23
	v_add_co_u32_e64 v12, s[4:5], 4, v12
	s_add_i32 s6, s6, s28
	v_cmp_ne_u32_e32 vcc, 2, v23
	v_addc_co_u32_e64 v13, s[4:5], 0, v13, s[4:5]
	v_add3_u32 v16, s6, v20, v19
	v_cndmask_b32_e32 v2, v9, v2, vcc
	s_add_i32 s31, s20, -1
	v_mov_b32_e32 v17, 0x7f800000
	v_cndmask_b32_e64 v1, v9, v1, s[0:1]
	v_cndmask_b32_e64 v0, v9, v0, s[2:3]
.LBB33_7:                               ; =>This Inner Loop Header: Depth=1
	v_cmp_gt_f32_e32 vcc, v1, v0
	v_cndmask_b32_e32 v19, v0, v1, vcc
	v_cmp_gt_f32_e64 s[0:1], v2, v19
	v_cndmask_b32_e64 v19, v19, v2, s[0:1]
	v_cmp_gt_f32_e64 s[2:3], v3, v19
	v_cndmask_b32_e64 v19, v19, v3, s[2:3]
	;; [unrolled: 2-line block ×6, first 2 shown]
	v_sub_f32_e32 v19, v19, v21
	v_mul_f32_e32 v20, 0x3fb8aa3b, v19
	v_fma_f32 v22, v19, s23, -v20
	v_rndne_f32_e32 v23, v20
	v_fmac_f32_e32 v22, 0x32a5705f, v19
	v_sub_f32_e32 v20, v20, v23
	v_add_f32_e32 v20, v20, v22
	v_cndmask_b32_e64 v22, 0, 1, vcc
	v_cndmask_b32_e64 v22, v22, 2, s[0:1]
	v_cndmask_b32_e64 v22, v22, 3, s[2:3]
	;; [unrolled: 1-line block ×6, first 2 shown]
	v_cmp_le_i32_e32 vcc, s21, v22
	v_cmp_gt_i32_e64 s[0:1], s22, v22
	s_and_b64 s[0:1], vcc, s[0:1]
	v_cmp_ne_u32_e64 s[2:3], 7, v22
	v_cmp_ne_u32_e64 s[4:5], 6, v22
	;; [unrolled: 1-line block ×8, first 2 shown]
	v_subrev_u32_e32 v22, s21, v22
	s_and_b64 vcc, s[24:25], s[0:1]
	v_cndmask_b32_e32 v22, 8, v22, vcc
	global_store_dword v[12:13], v22, off
	v_cvt_i32_f32_e32 v22, v23
	v_exp_f32_e32 v20, v20
	v_cmp_ngt_f32_e32 vcc, s29, v19
	global_store_dword v[10:11], v16, off
	s_add_i32 s31, s31, -1
	v_ldexp_f32 v20, v20, v22
	v_cndmask_b32_e32 v20, 0, v20, vcc
	v_cmp_nlt_f32_e32 vcc, s30, v19
	v_cndmask_b32_e32 v19, v17, v20, vcc
	v_add_co_u32_e32 v10, vcc, 4, v10
	v_addc_co_u32_e32 v11, vcc, 0, v11, vcc
	v_add_co_u32_e32 v12, vcc, 4, v12
	v_addc_co_u32_e32 v13, vcc, 0, v13, vcc
	global_store_dword v[14:15], v19, off
	v_add_co_u32_e32 v14, vcc, 4, v14
	v_add_f32_e32 v18, v18, v19
	v_cndmask_b32_e64 v7, v9, v7, s[2:3]
	v_cndmask_b32_e64 v6, v9, v6, s[4:5]
	;; [unrolled: 1-line block ×8, first 2 shown]
	v_add_u32_e32 v16, s28, v16
	s_cmp_eq_u32 s31, 0
	v_addc_co_u32_e32 v15, vcc, 0, v15, vcc
	s_cbranch_scc0 .LBB33_7
.LBB33_8:
	v_cmp_neq_f32_e32 vcc, 0, v18
	s_and_b64 exec, exec, vcc
	s_cbranch_execz .LBB33_19
; %bb.9:
	s_andn2_b64 vcc, exec, s[26:27]
	s_cbranch_vccnz .LBB33_19
; %bb.10:
	s_waitcnt vmcnt(1)
	v_div_scale_f32 v0, s[0:1], v18, v18, 1.0
	v_rcp_f32_e32 v1, v0
	v_div_scale_f32 v2, vcc, 1.0, v18, 1.0
	s_cmp_gt_u32 s20, 3
	v_fma_f32 v3, -v0, v1, 1.0
	v_fmac_f32_e32 v1, v3, v1
	v_mul_f32_e32 v3, v2, v1
	v_fma_f32 v4, -v0, v3, v2
	v_fmac_f32_e32 v3, v4, v1
	v_fma_f32 v0, -v0, v3, v2
	v_div_fmas_f32 v0, v0, v1, v3
	v_div_fixup_f32 v0, v0, v18, 1.0
	v_ashrrev_i32_e32 v9, 31, v8
	s_cbranch_scc0 .LBB33_14
; %bb.11:
	v_lshlrev_b64 v[2:3], 2, v[8:9]
	v_mov_b32_e32 v4, s19
	v_add_co_u32_e32 v2, vcc, s18, v2
	v_addc_co_u32_e32 v3, vcc, v3, v4, vcc
	s_and_b32 s4, s20, 0x7ffffffc
	v_add_co_u32_e32 v2, vcc, 8, v2
	v_mov_b32_e32 v1, v0
	v_addc_co_u32_e32 v3, vcc, 0, v3, vcc
	s_mov_b32 s0, s4
.LBB33_12:                              ; =>This Inner Loop Header: Depth=1
	global_load_dwordx4 v[4:7], v[2:3], off offset:-8
	s_add_i32 s0, s0, -4
	s_cmp_lg_u32 s0, 0
	s_waitcnt vmcnt(0)
	v_pk_mul_f32 v[4:5], v[0:1], v[4:5]
	v_pk_mul_f32 v[6:7], v[0:1], v[6:7]
	global_store_dwordx4 v[2:3], v[4:7], off offset:-8
	v_add_co_u32_e32 v2, vcc, 16, v2
	v_addc_co_u32_e32 v3, vcc, 0, v3, vcc
	s_cbranch_scc1 .LBB33_12
; %bb.13:
	s_cmp_lg_u32 s4, s20
	s_cselect_b64 s[0:1], -1, 0
	s_branch .LBB33_16
.LBB33_14:
	s_mov_b64 s[0:1], 0
                                        ; implicit-def: $sgpr4
	s_cbranch_execz .LBB33_16
; %bb.15:
	s_mov_b64 s[0:1], -1
	s_mov_b32 s4, 0
.LBB33_16:
	s_andn2_b64 vcc, exec, s[0:1]
	s_cbranch_vccnz .LBB33_19
; %bb.17:
	v_add_co_u32_e32 v2, vcc, s4, v8
	v_addc_co_u32_e32 v3, vcc, 0, v9, vcc
	v_lshlrev_b64 v[2:3], 2, v[2:3]
	v_mov_b32_e32 v1, s19
	v_add_co_u32_e32 v2, vcc, s18, v2
	s_sub_i32 s0, s20, s4
	v_addc_co_u32_e32 v3, vcc, v1, v3, vcc
.LBB33_18:                              ; =>This Inner Loop Header: Depth=1
	global_load_dword v1, v[2:3], off
	s_add_i32 s0, s0, -1
	s_cmp_lg_u32 s0, 0
	s_waitcnt vmcnt(0)
	v_mul_f32_e32 v1, v0, v1
	global_store_dword v[2:3], v1, off
	v_add_co_u32_e32 v2, vcc, 4, v2
	v_addc_co_u32_e32 v3, vcc, 0, v3, vcc
	s_cbranch_scc1 .LBB33_18
.LBB33_19:
	s_endpgm
	.section	.rodata,"a",@progbits
	.p2align	6, 0x0
	.amdhsa_kernel _ZN4vllm3moe17topkGatingSoftmaxIfLi8ELi8ELi8ELi32ELb1ELi1ELNS0_23SharedExpertScoringFuncE1EEEvPKT_PKbPfiPiS9_iiiiii
		.amdhsa_group_segment_fixed_size 0
		.amdhsa_private_segment_fixed_size 0
		.amdhsa_kernarg_size 72
		.amdhsa_user_sgpr_count 6
		.amdhsa_user_sgpr_private_segment_buffer 1
		.amdhsa_user_sgpr_dispatch_ptr 0
		.amdhsa_user_sgpr_queue_ptr 0
		.amdhsa_user_sgpr_kernarg_segment_ptr 1
		.amdhsa_user_sgpr_dispatch_id 0
		.amdhsa_user_sgpr_flat_scratch_init 0
		.amdhsa_user_sgpr_kernarg_preload_length 0
		.amdhsa_user_sgpr_kernarg_preload_offset 0
		.amdhsa_user_sgpr_private_segment_size 0
		.amdhsa_uses_dynamic_stack 0
		.amdhsa_system_sgpr_private_segment_wavefront_offset 0
		.amdhsa_system_sgpr_workgroup_id_x 1
		.amdhsa_system_sgpr_workgroup_id_y 0
		.amdhsa_system_sgpr_workgroup_id_z 0
		.amdhsa_system_sgpr_workgroup_info 0
		.amdhsa_system_vgpr_workitem_id 1
		.amdhsa_next_free_vgpr 26
		.amdhsa_next_free_sgpr 32
		.amdhsa_accum_offset 28
		.amdhsa_reserve_vcc 1
		.amdhsa_reserve_flat_scratch 0
		.amdhsa_float_round_mode_32 0
		.amdhsa_float_round_mode_16_64 0
		.amdhsa_float_denorm_mode_32 3
		.amdhsa_float_denorm_mode_16_64 3
		.amdhsa_dx10_clamp 1
		.amdhsa_ieee_mode 1
		.amdhsa_fp16_overflow 0
		.amdhsa_tg_split 0
		.amdhsa_exception_fp_ieee_invalid_op 0
		.amdhsa_exception_fp_denorm_src 0
		.amdhsa_exception_fp_ieee_div_zero 0
		.amdhsa_exception_fp_ieee_overflow 0
		.amdhsa_exception_fp_ieee_underflow 0
		.amdhsa_exception_fp_ieee_inexact 0
		.amdhsa_exception_int_div_zero 0
	.end_amdhsa_kernel
	.section	.text._ZN4vllm3moe17topkGatingSoftmaxIfLi8ELi8ELi8ELi32ELb1ELi1ELNS0_23SharedExpertScoringFuncE1EEEvPKT_PKbPfiPiS9_iiiiii,"axG",@progbits,_ZN4vllm3moe17topkGatingSoftmaxIfLi8ELi8ELi8ELi32ELb1ELi1ELNS0_23SharedExpertScoringFuncE1EEEvPKT_PKbPfiPiS9_iiiiii,comdat
.Lfunc_end33:
	.size	_ZN4vllm3moe17topkGatingSoftmaxIfLi8ELi8ELi8ELi32ELb1ELi1ELNS0_23SharedExpertScoringFuncE1EEEvPKT_PKbPfiPiS9_iiiiii, .Lfunc_end33-_ZN4vllm3moe17topkGatingSoftmaxIfLi8ELi8ELi8ELi32ELb1ELi1ELNS0_23SharedExpertScoringFuncE1EEEvPKT_PKbPfiPiS9_iiiiii
                                        ; -- End function
	.section	.AMDGPU.csdata,"",@progbits
; Kernel info:
; codeLenInByte = 1872
; NumSgprs: 36
; NumVgprs: 26
; NumAgprs: 0
; TotalNumVgprs: 26
; ScratchSize: 0
; MemoryBound: 0
; FloatMode: 240
; IeeeMode: 1
; LDSByteSize: 0 bytes/workgroup (compile time only)
; SGPRBlocks: 4
; VGPRBlocks: 3
; NumSGPRsForWavesPerEU: 36
; NumVGPRsForWavesPerEU: 26
; AccumOffset: 28
; Occupancy: 8
; WaveLimiterHint : 0
; COMPUTE_PGM_RSRC2:SCRATCH_EN: 0
; COMPUTE_PGM_RSRC2:USER_SGPR: 6
; COMPUTE_PGM_RSRC2:TRAP_HANDLER: 0
; COMPUTE_PGM_RSRC2:TGID_X_EN: 1
; COMPUTE_PGM_RSRC2:TGID_Y_EN: 0
; COMPUTE_PGM_RSRC2:TGID_Z_EN: 0
; COMPUTE_PGM_RSRC2:TIDIG_COMP_CNT: 1
; COMPUTE_PGM_RSRC3_GFX90A:ACCUM_OFFSET: 6
; COMPUTE_PGM_RSRC3_GFX90A:TG_SPLIT: 0
	.section	.text._ZN4vllm3moe17topkGatingSoftmaxIfLi8ELi8ELi8ELi32ELb0ELi1ELNS0_23SharedExpertScoringFuncE1EEEvPKT_PKbPfiPiS9_iiiiii,"axG",@progbits,_ZN4vllm3moe17topkGatingSoftmaxIfLi8ELi8ELi8ELi32ELb0ELi1ELNS0_23SharedExpertScoringFuncE1EEEvPKT_PKbPfiPiS9_iiiiii,comdat
	.protected	_ZN4vllm3moe17topkGatingSoftmaxIfLi8ELi8ELi8ELi32ELb0ELi1ELNS0_23SharedExpertScoringFuncE1EEEvPKT_PKbPfiPiS9_iiiiii ; -- Begin function _ZN4vllm3moe17topkGatingSoftmaxIfLi8ELi8ELi8ELi32ELb0ELi1ELNS0_23SharedExpertScoringFuncE1EEEvPKT_PKbPfiPiS9_iiiiii
	.globl	_ZN4vllm3moe17topkGatingSoftmaxIfLi8ELi8ELi8ELi32ELb0ELi1ELNS0_23SharedExpertScoringFuncE1EEEvPKT_PKbPfiPiS9_iiiiii
	.p2align	8
	.type	_ZN4vllm3moe17topkGatingSoftmaxIfLi8ELi8ELi8ELi32ELb0ELi1ELNS0_23SharedExpertScoringFuncE1EEEvPKT_PKbPfiPiS9_iiiiii,@function
_ZN4vllm3moe17topkGatingSoftmaxIfLi8ELi8ELi8ELi32ELb0ELi1ELNS0_23SharedExpertScoringFuncE1EEEvPKT_PKbPfiPiS9_iiiiii: ; @_ZN4vllm3moe17topkGatingSoftmaxIfLi8ELi8ELi8ELi32ELb0ELi1ELNS0_23SharedExpertScoringFuncE1EEEvPKT_PKbPfiPiS9_iiiiii
; %bb.0:
	s_load_dword s30, s[4:5], 0x18
	v_bfe_u32 v1, v0, 10, 10
	s_lshl_b32 s31, s6, 9
	v_lshlrev_b32_e32 v21, 6, v1
	v_and_b32_e32 v22, 0x3ff, v0
	v_add3_u32 v23, v21, v22, s31
	s_waitcnt lgkmcnt(0)
	v_cmp_gt_i32_e32 vcc, s30, v23
	s_and_saveexec_b64 s[0:1], vcc
	s_cbranch_execz .LBB34_19
; %bb.1:
	s_load_dwordx4 s[0:3], s[4:5], 0x0
	s_load_dwordx2 s[14:15], s[4:5], 0x10
	s_waitcnt lgkmcnt(0)
	s_cmp_eq_u64 s[2:3], 0
	s_cbranch_scc1 .LBB34_3
; %bb.2:
	v_ashrrev_i32_e32 v1, 31, v23
	v_mov_b32_e32 v2, s3
	v_add_co_u32_e32 v0, vcc, s2, v23
	v_addc_co_u32_e32 v1, vcc, v2, v1, vcc
	global_load_ubyte v0, v[0:1], off
	s_waitcnt vmcnt(0)
	v_and_b32_e32 v0, 1, v0
	v_cmp_eq_u32_e32 vcc, 1, v0
	s_xor_b64 s[2:3], vcc, -1
	s_orn2_b64 s[26:27], s[2:3], exec
	s_branch .LBB34_4
.LBB34_3:
	s_mov_b64 s[26:27], -1
.LBB34_4:
	s_load_dwordx2 s[28:29], s[4:5], 0x40
	s_load_dwordx4 s[16:19], s[4:5], 0x30
	v_mov_b32_e32 v2, s1
	s_mov_b32 s2, 0xbfb8aa3b
	s_mov_b32 s12, 0x42ce8ed0
	s_waitcnt lgkmcnt(0)
	v_mul_lo_u32 v0, v23, s29
	v_ashrrev_i32_e32 v1, 31, v0
	v_lshlrev_b64 v[0:1], 2, v[0:1]
	v_add_co_u32_e32 v8, vcc, s0, v0
	v_addc_co_u32_e32 v9, vcc, v2, v1, vcc
	global_load_dword v10, v[8:9], off offset:32
	global_load_dwordx4 v[4:7], v[8:9], off
	global_load_dwordx4 v[0:3], v[8:9], off offset:16
	v_mul_lo_u32 v8, v23, s19
	v_add_u32_e32 v12, s16, v8
	v_ashrrev_i32_e32 v13, 31, v12
	v_lshlrev_b64 v[12:13], 2, v[12:13]
	v_mov_b32_e32 v9, s15
	v_add_co_u32_e32 v12, vcc, s14, v12
	v_addc_co_u32_e32 v13, vcc, v9, v13, vcc
	s_mov_b32 s13, 0xc2b17218
	v_mov_b32_e32 v11, 0x7f800000
	s_cmp_gt_i32 s16, 0
	v_mov_b32_e32 v20, 0
	s_cselect_b64 s[24:25], -1, 0
	s_cmp_lt_i32 s16, 1
	s_waitcnt vmcnt(2)
	v_mul_f32_e32 v9, 0xbfb8aa3b, v10
	v_fma_f32 v15, v10, s2, -v9
	v_rndne_f32_e32 v16, v9
	v_fmac_f32_e32 v15, 0xb2a5705f, v10
	v_sub_f32_e32 v9, v9, v16
	v_add_f32_e32 v9, v9, v15
	v_cvt_i32_f32_e32 v16, v16
	v_exp_f32_e32 v9, v9
	v_cmp_nlt_f32_e32 vcc, s12, v10
	s_waitcnt vmcnt(1)
	v_cmp_lt_f32_e64 s[0:1], v4, v5
	v_cndmask_b32_e64 v14, v4, v5, s[0:1]
	v_ldexp_f32 v9, v9, v16
	v_cndmask_b32_e32 v9, 0, v9, vcc
	v_cmp_ngt_f32_e32 vcc, s13, v10
	v_cndmask_b32_e32 v9, v11, v9, vcc
	v_add_f32_e32 v9, 1.0, v9
	v_div_scale_f32 v10, s[12:13], v9, v9, 1.0
	v_cmp_lt_f32_e64 s[2:3], v14, v6
	v_rcp_f32_e32 v15, v10
	v_cndmask_b32_e64 v14, v14, v6, s[2:3]
	v_cmp_lt_f32_e64 s[6:7], v14, v7
	v_cndmask_b32_e64 v14, v14, v7, s[6:7]
	s_waitcnt vmcnt(0)
	v_cmp_lt_f32_e64 s[8:9], v14, v0
	v_fma_f32 v17, -v10, v15, 1.0
	v_cndmask_b32_e64 v14, v14, v0, s[8:9]
	v_div_scale_f32 v16, vcc, 1.0, v9, 1.0
	v_fmac_f32_e32 v15, v17, v15
	v_cmp_lt_f32_e64 s[10:11], v14, v1
	v_mul_f32_e32 v17, v16, v15
	v_cndmask_b32_e64 v14, v14, v1, s[10:11]
	v_fma_f32 v18, -v10, v17, v16
	v_cmp_lt_f32_e64 s[12:13], v14, v2
	v_fmac_f32_e32 v17, v18, v15
	v_cndmask_b32_e64 v14, v14, v2, s[12:13]
	v_fma_f32 v10, -v10, v17, v16
	v_div_fmas_f32 v10, v10, v15, v17
	v_cmp_lt_f32_e32 vcc, v14, v3
	v_div_fixup_f32 v9, v10, v9, 1.0
	v_cndmask_b32_e32 v10, v14, v3, vcc
	global_store_dword v[12:13], v9, off
	s_cbranch_scc1 .LBB34_8
; %bb.5:
	v_cndmask_b32_e64 v9, 0, 1, s[0:1]
	v_cndmask_b32_e64 v9, v9, 2, s[2:3]
	;; [unrolled: 1-line block ×6, first 2 shown]
	v_cndmask_b32_e64 v26, v9, 7, vcc
	v_sub_f32_e32 v9, v10, v10
	v_mul_f32_e32 v13, 0x3fb8aa3b, v9
	s_load_dwordx4 s[20:23], s[4:5], 0x20
	s_mov_b32 s4, 0x3fb8aa3b
	v_rndne_f32_e32 v14, v13
	v_sub_f32_e32 v15, v13, v14
	v_fma_f32 v13, v9, s4, -v13
	v_fmac_f32_e32 v13, 0x32a5705f, v9
	v_add_f32_e32 v13, v15, v13
	v_exp_f32_e32 v13, v13
	v_cvt_i32_f32_e32 v14, v14
	v_cmp_le_i32_e32 vcc, s17, v26
	v_cmp_gt_i32_e64 s[0:1], s18, v26
	s_mov_b32 s5, 0xc2ce8ed0
	s_and_b64 s[2:3], vcc, s[0:1]
	v_ldexp_f32 v13, v13, v14
	v_cmp_ngt_f32_e32 vcc, s5, v9
	s_mov_b32 s6, 0x42b17218
	v_cndmask_b32_e32 v13, 0, v13, vcc
	v_cmp_nlt_f32_e32 vcc, s6, v9
	v_ashrrev_i32_e32 v9, 31, v8
	v_lshlrev_b64 v[16:17], 2, v[8:9]
	v_mul_lo_u32 v12, v23, s28
	v_cndmask_b32_e32 v20, v11, v13, vcc
	v_mov_b32_e32 v9, s15
	v_add_co_u32_e32 v18, vcc, s14, v16
	v_addc_co_u32_e64 v19, s[0:1], v9, v17, vcc
	v_ashrrev_i32_e32 v13, 31, v12
	v_subrev_u32_e32 v9, s17, v26
	s_and_b64 s[0:1], s[26:27], s[2:3]
	v_lshlrev_b64 v[14:15], 2, v[12:13]
	v_mul_lo_u32 v24, v23, s16
	v_cndmask_b32_e64 v9, 8, v9, s[0:1]
	s_waitcnt lgkmcnt(0)
	v_mov_b32_e32 v13, s21
	v_add_co_u32_e64 v12, s[0:1], s20, v14
	v_addc_co_u32_e64 v13, s[0:1], v13, v15, s[0:1]
	v_ashrrev_i32_e32 v25, 31, v24
	global_store_dword v[12:13], v9, off
	v_lshlrev_b64 v[12:13], 2, v[24:25]
	v_mov_b32_e32 v9, s23
	v_add_co_u32_e64 v24, s[0:1], s22, v12
	v_addc_co_u32_e64 v25, s[0:1], v9, v13, s[0:1]
	v_mov_b32_e32 v9, 0xff800000
	v_cmp_ne_u32_e64 s[0:1], 7, v26
	v_cndmask_b32_e64 v3, v9, v3, s[0:1]
	v_cmp_ne_u32_e64 s[0:1], 6, v26
	v_cndmask_b32_e64 v2, v9, v2, s[0:1]
	;; [unrolled: 2-line block ×7, first 2 shown]
	v_cmp_ne_u32_e64 s[0:1], 0, v26
	s_cmp_eq_u32 s16, 1
	v_cndmask_b32_e64 v4, v9, v4, s[0:1]
	global_store_dword v[18:19], v20, off
	global_store_dword v[24:25], v23, off
	s_cbranch_scc1 .LBB34_8
; %bb.6:
	v_mov_b32_e32 v16, s23
	v_add_co_u32_e64 v12, s[0:1], s22, v12
	v_addc_co_u32_e64 v13, s[0:1], v13, v16, s[0:1]
	v_add_co_u32_e64 v12, s[0:1], 4, v12
	v_addc_co_u32_e64 v13, s[0:1], 0, v13, s[0:1]
	v_mov_b32_e32 v16, s21
	v_add_co_u32_e64 v14, s[0:1], s20, v14
	v_addc_co_u32_e64 v15, s[0:1], v15, v16, s[0:1]
	v_mov_b32_e32 v16, s15
	v_addc_co_u32_e32 v17, vcc, v17, v16, vcc
	v_add_co_u32_e64 v14, s[0:1], 4, v14
	v_add_co_u32_e32 v16, vcc, 4, v18
	s_add_i32 s31, s31, s30
	v_addc_co_u32_e64 v15, s[0:1], 0, v15, s[0:1]
	v_addc_co_u32_e32 v17, vcc, 0, v17, vcc
	s_add_i32 s7, s16, -1
	v_add3_u32 v18, s31, v22, v21
	v_mov_b32_e32 v19, 0x7f800000
.LBB34_7:                               ; =>This Inner Loop Header: Depth=1
	v_cmp_gt_f32_e32 vcc, v5, v4
	v_cndmask_b32_e32 v21, v4, v5, vcc
	v_cmp_gt_f32_e64 s[0:1], v6, v21
	v_cndmask_b32_e64 v21, v21, v6, s[0:1]
	v_cndmask_b32_e64 v22, 0, 1, vcc
	v_cmp_gt_f32_e32 vcc, v7, v21
	v_cndmask_b32_e32 v21, v21, v7, vcc
	v_cndmask_b32_e64 v22, v22, 2, s[0:1]
	v_cmp_gt_f32_e64 s[0:1], v0, v21
	v_cndmask_b32_e64 v21, v21, v0, s[0:1]
	v_cndmask_b32_e64 v22, v22, 3, vcc
	v_cmp_gt_f32_e32 vcc, v1, v21
	v_cndmask_b32_e32 v21, v21, v1, vcc
	v_cndmask_b32_e64 v22, v22, 4, s[0:1]
	v_cmp_gt_f32_e64 s[0:1], v2, v21
	v_cndmask_b32_e64 v21, v21, v2, s[0:1]
	v_cndmask_b32_e64 v22, v22, 5, vcc
	v_cmp_gt_f32_e32 vcc, v3, v21
	v_cndmask_b32_e64 v22, v22, 6, s[0:1]
	v_cndmask_b32_e64 v22, v22, 7, vcc
	v_cmp_ne_u32_e64 s[2:3], 7, v22
	v_cndmask_b32_e32 v21, v21, v3, vcc
	v_cndmask_b32_e64 v3, v9, v3, s[2:3]
	v_cmp_ne_u32_e64 s[2:3], 6, v22
	v_cndmask_b32_e64 v2, v9, v2, s[2:3]
	v_cmp_ne_u32_e64 s[2:3], 5, v22
	;; [unrolled: 2-line block ×4, first 2 shown]
	v_sub_f32_e32 v21, v21, v10
	v_cndmask_b32_e64 v7, v9, v7, s[2:3]
	v_cmp_ne_u32_e64 s[2:3], 2, v22
	v_cmp_le_i32_e32 vcc, s17, v22
	v_cmp_gt_i32_e64 s[0:1], s18, v22
	v_mul_f32_e32 v23, 0x3fb8aa3b, v21
	v_cndmask_b32_e64 v6, v9, v6, s[2:3]
	v_cmp_ne_u32_e64 s[2:3], 1, v22
	v_subrev_u32_e32 v24, s17, v22
	v_cndmask_b32_e64 v5, v9, v5, s[2:3]
	v_cmp_ne_u32_e64 s[2:3], 0, v22
	s_and_b64 s[0:1], vcc, s[0:1]
	v_fma_f32 v22, v21, s4, -v23
	v_rndne_f32_e32 v25, v23
	v_fmac_f32_e32 v22, 0x32a5705f, v21
	v_sub_f32_e32 v23, v23, v25
	s_and_b64 vcc, s[26:27], s[0:1]
	v_cndmask_b32_e32 v24, 8, v24, vcc
	v_add_f32_e32 v22, v23, v22
	v_cvt_i32_f32_e32 v25, v25
	global_store_dword v[14:15], v24, off
	global_store_dword v[12:13], v18, off
	v_add_co_u32_e32 v12, vcc, 4, v12
	v_exp_f32_e32 v22, v22
	v_addc_co_u32_e32 v13, vcc, 0, v13, vcc
	v_add_co_u32_e32 v14, vcc, 4, v14
	v_addc_co_u32_e32 v15, vcc, 0, v15, vcc
	v_ldexp_f32 v22, v22, v25
	v_cmp_ngt_f32_e32 vcc, s5, v21
	v_cndmask_b32_e32 v22, 0, v22, vcc
	v_cmp_nlt_f32_e32 vcc, s6, v21
	v_cndmask_b32_e32 v21, v19, v22, vcc
	s_add_i32 s7, s7, -1
	global_store_dword v[16:17], v21, off
	v_add_co_u32_e32 v16, vcc, 4, v16
	v_cndmask_b32_e64 v4, v9, v4, s[2:3]
	v_add_u32_e32 v18, s30, v18
	s_cmp_eq_u32 s7, 0
	v_add_f32_e32 v20, v20, v21
	v_addc_co_u32_e32 v17, vcc, 0, v17, vcc
	s_cbranch_scc0 .LBB34_7
.LBB34_8:
	v_pk_add_f32 v[4:5], v[4:5], v[10:11] op_sel_hi:[1,0] neg_lo:[0,1] neg_hi:[0,1]
	s_mov_b32 s0, 0x3fb8aa3b
	v_mul_f32_e32 v9, 0x3fb8aa3b, v5
	v_fma_f32 v12, v5, s0, -v9
	v_rndne_f32_e32 v13, v9
	v_fmac_f32_e32 v12, 0x32a5705f, v5
	v_sub_f32_e32 v9, v9, v13
	v_add_f32_e32 v9, v9, v12
	v_exp_f32_e32 v9, v9
	v_cvt_i32_f32_e32 v12, v13
	s_mov_b32 s1, 0xc2ce8ed0
	v_cmp_ngt_f32_e32 vcc, s1, v5
	s_mov_b32 s2, 0x42b17218
	v_ldexp_f32 v9, v9, v12
	v_mul_f32_e32 v12, 0x3fb8aa3b, v4
	v_fma_f32 v13, v4, s0, -v12
	v_rndne_f32_e32 v14, v12
	v_fmac_f32_e32 v13, 0x32a5705f, v4
	v_sub_f32_e32 v12, v12, v14
	v_add_f32_e32 v12, v12, v13
	v_exp_f32_e32 v12, v12
	v_cvt_i32_f32_e32 v13, v14
	v_cndmask_b32_e32 v9, 0, v9, vcc
	v_cmp_nlt_f32_e32 vcc, s2, v5
	v_sub_f32_e32 v6, v6, v10
	v_cndmask_b32_e32 v5, v11, v9, vcc
	v_ldexp_f32 v9, v12, v13
	v_mul_f32_e32 v12, 0x3fb8aa3b, v6
	v_fma_f32 v13, v6, s0, -v12
	v_rndne_f32_e32 v14, v12
	v_fmac_f32_e32 v13, 0x32a5705f, v6
	v_sub_f32_e32 v12, v12, v14
	v_add_f32_e32 v12, v12, v13
	v_exp_f32_e32 v12, v12
	v_cvt_i32_f32_e32 v13, v14
	v_cmp_ngt_f32_e32 vcc, s1, v4
	v_cndmask_b32_e32 v9, 0, v9, vcc
	v_cmp_nlt_f32_e32 vcc, s2, v4
	v_sub_f32_e32 v7, v7, v10
	v_cndmask_b32_e32 v4, v11, v9, vcc
	v_mul_f32_e32 v9, 0x3fb8aa3b, v7
	v_add_f32_e32 v4, v4, v5
	v_ldexp_f32 v5, v12, v13
	v_fma_f32 v12, v7, s0, -v9
	v_rndne_f32_e32 v13, v9
	v_fmac_f32_e32 v12, 0x32a5705f, v7
	v_sub_f32_e32 v9, v9, v13
	v_add_f32_e32 v9, v9, v12
	v_exp_f32_e32 v9, v9
	v_cvt_i32_f32_e32 v12, v13
	v_cmp_ngt_f32_e32 vcc, s1, v6
	v_cndmask_b32_e32 v5, 0, v5, vcc
	v_cmp_nlt_f32_e32 vcc, s2, v6
	v_sub_f32_e32 v0, v0, v10
	v_cndmask_b32_e32 v5, v11, v5, vcc
	v_mul_f32_e32 v6, 0x3fb8aa3b, v0
	v_add_f32_e32 v4, v4, v5
	v_ldexp_f32 v5, v9, v12
	v_fma_f32 v9, v0, s0, -v6
	v_rndne_f32_e32 v12, v6
	v_fmac_f32_e32 v9, 0x32a5705f, v0
	v_sub_f32_e32 v6, v6, v12
	v_add_f32_e32 v6, v6, v9
	v_exp_f32_e32 v6, v6
	v_cvt_i32_f32_e32 v9, v12
	v_cmp_ngt_f32_e32 vcc, s1, v7
	v_cndmask_b32_e32 v5, 0, v5, vcc
	v_cmp_nlt_f32_e32 vcc, s2, v7
	v_cndmask_b32_e32 v5, v11, v5, vcc
	v_sub_f32_e32 v1, v1, v10
	v_add_f32_e32 v4, v4, v5
	v_ldexp_f32 v5, v6, v9
	v_mul_f32_e32 v6, 0x3fb8aa3b, v1
	v_fma_f32 v7, v1, s0, -v6
	v_rndne_f32_e32 v9, v6
	v_fmac_f32_e32 v7, 0x32a5705f, v1
	v_sub_f32_e32 v6, v6, v9
	v_add_f32_e32 v6, v6, v7
	v_exp_f32_e32 v6, v6
	v_cvt_i32_f32_e32 v7, v9
	v_cmp_ngt_f32_e32 vcc, s1, v0
	v_cndmask_b32_e32 v5, 0, v5, vcc
	v_cmp_nlt_f32_e32 vcc, s2, v0
	v_sub_f32_e32 v2, v2, v10
	v_cndmask_b32_e32 v0, v11, v5, vcc
	v_mul_f32_e32 v5, 0x3fb8aa3b, v2
	v_add_f32_e32 v0, v4, v0
	v_ldexp_f32 v4, v6, v7
	v_fma_f32 v6, v2, s0, -v5
	v_rndne_f32_e32 v7, v5
	v_fmac_f32_e32 v6, 0x32a5705f, v2
	v_sub_f32_e32 v5, v5, v7
	v_add_f32_e32 v5, v5, v6
	v_exp_f32_e32 v5, v5
	v_cvt_i32_f32_e32 v6, v7
	v_cmp_ngt_f32_e32 vcc, s1, v1
	v_cndmask_b32_e32 v4, 0, v4, vcc
	v_cmp_nlt_f32_e32 vcc, s2, v1
	v_sub_f32_e32 v3, v3, v10
	v_cndmask_b32_e32 v1, v11, v4, vcc
	v_mul_f32_e32 v4, 0x3fb8aa3b, v3
	v_add_f32_e32 v0, v0, v1
	v_ldexp_f32 v1, v5, v6
	v_fma_f32 v5, v3, s0, -v4
	v_rndne_f32_e32 v6, v4
	v_fmac_f32_e32 v5, 0x32a5705f, v3
	v_sub_f32_e32 v4, v4, v6
	v_add_f32_e32 v4, v4, v5
	v_exp_f32_e32 v4, v4
	v_cvt_i32_f32_e32 v5, v6
	v_cmp_ngt_f32_e32 vcc, s1, v2
	v_cndmask_b32_e32 v1, 0, v1, vcc
	v_cmp_nlt_f32_e32 vcc, s2, v2
	v_cndmask_b32_e32 v1, v11, v1, vcc
	v_add_f32_e32 v0, v0, v1
	v_ldexp_f32 v1, v4, v5
	v_cmp_ngt_f32_e32 vcc, s1, v3
	v_cndmask_b32_e32 v1, 0, v1, vcc
	v_cmp_nlt_f32_e32 vcc, s2, v3
	v_cndmask_b32_e32 v1, v11, v1, vcc
	v_add_f32_e32 v0, v0, v1
	v_add_f32_e32 v0, v20, v0
	v_cmp_neq_f32_e32 vcc, 0, v0
	s_and_b64 exec, exec, vcc
	s_cbranch_execz .LBB34_19
; %bb.9:
	s_andn2_b64 vcc, exec, s[24:25]
	s_cbranch_vccnz .LBB34_19
; %bb.10:
	v_div_scale_f32 v1, s[0:1], v0, v0, 1.0
	v_rcp_f32_e32 v2, v1
	v_div_scale_f32 v3, vcc, 1.0, v0, 1.0
	s_cmp_gt_u32 s16, 3
	v_fma_f32 v4, -v1, v2, 1.0
	v_fmac_f32_e32 v2, v4, v2
	v_mul_f32_e32 v4, v3, v2
	v_fma_f32 v5, -v1, v4, v3
	v_fmac_f32_e32 v4, v5, v2
	v_fma_f32 v1, -v1, v4, v3
	v_div_fmas_f32 v1, v1, v2, v4
	v_div_fixup_f32 v0, v1, v0, 1.0
	v_ashrrev_i32_e32 v9, 31, v8
	s_cbranch_scc0 .LBB34_14
; %bb.11:
	v_lshlrev_b64 v[2:3], 2, v[8:9]
	v_mov_b32_e32 v4, s15
	v_add_co_u32_e32 v2, vcc, s14, v2
	v_addc_co_u32_e32 v3, vcc, v3, v4, vcc
	s_and_b32 s4, s16, 0x7ffffffc
	v_add_co_u32_e32 v2, vcc, 8, v2
	v_mov_b32_e32 v1, v0
	v_addc_co_u32_e32 v3, vcc, 0, v3, vcc
	s_mov_b32 s0, s4
.LBB34_12:                              ; =>This Inner Loop Header: Depth=1
	global_load_dwordx4 v[4:7], v[2:3], off offset:-8
	s_add_i32 s0, s0, -4
	s_cmp_lg_u32 s0, 0
	s_waitcnt vmcnt(0)
	v_pk_mul_f32 v[4:5], v[0:1], v[4:5]
	v_pk_mul_f32 v[6:7], v[0:1], v[6:7]
	global_store_dwordx4 v[2:3], v[4:7], off offset:-8
	v_add_co_u32_e32 v2, vcc, 16, v2
	v_addc_co_u32_e32 v3, vcc, 0, v3, vcc
	s_cbranch_scc1 .LBB34_12
; %bb.13:
	s_cmp_lg_u32 s4, s16
	s_cselect_b64 s[0:1], -1, 0
	s_branch .LBB34_16
.LBB34_14:
	s_mov_b64 s[0:1], 0
                                        ; implicit-def: $sgpr4
	s_cbranch_execz .LBB34_16
; %bb.15:
	s_mov_b64 s[0:1], -1
	s_mov_b32 s4, 0
.LBB34_16:
	s_andn2_b64 vcc, exec, s[0:1]
	s_cbranch_vccnz .LBB34_19
; %bb.17:
	v_add_co_u32_e32 v2, vcc, s4, v8
	v_addc_co_u32_e32 v3, vcc, 0, v9, vcc
	v_lshlrev_b64 v[2:3], 2, v[2:3]
	v_mov_b32_e32 v1, s15
	v_add_co_u32_e32 v2, vcc, s14, v2
	s_sub_i32 s0, s16, s4
	v_addc_co_u32_e32 v3, vcc, v1, v3, vcc
.LBB34_18:                              ; =>This Inner Loop Header: Depth=1
	global_load_dword v1, v[2:3], off
	s_add_i32 s0, s0, -1
	s_cmp_lg_u32 s0, 0
	s_waitcnt vmcnt(0)
	v_mul_f32_e32 v1, v0, v1
	global_store_dword v[2:3], v1, off
	v_add_co_u32_e32 v2, vcc, 4, v2
	v_addc_co_u32_e32 v3, vcc, 0, v3, vcc
	s_cbranch_scc1 .LBB34_18
.LBB34_19:
	s_endpgm
	.section	.rodata,"a",@progbits
	.p2align	6, 0x0
	.amdhsa_kernel _ZN4vllm3moe17topkGatingSoftmaxIfLi8ELi8ELi8ELi32ELb0ELi1ELNS0_23SharedExpertScoringFuncE1EEEvPKT_PKbPfiPiS9_iiiiii
		.amdhsa_group_segment_fixed_size 0
		.amdhsa_private_segment_fixed_size 0
		.amdhsa_kernarg_size 72
		.amdhsa_user_sgpr_count 6
		.amdhsa_user_sgpr_private_segment_buffer 1
		.amdhsa_user_sgpr_dispatch_ptr 0
		.amdhsa_user_sgpr_queue_ptr 0
		.amdhsa_user_sgpr_kernarg_segment_ptr 1
		.amdhsa_user_sgpr_dispatch_id 0
		.amdhsa_user_sgpr_flat_scratch_init 0
		.amdhsa_user_sgpr_kernarg_preload_length 0
		.amdhsa_user_sgpr_kernarg_preload_offset 0
		.amdhsa_user_sgpr_private_segment_size 0
		.amdhsa_uses_dynamic_stack 0
		.amdhsa_system_sgpr_private_segment_wavefront_offset 0
		.amdhsa_system_sgpr_workgroup_id_x 1
		.amdhsa_system_sgpr_workgroup_id_y 0
		.amdhsa_system_sgpr_workgroup_id_z 0
		.amdhsa_system_sgpr_workgroup_info 0
		.amdhsa_system_vgpr_workitem_id 1
		.amdhsa_next_free_vgpr 27
		.amdhsa_next_free_sgpr 32
		.amdhsa_accum_offset 28
		.amdhsa_reserve_vcc 1
		.amdhsa_reserve_flat_scratch 0
		.amdhsa_float_round_mode_32 0
		.amdhsa_float_round_mode_16_64 0
		.amdhsa_float_denorm_mode_32 3
		.amdhsa_float_denorm_mode_16_64 3
		.amdhsa_dx10_clamp 1
		.amdhsa_ieee_mode 1
		.amdhsa_fp16_overflow 0
		.amdhsa_tg_split 0
		.amdhsa_exception_fp_ieee_invalid_op 0
		.amdhsa_exception_fp_denorm_src 0
		.amdhsa_exception_fp_ieee_div_zero 0
		.amdhsa_exception_fp_ieee_overflow 0
		.amdhsa_exception_fp_ieee_underflow 0
		.amdhsa_exception_fp_ieee_inexact 0
		.amdhsa_exception_int_div_zero 0
	.end_amdhsa_kernel
	.section	.text._ZN4vllm3moe17topkGatingSoftmaxIfLi8ELi8ELi8ELi32ELb0ELi1ELNS0_23SharedExpertScoringFuncE1EEEvPKT_PKbPfiPiS9_iiiiii,"axG",@progbits,_ZN4vllm3moe17topkGatingSoftmaxIfLi8ELi8ELi8ELi32ELb0ELi1ELNS0_23SharedExpertScoringFuncE1EEEvPKT_PKbPfiPiS9_iiiiii,comdat
.Lfunc_end34:
	.size	_ZN4vllm3moe17topkGatingSoftmaxIfLi8ELi8ELi8ELi32ELb0ELi1ELNS0_23SharedExpertScoringFuncE1EEEvPKT_PKbPfiPiS9_iiiiii, .Lfunc_end34-_ZN4vllm3moe17topkGatingSoftmaxIfLi8ELi8ELi8ELi32ELb0ELi1ELNS0_23SharedExpertScoringFuncE1EEEvPKT_PKbPfiPiS9_iiiiii
                                        ; -- End function
	.section	.AMDGPU.csdata,"",@progbits
; Kernel info:
; codeLenInByte = 2536
; NumSgprs: 36
; NumVgprs: 27
; NumAgprs: 0
; TotalNumVgprs: 27
; ScratchSize: 0
; MemoryBound: 0
; FloatMode: 240
; IeeeMode: 1
; LDSByteSize: 0 bytes/workgroup (compile time only)
; SGPRBlocks: 4
; VGPRBlocks: 3
; NumSGPRsForWavesPerEU: 36
; NumVGPRsForWavesPerEU: 27
; AccumOffset: 28
; Occupancy: 8
; WaveLimiterHint : 0
; COMPUTE_PGM_RSRC2:SCRATCH_EN: 0
; COMPUTE_PGM_RSRC2:USER_SGPR: 6
; COMPUTE_PGM_RSRC2:TRAP_HANDLER: 0
; COMPUTE_PGM_RSRC2:TGID_X_EN: 1
; COMPUTE_PGM_RSRC2:TGID_Y_EN: 0
; COMPUTE_PGM_RSRC2:TGID_Z_EN: 0
; COMPUTE_PGM_RSRC2:TIDIG_COMP_CNT: 1
; COMPUTE_PGM_RSRC3_GFX90A:ACCUM_OFFSET: 6
; COMPUTE_PGM_RSRC3_GFX90A:TG_SPLIT: 0
	.section	.text._ZN4vllm3moe17topkGatingSoftmaxIfLi8ELi8ELi8ELi32ELb1ELi2ELNS0_23SharedExpertScoringFuncE1EEEvPKT_PKbPfiPiS9_iiiiii,"axG",@progbits,_ZN4vllm3moe17topkGatingSoftmaxIfLi8ELi8ELi8ELi32ELb1ELi2ELNS0_23SharedExpertScoringFuncE1EEEvPKT_PKbPfiPiS9_iiiiii,comdat
	.protected	_ZN4vllm3moe17topkGatingSoftmaxIfLi8ELi8ELi8ELi32ELb1ELi2ELNS0_23SharedExpertScoringFuncE1EEEvPKT_PKbPfiPiS9_iiiiii ; -- Begin function _ZN4vllm3moe17topkGatingSoftmaxIfLi8ELi8ELi8ELi32ELb1ELi2ELNS0_23SharedExpertScoringFuncE1EEEvPKT_PKbPfiPiS9_iiiiii
	.globl	_ZN4vllm3moe17topkGatingSoftmaxIfLi8ELi8ELi8ELi32ELb1ELi2ELNS0_23SharedExpertScoringFuncE1EEEvPKT_PKbPfiPiS9_iiiiii
	.p2align	8
	.type	_ZN4vllm3moe17topkGatingSoftmaxIfLi8ELi8ELi8ELi32ELb1ELi2ELNS0_23SharedExpertScoringFuncE1EEEvPKT_PKbPfiPiS9_iiiiii,@function
_ZN4vllm3moe17topkGatingSoftmaxIfLi8ELi8ELi8ELi32ELb1ELi2ELNS0_23SharedExpertScoringFuncE1EEEvPKT_PKbPfiPiS9_iiiiii: ; @_ZN4vllm3moe17topkGatingSoftmaxIfLi8ELi8ELi8ELi32ELb1ELi2ELNS0_23SharedExpertScoringFuncE1EEEvPKT_PKbPfiPiS9_iiiiii
; %bb.0:
	s_load_dword s28, s[4:5], 0x18
	v_bfe_u32 v1, v0, 10, 10
	s_lshl_b32 s6, s6, 9
	v_lshlrev_b32_e32 v18, 6, v1
	v_and_b32_e32 v19, 0x3ff, v0
	v_add3_u32 v21, v18, v19, s6
	s_waitcnt lgkmcnt(0)
	v_cmp_gt_i32_e32 vcc, s28, v21
	s_and_saveexec_b64 s[0:1], vcc
	s_cbranch_execz .LBB35_19
; %bb.1:
	s_load_dwordx4 s[0:3], s[4:5], 0x0
	s_load_dwordx2 s[18:19], s[4:5], 0x10
	s_waitcnt lgkmcnt(0)
	s_cmp_eq_u64 s[2:3], 0
	s_cbranch_scc1 .LBB35_3
; %bb.2:
	v_ashrrev_i32_e32 v1, 31, v21
	v_mov_b32_e32 v2, s3
	v_add_co_u32_e32 v0, vcc, s2, v21
	v_addc_co_u32_e32 v1, vcc, v2, v1, vcc
	global_load_ubyte v0, v[0:1], off
	s_waitcnt vmcnt(0)
	v_and_b32_e32 v0, 1, v0
	v_cmp_eq_u32_e32 vcc, 1, v0
	s_xor_b64 s[2:3], vcc, -1
	s_orn2_b64 s[24:25], s[2:3], exec
	s_branch .LBB35_4
.LBB35_3:
	s_mov_b64 s[24:25], -1
.LBB35_4:
	s_load_dwordx2 s[2:3], s[4:5], 0x40
	s_load_dwordx4 s[20:23], s[4:5], 0x30
	v_mov_b32_e32 v2, s1
	s_mov_b32 s7, 0x42ce8ed0
	s_mov_b32 s8, 0xc2b17218
	s_waitcnt lgkmcnt(0)
	v_mul_lo_u32 v0, v21, s3
	v_ashrrev_i32_e32 v1, 31, v0
	v_lshlrev_b64 v[0:1], 2, v[0:1]
	v_add_co_u32_e32 v10, vcc, s0, v0
	v_addc_co_u32_e32 v11, vcc, v2, v1, vcc
	global_load_dword v14, v[10:11], off offset:32
	s_mov_b32 s3, 0xbfb8aa3b
	v_mov_b32_e32 v9, 0x7f800000
	v_mul_lo_u32 v8, v21, s23
	v_add_u32_e32 v0, s20, v8
	v_ashrrev_i32_e32 v1, 31, v0
	v_lshlrev_b64 v[12:13], 2, v[0:1]
	v_mov_b32_e32 v15, s19
	s_cmp_gt_i32 s20, 0
	s_cselect_b64 s[26:27], -1, 0
	s_cmp_lt_i32 s20, 1
	s_waitcnt vmcnt(0)
	v_mul_f32_e32 v2, 0xbfb8aa3b, v14
	v_fma_f32 v3, v14, s3, -v2
	v_rndne_f32_e32 v4, v2
	v_fmac_f32_e32 v3, 0xb2a5705f, v14
	v_sub_f32_e32 v2, v2, v4
	v_add_f32_e32 v2, v2, v3
	v_cvt_i32_f32_e32 v16, v4
	v_exp_f32_e32 v17, v2
	v_cmp_nlt_f32_e32 vcc, s7, v14
	global_load_dwordx4 v[4:7], v[10:11], off offset:16
	global_load_dwordx4 v[0:3], v[10:11], off
	v_ldexp_f32 v16, v17, v16
	v_cndmask_b32_e32 v16, 0, v16, vcc
	v_cmp_ngt_f32_e32 vcc, s8, v14
	v_cndmask_b32_e32 v14, v9, v16, vcc
	v_add_f32_e32 v14, 1.0, v14
	v_div_scale_f32 v16, s[0:1], v14, v14, 1.0
	v_rcp_f32_e32 v17, v16
	v_add_co_u32_e32 v12, vcc, s18, v12
	v_addc_co_u32_e32 v13, vcc, v15, v13, vcc
	v_fma_f32 v20, -v16, v17, 1.0
	v_div_scale_f32 v15, vcc, 1.0, v14, 1.0
	v_fmac_f32_e32 v17, v20, v17
	v_mul_f32_e32 v20, v15, v17
	v_fma_f32 v22, -v16, v20, v15
	v_fmac_f32_e32 v20, v22, v17
	v_fma_f32 v15, -v16, v20, v15
	v_div_fmas_f32 v15, v15, v17, v20
	v_div_fixup_f32 v14, v15, v14, 1.0
	global_store_dword v[12:13], v14, off
	global_load_dword v10, v[10:11], off offset:36
	v_mov_b32_e32 v20, 0
	s_waitcnt vmcnt(0)
	v_mul_f32_e32 v11, 0xbfb8aa3b, v10
	v_fma_f32 v14, v10, s3, -v11
	v_rndne_f32_e32 v15, v11
	v_fmac_f32_e32 v14, 0xb2a5705f, v10
	v_sub_f32_e32 v11, v11, v15
	v_add_f32_e32 v11, v11, v14
	v_cvt_i32_f32_e32 v15, v15
	v_exp_f32_e32 v11, v11
	v_cmp_nlt_f32_e32 vcc, s7, v10
	v_ldexp_f32 v11, v11, v15
	v_cndmask_b32_e32 v11, 0, v11, vcc
	v_cmp_ngt_f32_e32 vcc, s8, v10
	v_cndmask_b32_e32 v10, v9, v11, vcc
	v_add_f32_e32 v10, 1.0, v10
	v_div_scale_f32 v11, s[0:1], v10, v10, 1.0
	v_rcp_f32_e32 v14, v11
	v_div_scale_f32 v15, vcc, 1.0, v10, 1.0
	v_fma_f32 v16, -v11, v14, 1.0
	v_fmac_f32_e32 v14, v16, v14
	v_mul_f32_e32 v16, v15, v14
	v_fma_f32 v17, -v11, v16, v15
	v_fmac_f32_e32 v16, v17, v14
	v_fma_f32 v11, -v11, v16, v15
	v_div_fmas_f32 v11, v11, v14, v16
	v_div_fixup_f32 v10, v11, v10, 1.0
	global_store_dword v[12:13], v10, off offset:4
	s_cbranch_scc1 .LBB35_8
; %bb.5:
	v_cmp_lt_f32_e32 vcc, v0, v1
	v_cndmask_b32_e32 v11, v0, v1, vcc
	v_cndmask_b32_e64 v10, 0, 1, vcc
	v_cmp_lt_f32_e32 vcc, v11, v2
	v_cndmask_b32_e32 v11, v11, v2, vcc
	v_cndmask_b32_e64 v10, v10, 2, vcc
	;; [unrolled: 3-line block ×6, first 2 shown]
	v_cmp_lt_f32_e32 vcc, v11, v7
	v_cndmask_b32_e32 v22, v11, v7, vcc
	v_sub_f32_e32 v11, v22, v22
	s_mov_b32 s23, 0x3fb8aa3b
	v_mul_f32_e32 v12, 0x3fb8aa3b, v11
	v_fma_f32 v13, v11, s23, -v12
	v_rndne_f32_e32 v14, v12
	v_fmac_f32_e32 v13, 0x32a5705f, v11
	v_sub_f32_e32 v12, v12, v14
	v_add_f32_e32 v12, v12, v13
	v_exp_f32_e32 v12, v12
	v_cvt_i32_f32_e32 v13, v14
	v_cndmask_b32_e64 v23, v10, 7, vcc
	v_cmp_le_i32_e32 vcc, s21, v23
	v_cmp_gt_i32_e64 s[0:1], s22, v23
	s_mov_b32 s29, 0xc2ce8ed0
	v_mul_lo_u32 v10, v21, s2
	s_and_b64 s[2:3], vcc, s[0:1]
	v_ldexp_f32 v12, v12, v13
	v_cmp_ngt_f32_e32 vcc, s29, v11
	s_mov_b32 s30, 0x42b17218
	v_cndmask_b32_e32 v12, 0, v12, vcc
	v_cmp_nlt_f32_e32 vcc, s30, v11
	s_load_dwordx4 s[8:11], s[4:5], 0x20
	v_cndmask_b32_e32 v20, v9, v12, vcc
	v_ashrrev_i32_e32 v9, 31, v8
	v_lshlrev_b64 v[14:15], 2, v[8:9]
	v_mov_b32_e32 v9, s19
	v_add_co_u32_e32 v16, vcc, s18, v14
	v_addc_co_u32_e64 v17, s[0:1], v9, v15, vcc
	v_ashrrev_i32_e32 v11, 31, v10
	v_subrev_u32_e32 v9, s21, v23
	s_and_b64 s[0:1], s[24:25], s[2:3]
	v_lshlrev_b64 v[12:13], 2, v[10:11]
	v_mul_lo_u32 v24, v21, s20
	v_cndmask_b32_e64 v9, 8, v9, s[0:1]
	s_waitcnt lgkmcnt(0)
	v_mov_b32_e32 v11, s9
	v_add_co_u32_e64 v10, s[0:1], s8, v12
	v_addc_co_u32_e64 v11, s[0:1], v11, v13, s[0:1]
	v_ashrrev_i32_e32 v25, 31, v24
	global_store_dword v[10:11], v9, off
	v_lshlrev_b64 v[10:11], 2, v[24:25]
	v_mov_b32_e32 v9, s11
	v_add_co_u32_e64 v24, s[0:1], s10, v10
	v_addc_co_u32_e64 v25, s[0:1], v9, v11, s[0:1]
	s_cmp_eq_u32 s20, 1
	global_store_dword v[16:17], v20, off
	global_store_dword v[24:25], v21, off
	s_cbranch_scc1 .LBB35_8
; %bb.6:
	v_mov_b32_e32 v14, s11
	v_add_co_u32_e64 v10, s[4:5], s10, v10
	v_addc_co_u32_e64 v11, s[4:5], v11, v14, s[4:5]
	v_add_co_u32_e64 v10, s[4:5], 4, v10
	v_addc_co_u32_e64 v11, s[4:5], 0, v11, s[4:5]
	v_mov_b32_e32 v9, 0xff800000
	v_cmp_ne_u32_e64 s[0:1], 7, v23
	v_mov_b32_e32 v14, s9
	v_add_co_u32_e64 v12, s[4:5], s8, v12
	v_cndmask_b32_e64 v7, v9, v7, s[0:1]
	v_cmp_ne_u32_e64 s[0:1], 6, v23
	v_addc_co_u32_e64 v13, s[4:5], v13, v14, s[4:5]
	v_mov_b32_e32 v14, s19
	v_cndmask_b32_e64 v6, v9, v6, s[0:1]
	v_cmp_ne_u32_e64 s[0:1], 5, v23
	v_addc_co_u32_e32 v15, vcc, v15, v14, vcc
	v_cndmask_b32_e64 v5, v9, v5, s[0:1]
	v_cmp_ne_u32_e64 s[0:1], 4, v23
	v_add_co_u32_e32 v14, vcc, 4, v16
	v_cndmask_b32_e64 v4, v9, v4, s[0:1]
	v_cmp_ne_u32_e64 s[0:1], 3, v23
	v_addc_co_u32_e32 v15, vcc, 0, v15, vcc
	v_cndmask_b32_e64 v3, v9, v3, s[0:1]
	v_cmp_ne_u32_e64 s[0:1], 1, v23
	v_cmp_ne_u32_e64 s[2:3], 0, v23
	v_add_co_u32_e64 v12, s[4:5], 4, v12
	s_add_i32 s6, s6, s28
	v_cmp_ne_u32_e32 vcc, 2, v23
	v_addc_co_u32_e64 v13, s[4:5], 0, v13, s[4:5]
	v_add3_u32 v16, s6, v19, v18
	v_cndmask_b32_e32 v2, v9, v2, vcc
	s_add_i32 s31, s20, -1
	v_mov_b32_e32 v17, 0x7f800000
	v_cndmask_b32_e64 v1, v9, v1, s[0:1]
	v_cndmask_b32_e64 v0, v9, v0, s[2:3]
.LBB35_7:                               ; =>This Inner Loop Header: Depth=1
	v_cmp_gt_f32_e32 vcc, v1, v0
	v_cndmask_b32_e32 v18, v0, v1, vcc
	v_cmp_gt_f32_e64 s[0:1], v2, v18
	v_cndmask_b32_e64 v18, v18, v2, s[0:1]
	v_cmp_gt_f32_e64 s[2:3], v3, v18
	v_cndmask_b32_e64 v18, v18, v3, s[2:3]
	;; [unrolled: 2-line block ×6, first 2 shown]
	v_sub_f32_e32 v18, v18, v22
	v_mul_f32_e32 v19, 0x3fb8aa3b, v18
	v_fma_f32 v21, v18, s23, -v19
	v_rndne_f32_e32 v23, v19
	v_fmac_f32_e32 v21, 0x32a5705f, v18
	v_sub_f32_e32 v19, v19, v23
	v_add_f32_e32 v19, v19, v21
	v_cndmask_b32_e64 v21, 0, 1, vcc
	v_cndmask_b32_e64 v21, v21, 2, s[0:1]
	v_cndmask_b32_e64 v21, v21, 3, s[2:3]
	;; [unrolled: 1-line block ×6, first 2 shown]
	v_cmp_le_i32_e32 vcc, s21, v21
	v_cmp_gt_i32_e64 s[0:1], s22, v21
	s_and_b64 s[0:1], vcc, s[0:1]
	v_cmp_ne_u32_e64 s[2:3], 7, v21
	v_cmp_ne_u32_e64 s[4:5], 6, v21
	;; [unrolled: 1-line block ×8, first 2 shown]
	v_subrev_u32_e32 v21, s21, v21
	s_and_b64 vcc, s[24:25], s[0:1]
	v_cndmask_b32_e32 v21, 8, v21, vcc
	global_store_dword v[12:13], v21, off
	v_cvt_i32_f32_e32 v21, v23
	v_exp_f32_e32 v19, v19
	v_cmp_ngt_f32_e32 vcc, s29, v18
	global_store_dword v[10:11], v16, off
	s_add_i32 s31, s31, -1
	v_ldexp_f32 v19, v19, v21
	v_cndmask_b32_e32 v19, 0, v19, vcc
	v_cmp_nlt_f32_e32 vcc, s30, v18
	v_cndmask_b32_e32 v18, v17, v19, vcc
	v_add_co_u32_e32 v10, vcc, 4, v10
	v_addc_co_u32_e32 v11, vcc, 0, v11, vcc
	v_add_co_u32_e32 v12, vcc, 4, v12
	v_addc_co_u32_e32 v13, vcc, 0, v13, vcc
	global_store_dword v[14:15], v18, off
	v_add_co_u32_e32 v14, vcc, 4, v14
	v_add_f32_e32 v20, v20, v18
	v_cndmask_b32_e64 v7, v9, v7, s[2:3]
	v_cndmask_b32_e64 v6, v9, v6, s[4:5]
	;; [unrolled: 1-line block ×8, first 2 shown]
	v_add_u32_e32 v16, s28, v16
	s_cmp_eq_u32 s31, 0
	v_addc_co_u32_e32 v15, vcc, 0, v15, vcc
	s_cbranch_scc0 .LBB35_7
.LBB35_8:
	v_cmp_neq_f32_e32 vcc, 0, v20
	s_and_b64 exec, exec, vcc
	s_cbranch_execz .LBB35_19
; %bb.9:
	s_andn2_b64 vcc, exec, s[26:27]
	s_cbranch_vccnz .LBB35_19
; %bb.10:
	v_div_scale_f32 v0, s[0:1], v20, v20, 1.0
	v_rcp_f32_e32 v1, v0
	v_div_scale_f32 v2, vcc, 1.0, v20, 1.0
	s_cmp_gt_u32 s20, 3
	v_fma_f32 v3, -v0, v1, 1.0
	v_fmac_f32_e32 v1, v3, v1
	v_mul_f32_e32 v3, v2, v1
	v_fma_f32 v4, -v0, v3, v2
	v_fmac_f32_e32 v3, v4, v1
	v_fma_f32 v0, -v0, v3, v2
	v_div_fmas_f32 v0, v0, v1, v3
	v_div_fixup_f32 v0, v0, v20, 1.0
	v_ashrrev_i32_e32 v9, 31, v8
	s_cbranch_scc0 .LBB35_14
; %bb.11:
	v_lshlrev_b64 v[2:3], 2, v[8:9]
	v_mov_b32_e32 v4, s19
	v_add_co_u32_e32 v2, vcc, s18, v2
	v_addc_co_u32_e32 v3, vcc, v3, v4, vcc
	s_and_b32 s4, s20, 0x7ffffffc
	v_add_co_u32_e32 v2, vcc, 8, v2
	v_mov_b32_e32 v1, v0
	v_addc_co_u32_e32 v3, vcc, 0, v3, vcc
	s_mov_b32 s0, s4
.LBB35_12:                              ; =>This Inner Loop Header: Depth=1
	global_load_dwordx4 v[4:7], v[2:3], off offset:-8
	s_add_i32 s0, s0, -4
	s_cmp_lg_u32 s0, 0
	s_waitcnt vmcnt(0)
	v_pk_mul_f32 v[4:5], v[0:1], v[4:5]
	v_pk_mul_f32 v[6:7], v[0:1], v[6:7]
	global_store_dwordx4 v[2:3], v[4:7], off offset:-8
	v_add_co_u32_e32 v2, vcc, 16, v2
	v_addc_co_u32_e32 v3, vcc, 0, v3, vcc
	s_cbranch_scc1 .LBB35_12
; %bb.13:
	s_cmp_lg_u32 s4, s20
	s_cselect_b64 s[0:1], -1, 0
	s_branch .LBB35_16
.LBB35_14:
	s_mov_b64 s[0:1], 0
                                        ; implicit-def: $sgpr4
	s_cbranch_execz .LBB35_16
; %bb.15:
	s_mov_b64 s[0:1], -1
	s_mov_b32 s4, 0
.LBB35_16:
	s_andn2_b64 vcc, exec, s[0:1]
	s_cbranch_vccnz .LBB35_19
; %bb.17:
	v_add_co_u32_e32 v2, vcc, s4, v8
	v_addc_co_u32_e32 v3, vcc, 0, v9, vcc
	v_lshlrev_b64 v[2:3], 2, v[2:3]
	v_mov_b32_e32 v1, s19
	v_add_co_u32_e32 v2, vcc, s18, v2
	s_sub_i32 s0, s20, s4
	v_addc_co_u32_e32 v3, vcc, v1, v3, vcc
.LBB35_18:                              ; =>This Inner Loop Header: Depth=1
	global_load_dword v1, v[2:3], off
	s_add_i32 s0, s0, -1
	s_cmp_lg_u32 s0, 0
	s_waitcnt vmcnt(0)
	v_mul_f32_e32 v1, v0, v1
	global_store_dword v[2:3], v1, off
	v_add_co_u32_e32 v2, vcc, 4, v2
	v_addc_co_u32_e32 v3, vcc, 0, v3, vcc
	s_cbranch_scc1 .LBB35_18
.LBB35_19:
	s_endpgm
	.section	.rodata,"a",@progbits
	.p2align	6, 0x0
	.amdhsa_kernel _ZN4vllm3moe17topkGatingSoftmaxIfLi8ELi8ELi8ELi32ELb1ELi2ELNS0_23SharedExpertScoringFuncE1EEEvPKT_PKbPfiPiS9_iiiiii
		.amdhsa_group_segment_fixed_size 0
		.amdhsa_private_segment_fixed_size 0
		.amdhsa_kernarg_size 72
		.amdhsa_user_sgpr_count 6
		.amdhsa_user_sgpr_private_segment_buffer 1
		.amdhsa_user_sgpr_dispatch_ptr 0
		.amdhsa_user_sgpr_queue_ptr 0
		.amdhsa_user_sgpr_kernarg_segment_ptr 1
		.amdhsa_user_sgpr_dispatch_id 0
		.amdhsa_user_sgpr_flat_scratch_init 0
		.amdhsa_user_sgpr_kernarg_preload_length 0
		.amdhsa_user_sgpr_kernarg_preload_offset 0
		.amdhsa_user_sgpr_private_segment_size 0
		.amdhsa_uses_dynamic_stack 0
		.amdhsa_system_sgpr_private_segment_wavefront_offset 0
		.amdhsa_system_sgpr_workgroup_id_x 1
		.amdhsa_system_sgpr_workgroup_id_y 0
		.amdhsa_system_sgpr_workgroup_id_z 0
		.amdhsa_system_sgpr_workgroup_info 0
		.amdhsa_system_vgpr_workitem_id 1
		.amdhsa_next_free_vgpr 26
		.amdhsa_next_free_sgpr 32
		.amdhsa_accum_offset 28
		.amdhsa_reserve_vcc 1
		.amdhsa_reserve_flat_scratch 0
		.amdhsa_float_round_mode_32 0
		.amdhsa_float_round_mode_16_64 0
		.amdhsa_float_denorm_mode_32 3
		.amdhsa_float_denorm_mode_16_64 3
		.amdhsa_dx10_clamp 1
		.amdhsa_ieee_mode 1
		.amdhsa_fp16_overflow 0
		.amdhsa_tg_split 0
		.amdhsa_exception_fp_ieee_invalid_op 0
		.amdhsa_exception_fp_denorm_src 0
		.amdhsa_exception_fp_ieee_div_zero 0
		.amdhsa_exception_fp_ieee_overflow 0
		.amdhsa_exception_fp_ieee_underflow 0
		.amdhsa_exception_fp_ieee_inexact 0
		.amdhsa_exception_int_div_zero 0
	.end_amdhsa_kernel
	.section	.text._ZN4vllm3moe17topkGatingSoftmaxIfLi8ELi8ELi8ELi32ELb1ELi2ELNS0_23SharedExpertScoringFuncE1EEEvPKT_PKbPfiPiS9_iiiiii,"axG",@progbits,_ZN4vllm3moe17topkGatingSoftmaxIfLi8ELi8ELi8ELi32ELb1ELi2ELNS0_23SharedExpertScoringFuncE1EEEvPKT_PKbPfiPiS9_iiiiii,comdat
.Lfunc_end35:
	.size	_ZN4vllm3moe17topkGatingSoftmaxIfLi8ELi8ELi8ELi32ELb1ELi2ELNS0_23SharedExpertScoringFuncE1EEEvPKT_PKbPfiPiS9_iiiiii, .Lfunc_end35-_ZN4vllm3moe17topkGatingSoftmaxIfLi8ELi8ELi8ELi32ELb1ELi2ELNS0_23SharedExpertScoringFuncE1EEEvPKT_PKbPfiPiS9_iiiiii
                                        ; -- End function
	.section	.AMDGPU.csdata,"",@progbits
; Kernel info:
; codeLenInByte = 2028
; NumSgprs: 36
; NumVgprs: 26
; NumAgprs: 0
; TotalNumVgprs: 26
; ScratchSize: 0
; MemoryBound: 0
; FloatMode: 240
; IeeeMode: 1
; LDSByteSize: 0 bytes/workgroup (compile time only)
; SGPRBlocks: 4
; VGPRBlocks: 3
; NumSGPRsForWavesPerEU: 36
; NumVGPRsForWavesPerEU: 26
; AccumOffset: 28
; Occupancy: 8
; WaveLimiterHint : 0
; COMPUTE_PGM_RSRC2:SCRATCH_EN: 0
; COMPUTE_PGM_RSRC2:USER_SGPR: 6
; COMPUTE_PGM_RSRC2:TRAP_HANDLER: 0
; COMPUTE_PGM_RSRC2:TGID_X_EN: 1
; COMPUTE_PGM_RSRC2:TGID_Y_EN: 0
; COMPUTE_PGM_RSRC2:TGID_Z_EN: 0
; COMPUTE_PGM_RSRC2:TIDIG_COMP_CNT: 1
; COMPUTE_PGM_RSRC3_GFX90A:ACCUM_OFFSET: 6
; COMPUTE_PGM_RSRC3_GFX90A:TG_SPLIT: 0
	.section	.text._ZN4vllm3moe17topkGatingSoftmaxIfLi8ELi8ELi8ELi32ELb0ELi2ELNS0_23SharedExpertScoringFuncE1EEEvPKT_PKbPfiPiS9_iiiiii,"axG",@progbits,_ZN4vllm3moe17topkGatingSoftmaxIfLi8ELi8ELi8ELi32ELb0ELi2ELNS0_23SharedExpertScoringFuncE1EEEvPKT_PKbPfiPiS9_iiiiii,comdat
	.protected	_ZN4vllm3moe17topkGatingSoftmaxIfLi8ELi8ELi8ELi32ELb0ELi2ELNS0_23SharedExpertScoringFuncE1EEEvPKT_PKbPfiPiS9_iiiiii ; -- Begin function _ZN4vllm3moe17topkGatingSoftmaxIfLi8ELi8ELi8ELi32ELb0ELi2ELNS0_23SharedExpertScoringFuncE1EEEvPKT_PKbPfiPiS9_iiiiii
	.globl	_ZN4vllm3moe17topkGatingSoftmaxIfLi8ELi8ELi8ELi32ELb0ELi2ELNS0_23SharedExpertScoringFuncE1EEEvPKT_PKbPfiPiS9_iiiiii
	.p2align	8
	.type	_ZN4vllm3moe17topkGatingSoftmaxIfLi8ELi8ELi8ELi32ELb0ELi2ELNS0_23SharedExpertScoringFuncE1EEEvPKT_PKbPfiPiS9_iiiiii,@function
_ZN4vllm3moe17topkGatingSoftmaxIfLi8ELi8ELi8ELi32ELb0ELi2ELNS0_23SharedExpertScoringFuncE1EEEvPKT_PKbPfiPiS9_iiiiii: ; @_ZN4vllm3moe17topkGatingSoftmaxIfLi8ELi8ELi8ELi32ELb0ELi2ELNS0_23SharedExpertScoringFuncE1EEEvPKT_PKbPfiPiS9_iiiiii
; %bb.0:
	s_load_dword s30, s[4:5], 0x18
	v_bfe_u32 v1, v0, 10, 10
	s_lshl_b32 s31, s6, 9
	v_lshlrev_b32_e32 v21, 6, v1
	v_and_b32_e32 v22, 0x3ff, v0
	v_add3_u32 v23, v21, v22, s31
	s_waitcnt lgkmcnt(0)
	v_cmp_gt_i32_e32 vcc, s30, v23
	s_and_saveexec_b64 s[0:1], vcc
	s_cbranch_execz .LBB36_19
; %bb.1:
	s_load_dwordx4 s[0:3], s[4:5], 0x0
	s_load_dwordx2 s[14:15], s[4:5], 0x10
	s_waitcnt lgkmcnt(0)
	s_cmp_eq_u64 s[2:3], 0
	s_cbranch_scc1 .LBB36_3
; %bb.2:
	v_ashrrev_i32_e32 v1, 31, v23
	v_mov_b32_e32 v2, s3
	v_add_co_u32_e32 v0, vcc, s2, v23
	v_addc_co_u32_e32 v1, vcc, v2, v1, vcc
	global_load_ubyte v0, v[0:1], off
	s_waitcnt vmcnt(0)
	v_and_b32_e32 v0, 1, v0
	v_cmp_eq_u32_e32 vcc, 1, v0
	s_xor_b64 s[2:3], vcc, -1
	s_orn2_b64 s[26:27], s[2:3], exec
	s_branch .LBB36_4
.LBB36_3:
	s_mov_b64 s[26:27], -1
.LBB36_4:
	s_load_dwordx2 s[28:29], s[4:5], 0x40
	s_load_dwordx4 s[16:19], s[4:5], 0x30
	v_mov_b32_e32 v2, s1
	s_mov_b32 s8, 0xbfb8aa3b
	s_mov_b32 s12, 0x42ce8ed0
	s_waitcnt lgkmcnt(0)
	v_mul_lo_u32 v0, v23, s29
	v_ashrrev_i32_e32 v1, 31, v0
	v_lshlrev_b64 v[0:1], 2, v[0:1]
	v_add_co_u32_e32 v12, vcc, s0, v0
	v_addc_co_u32_e32 v13, vcc, v2, v1, vcc
	global_load_dword v9, v[12:13], off offset:32
	s_mov_b32 s13, 0xc2b17218
	v_mov_b32_e32 v11, 0x7f800000
	v_mul_lo_u32 v8, v23, s19
	v_add_u32_e32 v0, s16, v8
	v_ashrrev_i32_e32 v1, 31, v0
	v_lshlrev_b64 v[14:15], 2, v[0:1]
	v_mov_b32_e32 v10, s15
	s_cmp_gt_i32 s16, 0
	v_mov_b32_e32 v20, 0
	s_cselect_b64 s[24:25], -1, 0
	s_cmp_lt_i32 s16, 1
	s_waitcnt vmcnt(0)
	v_mul_f32_e32 v2, 0xbfb8aa3b, v9
	v_fma_f32 v3, v9, s8, -v2
	v_rndne_f32_e32 v4, v2
	v_fmac_f32_e32 v3, 0xb2a5705f, v9
	v_sub_f32_e32 v2, v2, v4
	v_add_f32_e32 v2, v2, v3
	v_cvt_i32_f32_e32 v16, v4
	v_exp_f32_e32 v17, v2
	v_cmp_nlt_f32_e32 vcc, s12, v9
	global_load_dwordx4 v[0:3], v[12:13], off offset:16
	global_load_dwordx4 v[4:7], v[12:13], off
	v_ldexp_f32 v16, v17, v16
	v_cndmask_b32_e32 v16, 0, v16, vcc
	v_cmp_ngt_f32_e32 vcc, s13, v9
	v_cndmask_b32_e32 v9, v11, v16, vcc
	v_add_f32_e32 v9, 1.0, v9
	v_div_scale_f32 v16, s[0:1], v9, v9, 1.0
	v_rcp_f32_e32 v17, v16
	v_add_co_u32_e32 v14, vcc, s14, v14
	v_addc_co_u32_e32 v15, vcc, v10, v15, vcc
	v_fma_f32 v18, -v16, v17, 1.0
	v_div_scale_f32 v10, vcc, 1.0, v9, 1.0
	v_fmac_f32_e32 v17, v18, v17
	v_mul_f32_e32 v18, v10, v17
	v_fma_f32 v19, -v16, v18, v10
	v_fmac_f32_e32 v18, v19, v17
	v_fma_f32 v10, -v16, v18, v10
	v_div_fmas_f32 v10, v10, v17, v18
	v_div_fixup_f32 v9, v10, v9, 1.0
	global_store_dword v[14:15], v9, off
	global_load_dword v9, v[12:13], off offset:36
	s_waitcnt vmcnt(2)
	v_cmp_lt_f32_e64 s[0:1], v4, v5
	v_cndmask_b32_e64 v10, v4, v5, s[0:1]
	v_cmp_lt_f32_e64 s[2:3], v10, v6
	v_cndmask_b32_e64 v10, v10, v6, s[2:3]
	;; [unrolled: 2-line block ×3, first 2 shown]
	s_waitcnt vmcnt(0)
	v_mul_f32_e32 v12, 0xbfb8aa3b, v9
	v_fma_f32 v13, v9, s8, -v12
	v_rndne_f32_e32 v16, v12
	v_fmac_f32_e32 v13, 0xb2a5705f, v9
	v_sub_f32_e32 v12, v12, v16
	v_add_f32_e32 v12, v12, v13
	v_cvt_i32_f32_e32 v16, v16
	v_exp_f32_e32 v12, v12
	v_cmp_nlt_f32_e32 vcc, s12, v9
	v_cmp_lt_f32_e64 s[8:9], v10, v0
	v_cndmask_b32_e64 v10, v10, v0, s[8:9]
	v_ldexp_f32 v12, v12, v16
	v_cndmask_b32_e32 v12, 0, v12, vcc
	v_cmp_ngt_f32_e32 vcc, s13, v9
	v_cndmask_b32_e32 v9, v11, v12, vcc
	v_add_f32_e32 v9, 1.0, v9
	v_div_scale_f32 v12, s[12:13], v9, v9, 1.0
	v_rcp_f32_e32 v13, v12
	v_div_scale_f32 v16, vcc, 1.0, v9, 1.0
	v_cmp_lt_f32_e64 s[10:11], v10, v1
	v_fma_f32 v17, -v12, v13, 1.0
	v_fmac_f32_e32 v13, v17, v13
	v_mul_f32_e32 v17, v16, v13
	v_cndmask_b32_e64 v10, v10, v1, s[10:11]
	v_fma_f32 v18, -v12, v17, v16
	v_cmp_lt_f32_e64 s[12:13], v10, v2
	v_fmac_f32_e32 v17, v18, v13
	v_cndmask_b32_e64 v10, v10, v2, s[12:13]
	v_fma_f32 v12, -v12, v17, v16
	v_div_fmas_f32 v12, v12, v13, v17
	v_cmp_lt_f32_e32 vcc, v10, v3
	v_div_fixup_f32 v9, v12, v9, 1.0
	v_cndmask_b32_e32 v10, v10, v3, vcc
	global_store_dword v[14:15], v9, off offset:4
	s_cbranch_scc1 .LBB36_8
; %bb.5:
	v_cndmask_b32_e64 v9, 0, 1, s[0:1]
	v_cndmask_b32_e64 v9, v9, 2, s[2:3]
	;; [unrolled: 1-line block ×6, first 2 shown]
	v_cndmask_b32_e64 v26, v9, 7, vcc
	v_sub_f32_e32 v9, v10, v10
	v_mul_f32_e32 v13, 0x3fb8aa3b, v9
	s_load_dwordx4 s[20:23], s[4:5], 0x20
	s_mov_b32 s4, 0x3fb8aa3b
	v_rndne_f32_e32 v14, v13
	v_sub_f32_e32 v15, v13, v14
	v_fma_f32 v13, v9, s4, -v13
	v_fmac_f32_e32 v13, 0x32a5705f, v9
	v_add_f32_e32 v13, v15, v13
	v_exp_f32_e32 v13, v13
	v_cvt_i32_f32_e32 v14, v14
	v_cmp_le_i32_e32 vcc, s17, v26
	v_cmp_gt_i32_e64 s[0:1], s18, v26
	s_mov_b32 s5, 0xc2ce8ed0
	s_and_b64 s[2:3], vcc, s[0:1]
	v_ldexp_f32 v13, v13, v14
	v_cmp_ngt_f32_e32 vcc, s5, v9
	s_mov_b32 s6, 0x42b17218
	v_cndmask_b32_e32 v13, 0, v13, vcc
	v_cmp_nlt_f32_e32 vcc, s6, v9
	v_ashrrev_i32_e32 v9, 31, v8
	v_lshlrev_b64 v[16:17], 2, v[8:9]
	v_mul_lo_u32 v12, v23, s28
	v_cndmask_b32_e32 v20, v11, v13, vcc
	v_mov_b32_e32 v9, s15
	v_add_co_u32_e32 v18, vcc, s14, v16
	v_addc_co_u32_e64 v19, s[0:1], v9, v17, vcc
	v_ashrrev_i32_e32 v13, 31, v12
	v_subrev_u32_e32 v9, s17, v26
	s_and_b64 s[0:1], s[26:27], s[2:3]
	v_lshlrev_b64 v[14:15], 2, v[12:13]
	v_mul_lo_u32 v24, v23, s16
	v_cndmask_b32_e64 v9, 8, v9, s[0:1]
	s_waitcnt lgkmcnt(0)
	v_mov_b32_e32 v13, s21
	v_add_co_u32_e64 v12, s[0:1], s20, v14
	v_addc_co_u32_e64 v13, s[0:1], v13, v15, s[0:1]
	v_ashrrev_i32_e32 v25, 31, v24
	global_store_dword v[12:13], v9, off
	v_lshlrev_b64 v[12:13], 2, v[24:25]
	v_mov_b32_e32 v9, s23
	v_add_co_u32_e64 v24, s[0:1], s22, v12
	v_addc_co_u32_e64 v25, s[0:1], v9, v13, s[0:1]
	v_mov_b32_e32 v9, 0xff800000
	v_cmp_ne_u32_e64 s[0:1], 7, v26
	v_cndmask_b32_e64 v3, v9, v3, s[0:1]
	v_cmp_ne_u32_e64 s[0:1], 6, v26
	v_cndmask_b32_e64 v2, v9, v2, s[0:1]
	;; [unrolled: 2-line block ×7, first 2 shown]
	v_cmp_ne_u32_e64 s[0:1], 0, v26
	s_cmp_eq_u32 s16, 1
	v_cndmask_b32_e64 v4, v9, v4, s[0:1]
	global_store_dword v[18:19], v20, off
	global_store_dword v[24:25], v23, off
	s_cbranch_scc1 .LBB36_8
; %bb.6:
	v_mov_b32_e32 v16, s23
	v_add_co_u32_e64 v12, s[0:1], s22, v12
	v_addc_co_u32_e64 v13, s[0:1], v13, v16, s[0:1]
	v_add_co_u32_e64 v12, s[0:1], 4, v12
	v_addc_co_u32_e64 v13, s[0:1], 0, v13, s[0:1]
	v_mov_b32_e32 v16, s21
	v_add_co_u32_e64 v14, s[0:1], s20, v14
	v_addc_co_u32_e64 v15, s[0:1], v15, v16, s[0:1]
	v_mov_b32_e32 v16, s15
	v_addc_co_u32_e32 v17, vcc, v17, v16, vcc
	v_add_co_u32_e64 v14, s[0:1], 4, v14
	v_add_co_u32_e32 v16, vcc, 4, v18
	s_add_i32 s31, s31, s30
	v_addc_co_u32_e64 v15, s[0:1], 0, v15, s[0:1]
	v_addc_co_u32_e32 v17, vcc, 0, v17, vcc
	s_add_i32 s7, s16, -1
	v_add3_u32 v18, s31, v22, v21
	v_mov_b32_e32 v19, 0x7f800000
.LBB36_7:                               ; =>This Inner Loop Header: Depth=1
	v_cmp_gt_f32_e32 vcc, v5, v4
	v_cndmask_b32_e32 v21, v4, v5, vcc
	v_cmp_gt_f32_e64 s[0:1], v6, v21
	v_cndmask_b32_e64 v21, v21, v6, s[0:1]
	v_cndmask_b32_e64 v22, 0, 1, vcc
	v_cmp_gt_f32_e32 vcc, v7, v21
	v_cndmask_b32_e32 v21, v21, v7, vcc
	v_cndmask_b32_e64 v22, v22, 2, s[0:1]
	v_cmp_gt_f32_e64 s[0:1], v0, v21
	v_cndmask_b32_e64 v21, v21, v0, s[0:1]
	v_cndmask_b32_e64 v22, v22, 3, vcc
	v_cmp_gt_f32_e32 vcc, v1, v21
	v_cndmask_b32_e32 v21, v21, v1, vcc
	v_cndmask_b32_e64 v22, v22, 4, s[0:1]
	v_cmp_gt_f32_e64 s[0:1], v2, v21
	v_cndmask_b32_e64 v21, v21, v2, s[0:1]
	v_cndmask_b32_e64 v22, v22, 5, vcc
	v_cmp_gt_f32_e32 vcc, v3, v21
	v_cndmask_b32_e64 v22, v22, 6, s[0:1]
	v_cndmask_b32_e64 v22, v22, 7, vcc
	v_cmp_ne_u32_e64 s[2:3], 7, v22
	v_cndmask_b32_e32 v21, v21, v3, vcc
	v_cndmask_b32_e64 v3, v9, v3, s[2:3]
	v_cmp_ne_u32_e64 s[2:3], 6, v22
	v_cndmask_b32_e64 v2, v9, v2, s[2:3]
	v_cmp_ne_u32_e64 s[2:3], 5, v22
	;; [unrolled: 2-line block ×4, first 2 shown]
	v_sub_f32_e32 v21, v21, v10
	v_cndmask_b32_e64 v7, v9, v7, s[2:3]
	v_cmp_ne_u32_e64 s[2:3], 2, v22
	v_cmp_le_i32_e32 vcc, s17, v22
	v_cmp_gt_i32_e64 s[0:1], s18, v22
	v_mul_f32_e32 v23, 0x3fb8aa3b, v21
	v_cndmask_b32_e64 v6, v9, v6, s[2:3]
	v_cmp_ne_u32_e64 s[2:3], 1, v22
	v_subrev_u32_e32 v24, s17, v22
	v_cndmask_b32_e64 v5, v9, v5, s[2:3]
	v_cmp_ne_u32_e64 s[2:3], 0, v22
	s_and_b64 s[0:1], vcc, s[0:1]
	v_fma_f32 v22, v21, s4, -v23
	v_rndne_f32_e32 v25, v23
	v_fmac_f32_e32 v22, 0x32a5705f, v21
	v_sub_f32_e32 v23, v23, v25
	s_and_b64 vcc, s[26:27], s[0:1]
	v_cndmask_b32_e32 v24, 8, v24, vcc
	v_add_f32_e32 v22, v23, v22
	v_cvt_i32_f32_e32 v25, v25
	global_store_dword v[14:15], v24, off
	global_store_dword v[12:13], v18, off
	v_add_co_u32_e32 v12, vcc, 4, v12
	v_exp_f32_e32 v22, v22
	v_addc_co_u32_e32 v13, vcc, 0, v13, vcc
	v_add_co_u32_e32 v14, vcc, 4, v14
	v_addc_co_u32_e32 v15, vcc, 0, v15, vcc
	v_ldexp_f32 v22, v22, v25
	v_cmp_ngt_f32_e32 vcc, s5, v21
	v_cndmask_b32_e32 v22, 0, v22, vcc
	v_cmp_nlt_f32_e32 vcc, s6, v21
	v_cndmask_b32_e32 v21, v19, v22, vcc
	s_add_i32 s7, s7, -1
	global_store_dword v[16:17], v21, off
	v_add_co_u32_e32 v16, vcc, 4, v16
	v_cndmask_b32_e64 v4, v9, v4, s[2:3]
	v_add_u32_e32 v18, s30, v18
	s_cmp_eq_u32 s7, 0
	v_add_f32_e32 v20, v20, v21
	v_addc_co_u32_e32 v17, vcc, 0, v17, vcc
	s_cbranch_scc0 .LBB36_7
.LBB36_8:
	v_pk_add_f32 v[4:5], v[4:5], v[10:11] op_sel_hi:[1,0] neg_lo:[0,1] neg_hi:[0,1]
	s_mov_b32 s0, 0x3fb8aa3b
	v_mul_f32_e32 v9, 0x3fb8aa3b, v5
	v_fma_f32 v12, v5, s0, -v9
	v_rndne_f32_e32 v13, v9
	v_fmac_f32_e32 v12, 0x32a5705f, v5
	v_sub_f32_e32 v9, v9, v13
	v_add_f32_e32 v9, v9, v12
	v_exp_f32_e32 v9, v9
	v_cvt_i32_f32_e32 v12, v13
	s_mov_b32 s1, 0xc2ce8ed0
	v_cmp_ngt_f32_e32 vcc, s1, v5
	s_mov_b32 s2, 0x42b17218
	v_ldexp_f32 v9, v9, v12
	v_mul_f32_e32 v12, 0x3fb8aa3b, v4
	v_fma_f32 v13, v4, s0, -v12
	v_rndne_f32_e32 v14, v12
	v_fmac_f32_e32 v13, 0x32a5705f, v4
	v_sub_f32_e32 v12, v12, v14
	v_add_f32_e32 v12, v12, v13
	v_exp_f32_e32 v12, v12
	v_cvt_i32_f32_e32 v13, v14
	v_cndmask_b32_e32 v9, 0, v9, vcc
	v_cmp_nlt_f32_e32 vcc, s2, v5
	v_sub_f32_e32 v6, v6, v10
	v_cndmask_b32_e32 v5, v11, v9, vcc
	v_ldexp_f32 v9, v12, v13
	v_mul_f32_e32 v12, 0x3fb8aa3b, v6
	v_fma_f32 v13, v6, s0, -v12
	v_rndne_f32_e32 v14, v12
	v_fmac_f32_e32 v13, 0x32a5705f, v6
	v_sub_f32_e32 v12, v12, v14
	v_add_f32_e32 v12, v12, v13
	v_exp_f32_e32 v12, v12
	v_cvt_i32_f32_e32 v13, v14
	v_cmp_ngt_f32_e32 vcc, s1, v4
	v_cndmask_b32_e32 v9, 0, v9, vcc
	v_cmp_nlt_f32_e32 vcc, s2, v4
	v_sub_f32_e32 v7, v7, v10
	v_cndmask_b32_e32 v4, v11, v9, vcc
	v_mul_f32_e32 v9, 0x3fb8aa3b, v7
	v_add_f32_e32 v4, v4, v5
	v_ldexp_f32 v5, v12, v13
	v_fma_f32 v12, v7, s0, -v9
	v_rndne_f32_e32 v13, v9
	v_fmac_f32_e32 v12, 0x32a5705f, v7
	v_sub_f32_e32 v9, v9, v13
	v_add_f32_e32 v9, v9, v12
	v_exp_f32_e32 v9, v9
	v_cvt_i32_f32_e32 v12, v13
	v_cmp_ngt_f32_e32 vcc, s1, v6
	v_cndmask_b32_e32 v5, 0, v5, vcc
	v_cmp_nlt_f32_e32 vcc, s2, v6
	v_sub_f32_e32 v0, v0, v10
	v_cndmask_b32_e32 v5, v11, v5, vcc
	v_mul_f32_e32 v6, 0x3fb8aa3b, v0
	v_add_f32_e32 v4, v4, v5
	v_ldexp_f32 v5, v9, v12
	v_fma_f32 v9, v0, s0, -v6
	v_rndne_f32_e32 v12, v6
	v_fmac_f32_e32 v9, 0x32a5705f, v0
	v_sub_f32_e32 v6, v6, v12
	v_add_f32_e32 v6, v6, v9
	v_exp_f32_e32 v6, v6
	v_cvt_i32_f32_e32 v9, v12
	v_cmp_ngt_f32_e32 vcc, s1, v7
	v_cndmask_b32_e32 v5, 0, v5, vcc
	v_cmp_nlt_f32_e32 vcc, s2, v7
	v_cndmask_b32_e32 v5, v11, v5, vcc
	v_sub_f32_e32 v1, v1, v10
	v_add_f32_e32 v4, v4, v5
	v_ldexp_f32 v5, v6, v9
	v_mul_f32_e32 v6, 0x3fb8aa3b, v1
	v_fma_f32 v7, v1, s0, -v6
	v_rndne_f32_e32 v9, v6
	v_fmac_f32_e32 v7, 0x32a5705f, v1
	v_sub_f32_e32 v6, v6, v9
	v_add_f32_e32 v6, v6, v7
	v_exp_f32_e32 v6, v6
	v_cvt_i32_f32_e32 v7, v9
	v_cmp_ngt_f32_e32 vcc, s1, v0
	v_cndmask_b32_e32 v5, 0, v5, vcc
	v_cmp_nlt_f32_e32 vcc, s2, v0
	v_sub_f32_e32 v2, v2, v10
	v_cndmask_b32_e32 v0, v11, v5, vcc
	v_mul_f32_e32 v5, 0x3fb8aa3b, v2
	v_add_f32_e32 v0, v4, v0
	v_ldexp_f32 v4, v6, v7
	v_fma_f32 v6, v2, s0, -v5
	v_rndne_f32_e32 v7, v5
	v_fmac_f32_e32 v6, 0x32a5705f, v2
	v_sub_f32_e32 v5, v5, v7
	v_add_f32_e32 v5, v5, v6
	v_exp_f32_e32 v5, v5
	v_cvt_i32_f32_e32 v6, v7
	v_cmp_ngt_f32_e32 vcc, s1, v1
	v_cndmask_b32_e32 v4, 0, v4, vcc
	v_cmp_nlt_f32_e32 vcc, s2, v1
	v_sub_f32_e32 v3, v3, v10
	v_cndmask_b32_e32 v1, v11, v4, vcc
	v_mul_f32_e32 v4, 0x3fb8aa3b, v3
	v_add_f32_e32 v0, v0, v1
	v_ldexp_f32 v1, v5, v6
	v_fma_f32 v5, v3, s0, -v4
	v_rndne_f32_e32 v6, v4
	v_fmac_f32_e32 v5, 0x32a5705f, v3
	v_sub_f32_e32 v4, v4, v6
	v_add_f32_e32 v4, v4, v5
	v_exp_f32_e32 v4, v4
	v_cvt_i32_f32_e32 v5, v6
	v_cmp_ngt_f32_e32 vcc, s1, v2
	v_cndmask_b32_e32 v1, 0, v1, vcc
	v_cmp_nlt_f32_e32 vcc, s2, v2
	v_cndmask_b32_e32 v1, v11, v1, vcc
	v_add_f32_e32 v0, v0, v1
	v_ldexp_f32 v1, v4, v5
	v_cmp_ngt_f32_e32 vcc, s1, v3
	v_cndmask_b32_e32 v1, 0, v1, vcc
	v_cmp_nlt_f32_e32 vcc, s2, v3
	v_cndmask_b32_e32 v1, v11, v1, vcc
	v_add_f32_e32 v0, v0, v1
	v_add_f32_e32 v0, v20, v0
	v_cmp_neq_f32_e32 vcc, 0, v0
	s_and_b64 exec, exec, vcc
	s_cbranch_execz .LBB36_19
; %bb.9:
	s_andn2_b64 vcc, exec, s[24:25]
	s_cbranch_vccnz .LBB36_19
; %bb.10:
	v_div_scale_f32 v1, s[0:1], v0, v0, 1.0
	v_rcp_f32_e32 v2, v1
	v_div_scale_f32 v3, vcc, 1.0, v0, 1.0
	s_cmp_gt_u32 s16, 3
	v_fma_f32 v4, -v1, v2, 1.0
	v_fmac_f32_e32 v2, v4, v2
	v_mul_f32_e32 v4, v3, v2
	v_fma_f32 v5, -v1, v4, v3
	v_fmac_f32_e32 v4, v5, v2
	v_fma_f32 v1, -v1, v4, v3
	v_div_fmas_f32 v1, v1, v2, v4
	v_div_fixup_f32 v0, v1, v0, 1.0
	v_ashrrev_i32_e32 v9, 31, v8
	s_cbranch_scc0 .LBB36_14
; %bb.11:
	v_lshlrev_b64 v[2:3], 2, v[8:9]
	v_mov_b32_e32 v4, s15
	v_add_co_u32_e32 v2, vcc, s14, v2
	v_addc_co_u32_e32 v3, vcc, v3, v4, vcc
	s_and_b32 s4, s16, 0x7ffffffc
	v_add_co_u32_e32 v2, vcc, 8, v2
	v_mov_b32_e32 v1, v0
	v_addc_co_u32_e32 v3, vcc, 0, v3, vcc
	s_mov_b32 s0, s4
.LBB36_12:                              ; =>This Inner Loop Header: Depth=1
	global_load_dwordx4 v[4:7], v[2:3], off offset:-8
	s_add_i32 s0, s0, -4
	s_cmp_lg_u32 s0, 0
	s_waitcnt vmcnt(0)
	v_pk_mul_f32 v[4:5], v[0:1], v[4:5]
	v_pk_mul_f32 v[6:7], v[0:1], v[6:7]
	global_store_dwordx4 v[2:3], v[4:7], off offset:-8
	v_add_co_u32_e32 v2, vcc, 16, v2
	v_addc_co_u32_e32 v3, vcc, 0, v3, vcc
	s_cbranch_scc1 .LBB36_12
; %bb.13:
	s_cmp_lg_u32 s4, s16
	s_cselect_b64 s[0:1], -1, 0
	s_branch .LBB36_16
.LBB36_14:
	s_mov_b64 s[0:1], 0
                                        ; implicit-def: $sgpr4
	s_cbranch_execz .LBB36_16
; %bb.15:
	s_mov_b64 s[0:1], -1
	s_mov_b32 s4, 0
.LBB36_16:
	s_andn2_b64 vcc, exec, s[0:1]
	s_cbranch_vccnz .LBB36_19
; %bb.17:
	v_add_co_u32_e32 v2, vcc, s4, v8
	v_addc_co_u32_e32 v3, vcc, 0, v9, vcc
	v_lshlrev_b64 v[2:3], 2, v[2:3]
	v_mov_b32_e32 v1, s15
	v_add_co_u32_e32 v2, vcc, s14, v2
	s_sub_i32 s0, s16, s4
	v_addc_co_u32_e32 v3, vcc, v1, v3, vcc
.LBB36_18:                              ; =>This Inner Loop Header: Depth=1
	global_load_dword v1, v[2:3], off
	s_add_i32 s0, s0, -1
	s_cmp_lg_u32 s0, 0
	s_waitcnt vmcnt(0)
	v_mul_f32_e32 v1, v0, v1
	global_store_dword v[2:3], v1, off
	v_add_co_u32_e32 v2, vcc, 4, v2
	v_addc_co_u32_e32 v3, vcc, 0, v3, vcc
	s_cbranch_scc1 .LBB36_18
.LBB36_19:
	s_endpgm
	.section	.rodata,"a",@progbits
	.p2align	6, 0x0
	.amdhsa_kernel _ZN4vllm3moe17topkGatingSoftmaxIfLi8ELi8ELi8ELi32ELb0ELi2ELNS0_23SharedExpertScoringFuncE1EEEvPKT_PKbPfiPiS9_iiiiii
		.amdhsa_group_segment_fixed_size 0
		.amdhsa_private_segment_fixed_size 0
		.amdhsa_kernarg_size 72
		.amdhsa_user_sgpr_count 6
		.amdhsa_user_sgpr_private_segment_buffer 1
		.amdhsa_user_sgpr_dispatch_ptr 0
		.amdhsa_user_sgpr_queue_ptr 0
		.amdhsa_user_sgpr_kernarg_segment_ptr 1
		.amdhsa_user_sgpr_dispatch_id 0
		.amdhsa_user_sgpr_flat_scratch_init 0
		.amdhsa_user_sgpr_kernarg_preload_length 0
		.amdhsa_user_sgpr_kernarg_preload_offset 0
		.amdhsa_user_sgpr_private_segment_size 0
		.amdhsa_uses_dynamic_stack 0
		.amdhsa_system_sgpr_private_segment_wavefront_offset 0
		.amdhsa_system_sgpr_workgroup_id_x 1
		.amdhsa_system_sgpr_workgroup_id_y 0
		.amdhsa_system_sgpr_workgroup_id_z 0
		.amdhsa_system_sgpr_workgroup_info 0
		.amdhsa_system_vgpr_workitem_id 1
		.amdhsa_next_free_vgpr 27
		.amdhsa_next_free_sgpr 32
		.amdhsa_accum_offset 28
		.amdhsa_reserve_vcc 1
		.amdhsa_reserve_flat_scratch 0
		.amdhsa_float_round_mode_32 0
		.amdhsa_float_round_mode_16_64 0
		.amdhsa_float_denorm_mode_32 3
		.amdhsa_float_denorm_mode_16_64 3
		.amdhsa_dx10_clamp 1
		.amdhsa_ieee_mode 1
		.amdhsa_fp16_overflow 0
		.amdhsa_tg_split 0
		.amdhsa_exception_fp_ieee_invalid_op 0
		.amdhsa_exception_fp_denorm_src 0
		.amdhsa_exception_fp_ieee_div_zero 0
		.amdhsa_exception_fp_ieee_overflow 0
		.amdhsa_exception_fp_ieee_underflow 0
		.amdhsa_exception_fp_ieee_inexact 0
		.amdhsa_exception_int_div_zero 0
	.end_amdhsa_kernel
	.section	.text._ZN4vllm3moe17topkGatingSoftmaxIfLi8ELi8ELi8ELi32ELb0ELi2ELNS0_23SharedExpertScoringFuncE1EEEvPKT_PKbPfiPiS9_iiiiii,"axG",@progbits,_ZN4vllm3moe17topkGatingSoftmaxIfLi8ELi8ELi8ELi32ELb0ELi2ELNS0_23SharedExpertScoringFuncE1EEEvPKT_PKbPfiPiS9_iiiiii,comdat
.Lfunc_end36:
	.size	_ZN4vllm3moe17topkGatingSoftmaxIfLi8ELi8ELi8ELi32ELb0ELi2ELNS0_23SharedExpertScoringFuncE1EEEvPKT_PKbPfiPiS9_iiiiii, .Lfunc_end36-_ZN4vllm3moe17topkGatingSoftmaxIfLi8ELi8ELi8ELi32ELb0ELi2ELNS0_23SharedExpertScoringFuncE1EEEvPKT_PKbPfiPiS9_iiiiii
                                        ; -- End function
	.section	.AMDGPU.csdata,"",@progbits
; Kernel info:
; codeLenInByte = 2696
; NumSgprs: 36
; NumVgprs: 27
; NumAgprs: 0
; TotalNumVgprs: 27
; ScratchSize: 0
; MemoryBound: 0
; FloatMode: 240
; IeeeMode: 1
; LDSByteSize: 0 bytes/workgroup (compile time only)
; SGPRBlocks: 4
; VGPRBlocks: 3
; NumSGPRsForWavesPerEU: 36
; NumVGPRsForWavesPerEU: 27
; AccumOffset: 28
; Occupancy: 8
; WaveLimiterHint : 0
; COMPUTE_PGM_RSRC2:SCRATCH_EN: 0
; COMPUTE_PGM_RSRC2:USER_SGPR: 6
; COMPUTE_PGM_RSRC2:TRAP_HANDLER: 0
; COMPUTE_PGM_RSRC2:TGID_X_EN: 1
; COMPUTE_PGM_RSRC2:TGID_Y_EN: 0
; COMPUTE_PGM_RSRC2:TGID_Z_EN: 0
; COMPUTE_PGM_RSRC2:TIDIG_COMP_CNT: 1
; COMPUTE_PGM_RSRC3_GFX90A:ACCUM_OFFSET: 6
; COMPUTE_PGM_RSRC3_GFX90A:TG_SPLIT: 0
	.section	.text._ZN4vllm3moe17topkGatingSoftmaxIfLi8ELi8ELi8ELi32ELb1ELi4ELNS0_23SharedExpertScoringFuncE1EEEvPKT_PKbPfiPiS9_iiiiii,"axG",@progbits,_ZN4vllm3moe17topkGatingSoftmaxIfLi8ELi8ELi8ELi32ELb1ELi4ELNS0_23SharedExpertScoringFuncE1EEEvPKT_PKbPfiPiS9_iiiiii,comdat
	.protected	_ZN4vllm3moe17topkGatingSoftmaxIfLi8ELi8ELi8ELi32ELb1ELi4ELNS0_23SharedExpertScoringFuncE1EEEvPKT_PKbPfiPiS9_iiiiii ; -- Begin function _ZN4vllm3moe17topkGatingSoftmaxIfLi8ELi8ELi8ELi32ELb1ELi4ELNS0_23SharedExpertScoringFuncE1EEEvPKT_PKbPfiPiS9_iiiiii
	.globl	_ZN4vllm3moe17topkGatingSoftmaxIfLi8ELi8ELi8ELi32ELb1ELi4ELNS0_23SharedExpertScoringFuncE1EEEvPKT_PKbPfiPiS9_iiiiii
	.p2align	8
	.type	_ZN4vllm3moe17topkGatingSoftmaxIfLi8ELi8ELi8ELi32ELb1ELi4ELNS0_23SharedExpertScoringFuncE1EEEvPKT_PKbPfiPiS9_iiiiii,@function
_ZN4vllm3moe17topkGatingSoftmaxIfLi8ELi8ELi8ELi32ELb1ELi4ELNS0_23SharedExpertScoringFuncE1EEEvPKT_PKbPfiPiS9_iiiiii: ; @_ZN4vllm3moe17topkGatingSoftmaxIfLi8ELi8ELi8ELi32ELb1ELi4ELNS0_23SharedExpertScoringFuncE1EEEvPKT_PKbPfiPiS9_iiiiii
; %bb.0:
	s_load_dword s28, s[4:5], 0x18
	v_bfe_u32 v1, v0, 10, 10
	s_lshl_b32 s6, s6, 9
	v_lshlrev_b32_e32 v18, 6, v1
	v_and_b32_e32 v19, 0x3ff, v0
	v_add3_u32 v20, v18, v19, s6
	s_waitcnt lgkmcnt(0)
	v_cmp_gt_i32_e32 vcc, s28, v20
	s_and_saveexec_b64 s[0:1], vcc
	s_cbranch_execz .LBB37_19
; %bb.1:
	s_load_dwordx4 s[0:3], s[4:5], 0x0
	s_load_dwordx2 s[18:19], s[4:5], 0x10
	s_waitcnt lgkmcnt(0)
	s_cmp_eq_u64 s[2:3], 0
	s_cbranch_scc1 .LBB37_3
; %bb.2:
	v_ashrrev_i32_e32 v1, 31, v20
	v_mov_b32_e32 v2, s3
	v_add_co_u32_e32 v0, vcc, s2, v20
	v_addc_co_u32_e32 v1, vcc, v2, v1, vcc
	global_load_ubyte v0, v[0:1], off
	s_waitcnt vmcnt(0)
	v_and_b32_e32 v0, 1, v0
	v_cmp_eq_u32_e32 vcc, 1, v0
	s_xor_b64 s[2:3], vcc, -1
	s_orn2_b64 s[24:25], s[2:3], exec
	s_branch .LBB37_4
.LBB37_3:
	s_mov_b64 s[24:25], -1
.LBB37_4:
	s_load_dwordx2 s[2:3], s[4:5], 0x40
	s_load_dwordx4 s[20:23], s[4:5], 0x30
	v_mov_b32_e32 v2, s1
	s_mov_b32 s7, 0x42ce8ed0
	s_mov_b32 s8, 0xc2b17218
	s_waitcnt lgkmcnt(0)
	v_mul_lo_u32 v0, v20, s3
	v_ashrrev_i32_e32 v1, 31, v0
	v_lshlrev_b64 v[0:1], 2, v[0:1]
	v_add_co_u32_e32 v10, vcc, s0, v0
	v_addc_co_u32_e32 v11, vcc, v2, v1, vcc
	global_load_dword v14, v[10:11], off offset:32
	s_mov_b32 s3, 0xbfb8aa3b
	v_mov_b32_e32 v9, 0x7f800000
	v_mul_lo_u32 v8, v20, s23
	v_add_u32_e32 v0, s20, v8
	v_ashrrev_i32_e32 v1, 31, v0
	v_lshlrev_b64 v[12:13], 2, v[0:1]
	v_mov_b32_e32 v15, s19
	s_cmp_gt_i32 s20, 0
	s_cselect_b64 s[26:27], -1, 0
	s_cmp_lt_i32 s20, 1
	s_waitcnt vmcnt(0)
	v_mul_f32_e32 v2, 0xbfb8aa3b, v14
	v_fma_f32 v3, v14, s3, -v2
	v_rndne_f32_e32 v4, v2
	v_fmac_f32_e32 v3, 0xb2a5705f, v14
	v_sub_f32_e32 v2, v2, v4
	v_add_f32_e32 v2, v2, v3
	v_cvt_i32_f32_e32 v16, v4
	v_exp_f32_e32 v17, v2
	v_cmp_nlt_f32_e32 vcc, s7, v14
	global_load_dwordx4 v[4:7], v[10:11], off offset:16
	global_load_dwordx4 v[0:3], v[10:11], off
	v_ldexp_f32 v16, v17, v16
	v_cndmask_b32_e32 v16, 0, v16, vcc
	v_cmp_ngt_f32_e32 vcc, s8, v14
	v_cndmask_b32_e32 v14, v9, v16, vcc
	v_add_f32_e32 v14, 1.0, v14
	v_div_scale_f32 v16, s[0:1], v14, v14, 1.0
	v_rcp_f32_e32 v17, v16
	v_add_co_u32_e32 v12, vcc, s18, v12
	v_addc_co_u32_e32 v13, vcc, v15, v13, vcc
	v_fma_f32 v21, -v16, v17, 1.0
	v_div_scale_f32 v15, vcc, 1.0, v14, 1.0
	v_fmac_f32_e32 v17, v21, v17
	v_mul_f32_e32 v21, v15, v17
	v_fma_f32 v22, -v16, v21, v15
	v_fmac_f32_e32 v21, v22, v17
	v_fma_f32 v15, -v16, v21, v15
	v_div_fmas_f32 v15, v15, v17, v21
	v_div_fixup_f32 v14, v15, v14, 1.0
	global_store_dword v[12:13], v14, off
	global_load_dword v14, v[10:11], off offset:36
	s_waitcnt vmcnt(0)
	v_mul_f32_e32 v15, 0xbfb8aa3b, v14
	v_fma_f32 v16, v14, s3, -v15
	v_rndne_f32_e32 v17, v15
	v_fmac_f32_e32 v16, 0xb2a5705f, v14
	v_sub_f32_e32 v15, v15, v17
	v_add_f32_e32 v15, v15, v16
	v_cvt_i32_f32_e32 v17, v17
	v_exp_f32_e32 v15, v15
	v_cmp_nlt_f32_e32 vcc, s7, v14
	v_ldexp_f32 v15, v15, v17
	v_cndmask_b32_e32 v15, 0, v15, vcc
	v_cmp_ngt_f32_e32 vcc, s8, v14
	v_cndmask_b32_e32 v14, v9, v15, vcc
	v_add_f32_e32 v14, 1.0, v14
	v_div_scale_f32 v15, s[0:1], v14, v14, 1.0
	v_rcp_f32_e32 v16, v15
	v_div_scale_f32 v17, vcc, 1.0, v14, 1.0
	v_fma_f32 v21, -v15, v16, 1.0
	v_fmac_f32_e32 v16, v21, v16
	v_mul_f32_e32 v21, v17, v16
	v_fma_f32 v22, -v15, v21, v17
	v_fmac_f32_e32 v21, v22, v16
	v_fma_f32 v15, -v15, v21, v17
	v_div_fmas_f32 v15, v15, v16, v21
	v_div_fixup_f32 v14, v15, v14, 1.0
	global_store_dword v[12:13], v14, off offset:4
	global_load_dword v14, v[10:11], off offset:40
	s_waitcnt vmcnt(0)
	v_mul_f32_e32 v15, 0xbfb8aa3b, v14
	v_fma_f32 v16, v14, s3, -v15
	v_rndne_f32_e32 v17, v15
	v_fmac_f32_e32 v16, 0xb2a5705f, v14
	v_sub_f32_e32 v15, v15, v17
	v_add_f32_e32 v15, v15, v16
	v_cvt_i32_f32_e32 v17, v17
	v_exp_f32_e32 v15, v15
	v_cmp_nlt_f32_e32 vcc, s7, v14
	v_ldexp_f32 v15, v15, v17
	v_cndmask_b32_e32 v15, 0, v15, vcc
	v_cmp_ngt_f32_e32 vcc, s8, v14
	v_cndmask_b32_e32 v14, v9, v15, vcc
	v_add_f32_e32 v14, 1.0, v14
	v_div_scale_f32 v15, s[0:1], v14, v14, 1.0
	v_rcp_f32_e32 v16, v15
	v_div_scale_f32 v17, vcc, 1.0, v14, 1.0
	v_fma_f32 v21, -v15, v16, 1.0
	v_fmac_f32_e32 v16, v21, v16
	v_mul_f32_e32 v21, v17, v16
	v_fma_f32 v22, -v15, v21, v17
	v_fmac_f32_e32 v21, v22, v16
	v_fma_f32 v15, -v15, v21, v17
	v_div_fmas_f32 v15, v15, v16, v21
	v_div_fixup_f32 v14, v15, v14, 1.0
	global_store_dword v[12:13], v14, off offset:8
	global_load_dword v10, v[10:11], off offset:44
	v_mov_b32_e32 v21, 0
	s_waitcnt vmcnt(0)
	v_mul_f32_e32 v11, 0xbfb8aa3b, v10
	v_fma_f32 v14, v10, s3, -v11
	v_rndne_f32_e32 v15, v11
	v_fmac_f32_e32 v14, 0xb2a5705f, v10
	v_sub_f32_e32 v11, v11, v15
	v_add_f32_e32 v11, v11, v14
	v_cvt_i32_f32_e32 v15, v15
	v_exp_f32_e32 v11, v11
	v_cmp_nlt_f32_e32 vcc, s7, v10
	v_ldexp_f32 v11, v11, v15
	v_cndmask_b32_e32 v11, 0, v11, vcc
	v_cmp_ngt_f32_e32 vcc, s8, v10
	v_cndmask_b32_e32 v10, v9, v11, vcc
	v_add_f32_e32 v10, 1.0, v10
	v_div_scale_f32 v11, s[0:1], v10, v10, 1.0
	v_rcp_f32_e32 v14, v11
	v_div_scale_f32 v15, vcc, 1.0, v10, 1.0
	v_fma_f32 v16, -v11, v14, 1.0
	v_fmac_f32_e32 v14, v16, v14
	v_mul_f32_e32 v16, v15, v14
	v_fma_f32 v17, -v11, v16, v15
	v_fmac_f32_e32 v16, v17, v14
	v_fma_f32 v11, -v11, v16, v15
	v_div_fmas_f32 v11, v11, v14, v16
	v_div_fixup_f32 v10, v11, v10, 1.0
	global_store_dword v[12:13], v10, off offset:12
	s_cbranch_scc1 .LBB37_8
; %bb.5:
	v_cmp_lt_f32_e32 vcc, v0, v1
	v_cndmask_b32_e32 v11, v0, v1, vcc
	v_cndmask_b32_e64 v10, 0, 1, vcc
	v_cmp_lt_f32_e32 vcc, v11, v2
	v_cndmask_b32_e32 v11, v11, v2, vcc
	v_cndmask_b32_e64 v10, v10, 2, vcc
	;; [unrolled: 3-line block ×6, first 2 shown]
	v_cmp_lt_f32_e32 vcc, v11, v7
	v_cndmask_b32_e32 v22, v11, v7, vcc
	v_sub_f32_e32 v11, v22, v22
	s_mov_b32 s23, 0x3fb8aa3b
	v_mul_f32_e32 v12, 0x3fb8aa3b, v11
	v_fma_f32 v13, v11, s23, -v12
	v_rndne_f32_e32 v14, v12
	v_fmac_f32_e32 v13, 0x32a5705f, v11
	v_sub_f32_e32 v12, v12, v14
	v_add_f32_e32 v12, v12, v13
	v_exp_f32_e32 v12, v12
	v_cvt_i32_f32_e32 v13, v14
	v_cndmask_b32_e64 v23, v10, 7, vcc
	v_cmp_le_i32_e32 vcc, s21, v23
	v_cmp_gt_i32_e64 s[0:1], s22, v23
	s_mov_b32 s29, 0xc2ce8ed0
	v_mul_lo_u32 v10, v20, s2
	s_and_b64 s[2:3], vcc, s[0:1]
	v_ldexp_f32 v12, v12, v13
	v_cmp_ngt_f32_e32 vcc, s29, v11
	s_mov_b32 s30, 0x42b17218
	v_cndmask_b32_e32 v12, 0, v12, vcc
	v_cmp_nlt_f32_e32 vcc, s30, v11
	s_load_dwordx4 s[8:11], s[4:5], 0x20
	v_cndmask_b32_e32 v21, v9, v12, vcc
	v_ashrrev_i32_e32 v9, 31, v8
	v_lshlrev_b64 v[14:15], 2, v[8:9]
	v_mov_b32_e32 v9, s19
	v_add_co_u32_e32 v16, vcc, s18, v14
	v_addc_co_u32_e64 v17, s[0:1], v9, v15, vcc
	v_ashrrev_i32_e32 v11, 31, v10
	v_subrev_u32_e32 v9, s21, v23
	s_and_b64 s[0:1], s[24:25], s[2:3]
	v_lshlrev_b64 v[12:13], 2, v[10:11]
	v_mul_lo_u32 v24, v20, s20
	v_cndmask_b32_e64 v9, 8, v9, s[0:1]
	s_waitcnt lgkmcnt(0)
	v_mov_b32_e32 v11, s9
	v_add_co_u32_e64 v10, s[0:1], s8, v12
	v_addc_co_u32_e64 v11, s[0:1], v11, v13, s[0:1]
	v_ashrrev_i32_e32 v25, 31, v24
	global_store_dword v[10:11], v9, off
	v_lshlrev_b64 v[10:11], 2, v[24:25]
	v_mov_b32_e32 v9, s11
	v_add_co_u32_e64 v24, s[0:1], s10, v10
	v_addc_co_u32_e64 v25, s[0:1], v9, v11, s[0:1]
	s_cmp_eq_u32 s20, 1
	global_store_dword v[16:17], v21, off
	global_store_dword v[24:25], v20, off
	s_cbranch_scc1 .LBB37_8
; %bb.6:
	v_mov_b32_e32 v14, s11
	v_add_co_u32_e64 v10, s[4:5], s10, v10
	v_addc_co_u32_e64 v11, s[4:5], v11, v14, s[4:5]
	v_add_co_u32_e64 v10, s[4:5], 4, v10
	v_addc_co_u32_e64 v11, s[4:5], 0, v11, s[4:5]
	v_mov_b32_e32 v9, 0xff800000
	v_cmp_ne_u32_e64 s[0:1], 7, v23
	v_mov_b32_e32 v14, s9
	v_add_co_u32_e64 v12, s[4:5], s8, v12
	v_cndmask_b32_e64 v7, v9, v7, s[0:1]
	v_cmp_ne_u32_e64 s[0:1], 6, v23
	v_addc_co_u32_e64 v13, s[4:5], v13, v14, s[4:5]
	v_mov_b32_e32 v14, s19
	v_cndmask_b32_e64 v6, v9, v6, s[0:1]
	v_cmp_ne_u32_e64 s[0:1], 5, v23
	v_addc_co_u32_e32 v15, vcc, v15, v14, vcc
	v_cndmask_b32_e64 v5, v9, v5, s[0:1]
	v_cmp_ne_u32_e64 s[0:1], 4, v23
	v_add_co_u32_e32 v14, vcc, 4, v16
	v_cndmask_b32_e64 v4, v9, v4, s[0:1]
	v_cmp_ne_u32_e64 s[0:1], 3, v23
	v_addc_co_u32_e32 v15, vcc, 0, v15, vcc
	v_cndmask_b32_e64 v3, v9, v3, s[0:1]
	v_cmp_ne_u32_e64 s[0:1], 1, v23
	v_cmp_ne_u32_e64 s[2:3], 0, v23
	v_add_co_u32_e64 v12, s[4:5], 4, v12
	s_add_i32 s6, s6, s28
	v_cmp_ne_u32_e32 vcc, 2, v23
	v_addc_co_u32_e64 v13, s[4:5], 0, v13, s[4:5]
	v_add3_u32 v16, s6, v19, v18
	v_cndmask_b32_e32 v2, v9, v2, vcc
	s_add_i32 s31, s20, -1
	v_mov_b32_e32 v17, 0x7f800000
	v_cndmask_b32_e64 v1, v9, v1, s[0:1]
	v_cndmask_b32_e64 v0, v9, v0, s[2:3]
.LBB37_7:                               ; =>This Inner Loop Header: Depth=1
	v_cmp_gt_f32_e32 vcc, v1, v0
	v_cndmask_b32_e32 v18, v0, v1, vcc
	v_cmp_gt_f32_e64 s[0:1], v2, v18
	v_cndmask_b32_e64 v18, v18, v2, s[0:1]
	v_cmp_gt_f32_e64 s[2:3], v3, v18
	v_cndmask_b32_e64 v18, v18, v3, s[2:3]
	;; [unrolled: 2-line block ×6, first 2 shown]
	v_sub_f32_e32 v18, v18, v22
	v_mul_f32_e32 v19, 0x3fb8aa3b, v18
	v_fma_f32 v20, v18, s23, -v19
	v_rndne_f32_e32 v23, v19
	v_fmac_f32_e32 v20, 0x32a5705f, v18
	v_sub_f32_e32 v19, v19, v23
	v_add_f32_e32 v19, v19, v20
	v_cndmask_b32_e64 v20, 0, 1, vcc
	v_cndmask_b32_e64 v20, v20, 2, s[0:1]
	v_cndmask_b32_e64 v20, v20, 3, s[2:3]
	;; [unrolled: 1-line block ×6, first 2 shown]
	v_cmp_le_i32_e32 vcc, s21, v20
	v_cmp_gt_i32_e64 s[0:1], s22, v20
	s_and_b64 s[0:1], vcc, s[0:1]
	v_cmp_ne_u32_e64 s[2:3], 7, v20
	v_cmp_ne_u32_e64 s[4:5], 6, v20
	;; [unrolled: 1-line block ×8, first 2 shown]
	v_subrev_u32_e32 v20, s21, v20
	s_and_b64 vcc, s[24:25], s[0:1]
	v_cndmask_b32_e32 v20, 8, v20, vcc
	global_store_dword v[12:13], v20, off
	v_cvt_i32_f32_e32 v20, v23
	v_exp_f32_e32 v19, v19
	v_cmp_ngt_f32_e32 vcc, s29, v18
	global_store_dword v[10:11], v16, off
	s_add_i32 s31, s31, -1
	v_ldexp_f32 v19, v19, v20
	v_cndmask_b32_e32 v19, 0, v19, vcc
	v_cmp_nlt_f32_e32 vcc, s30, v18
	v_cndmask_b32_e32 v18, v17, v19, vcc
	v_add_co_u32_e32 v10, vcc, 4, v10
	v_addc_co_u32_e32 v11, vcc, 0, v11, vcc
	v_add_co_u32_e32 v12, vcc, 4, v12
	v_addc_co_u32_e32 v13, vcc, 0, v13, vcc
	global_store_dword v[14:15], v18, off
	v_add_co_u32_e32 v14, vcc, 4, v14
	v_add_f32_e32 v21, v21, v18
	v_cndmask_b32_e64 v7, v9, v7, s[2:3]
	v_cndmask_b32_e64 v6, v9, v6, s[4:5]
	;; [unrolled: 1-line block ×8, first 2 shown]
	v_add_u32_e32 v16, s28, v16
	s_cmp_eq_u32 s31, 0
	v_addc_co_u32_e32 v15, vcc, 0, v15, vcc
	s_cbranch_scc0 .LBB37_7
.LBB37_8:
	v_cmp_neq_f32_e32 vcc, 0, v21
	s_and_b64 exec, exec, vcc
	s_cbranch_execz .LBB37_19
; %bb.9:
	s_andn2_b64 vcc, exec, s[26:27]
	s_cbranch_vccnz .LBB37_19
; %bb.10:
	v_div_scale_f32 v0, s[0:1], v21, v21, 1.0
	v_rcp_f32_e32 v1, v0
	v_div_scale_f32 v2, vcc, 1.0, v21, 1.0
	s_cmp_gt_u32 s20, 3
	v_fma_f32 v3, -v0, v1, 1.0
	v_fmac_f32_e32 v1, v3, v1
	v_mul_f32_e32 v3, v2, v1
	v_fma_f32 v4, -v0, v3, v2
	v_fmac_f32_e32 v3, v4, v1
	v_fma_f32 v0, -v0, v3, v2
	v_div_fmas_f32 v0, v0, v1, v3
	v_div_fixup_f32 v0, v0, v21, 1.0
	v_ashrrev_i32_e32 v9, 31, v8
	s_cbranch_scc0 .LBB37_14
; %bb.11:
	v_lshlrev_b64 v[2:3], 2, v[8:9]
	v_mov_b32_e32 v4, s19
	v_add_co_u32_e32 v2, vcc, s18, v2
	v_addc_co_u32_e32 v3, vcc, v3, v4, vcc
	s_and_b32 s4, s20, 0x7ffffffc
	v_add_co_u32_e32 v2, vcc, 8, v2
	v_mov_b32_e32 v1, v0
	v_addc_co_u32_e32 v3, vcc, 0, v3, vcc
	s_mov_b32 s0, s4
.LBB37_12:                              ; =>This Inner Loop Header: Depth=1
	global_load_dwordx4 v[4:7], v[2:3], off offset:-8
	s_add_i32 s0, s0, -4
	s_cmp_lg_u32 s0, 0
	s_waitcnt vmcnt(0)
	v_pk_mul_f32 v[4:5], v[0:1], v[4:5]
	v_pk_mul_f32 v[6:7], v[0:1], v[6:7]
	global_store_dwordx4 v[2:3], v[4:7], off offset:-8
	v_add_co_u32_e32 v2, vcc, 16, v2
	v_addc_co_u32_e32 v3, vcc, 0, v3, vcc
	s_cbranch_scc1 .LBB37_12
; %bb.13:
	s_cmp_lg_u32 s4, s20
	s_cselect_b64 s[0:1], -1, 0
	s_branch .LBB37_16
.LBB37_14:
	s_mov_b64 s[0:1], 0
                                        ; implicit-def: $sgpr4
	s_cbranch_execz .LBB37_16
; %bb.15:
	s_mov_b64 s[0:1], -1
	s_mov_b32 s4, 0
.LBB37_16:
	s_andn2_b64 vcc, exec, s[0:1]
	s_cbranch_vccnz .LBB37_19
; %bb.17:
	v_add_co_u32_e32 v2, vcc, s4, v8
	v_addc_co_u32_e32 v3, vcc, 0, v9, vcc
	v_lshlrev_b64 v[2:3], 2, v[2:3]
	v_mov_b32_e32 v1, s19
	v_add_co_u32_e32 v2, vcc, s18, v2
	s_sub_i32 s0, s20, s4
	v_addc_co_u32_e32 v3, vcc, v1, v3, vcc
.LBB37_18:                              ; =>This Inner Loop Header: Depth=1
	global_load_dword v1, v[2:3], off
	s_add_i32 s0, s0, -1
	s_cmp_lg_u32 s0, 0
	s_waitcnt vmcnt(0)
	v_mul_f32_e32 v1, v0, v1
	global_store_dword v[2:3], v1, off
	v_add_co_u32_e32 v2, vcc, 4, v2
	v_addc_co_u32_e32 v3, vcc, 0, v3, vcc
	s_cbranch_scc1 .LBB37_18
.LBB37_19:
	s_endpgm
	.section	.rodata,"a",@progbits
	.p2align	6, 0x0
	.amdhsa_kernel _ZN4vllm3moe17topkGatingSoftmaxIfLi8ELi8ELi8ELi32ELb1ELi4ELNS0_23SharedExpertScoringFuncE1EEEvPKT_PKbPfiPiS9_iiiiii
		.amdhsa_group_segment_fixed_size 0
		.amdhsa_private_segment_fixed_size 0
		.amdhsa_kernarg_size 72
		.amdhsa_user_sgpr_count 6
		.amdhsa_user_sgpr_private_segment_buffer 1
		.amdhsa_user_sgpr_dispatch_ptr 0
		.amdhsa_user_sgpr_queue_ptr 0
		.amdhsa_user_sgpr_kernarg_segment_ptr 1
		.amdhsa_user_sgpr_dispatch_id 0
		.amdhsa_user_sgpr_flat_scratch_init 0
		.amdhsa_user_sgpr_kernarg_preload_length 0
		.amdhsa_user_sgpr_kernarg_preload_offset 0
		.amdhsa_user_sgpr_private_segment_size 0
		.amdhsa_uses_dynamic_stack 0
		.amdhsa_system_sgpr_private_segment_wavefront_offset 0
		.amdhsa_system_sgpr_workgroup_id_x 1
		.amdhsa_system_sgpr_workgroup_id_y 0
		.amdhsa_system_sgpr_workgroup_id_z 0
		.amdhsa_system_sgpr_workgroup_info 0
		.amdhsa_system_vgpr_workitem_id 1
		.amdhsa_next_free_vgpr 26
		.amdhsa_next_free_sgpr 32
		.amdhsa_accum_offset 28
		.amdhsa_reserve_vcc 1
		.amdhsa_reserve_flat_scratch 0
		.amdhsa_float_round_mode_32 0
		.amdhsa_float_round_mode_16_64 0
		.amdhsa_float_denorm_mode_32 3
		.amdhsa_float_denorm_mode_16_64 3
		.amdhsa_dx10_clamp 1
		.amdhsa_ieee_mode 1
		.amdhsa_fp16_overflow 0
		.amdhsa_tg_split 0
		.amdhsa_exception_fp_ieee_invalid_op 0
		.amdhsa_exception_fp_denorm_src 0
		.amdhsa_exception_fp_ieee_div_zero 0
		.amdhsa_exception_fp_ieee_overflow 0
		.amdhsa_exception_fp_ieee_underflow 0
		.amdhsa_exception_fp_ieee_inexact 0
		.amdhsa_exception_int_div_zero 0
	.end_amdhsa_kernel
	.section	.text._ZN4vllm3moe17topkGatingSoftmaxIfLi8ELi8ELi8ELi32ELb1ELi4ELNS0_23SharedExpertScoringFuncE1EEEvPKT_PKbPfiPiS9_iiiiii,"axG",@progbits,_ZN4vllm3moe17topkGatingSoftmaxIfLi8ELi8ELi8ELi32ELb1ELi4ELNS0_23SharedExpertScoringFuncE1EEEvPKT_PKbPfiPiS9_iiiiii,comdat
.Lfunc_end37:
	.size	_ZN4vllm3moe17topkGatingSoftmaxIfLi8ELi8ELi8ELi32ELb1ELi4ELNS0_23SharedExpertScoringFuncE1EEEvPKT_PKbPfiPiS9_iiiiii, .Lfunc_end37-_ZN4vllm3moe17topkGatingSoftmaxIfLi8ELi8ELi8ELi32ELb1ELi4ELNS0_23SharedExpertScoringFuncE1EEEvPKT_PKbPfiPiS9_iiiiii
                                        ; -- End function
	.section	.AMDGPU.csdata,"",@progbits
; Kernel info:
; codeLenInByte = 2356
; NumSgprs: 36
; NumVgprs: 26
; NumAgprs: 0
; TotalNumVgprs: 26
; ScratchSize: 0
; MemoryBound: 0
; FloatMode: 240
; IeeeMode: 1
; LDSByteSize: 0 bytes/workgroup (compile time only)
; SGPRBlocks: 4
; VGPRBlocks: 3
; NumSGPRsForWavesPerEU: 36
; NumVGPRsForWavesPerEU: 26
; AccumOffset: 28
; Occupancy: 8
; WaveLimiterHint : 0
; COMPUTE_PGM_RSRC2:SCRATCH_EN: 0
; COMPUTE_PGM_RSRC2:USER_SGPR: 6
; COMPUTE_PGM_RSRC2:TRAP_HANDLER: 0
; COMPUTE_PGM_RSRC2:TGID_X_EN: 1
; COMPUTE_PGM_RSRC2:TGID_Y_EN: 0
; COMPUTE_PGM_RSRC2:TGID_Z_EN: 0
; COMPUTE_PGM_RSRC2:TIDIG_COMP_CNT: 1
; COMPUTE_PGM_RSRC3_GFX90A:ACCUM_OFFSET: 6
; COMPUTE_PGM_RSRC3_GFX90A:TG_SPLIT: 0
	.section	.text._ZN4vllm3moe17topkGatingSoftmaxIfLi8ELi8ELi8ELi32ELb0ELi4ELNS0_23SharedExpertScoringFuncE1EEEvPKT_PKbPfiPiS9_iiiiii,"axG",@progbits,_ZN4vllm3moe17topkGatingSoftmaxIfLi8ELi8ELi8ELi32ELb0ELi4ELNS0_23SharedExpertScoringFuncE1EEEvPKT_PKbPfiPiS9_iiiiii,comdat
	.protected	_ZN4vllm3moe17topkGatingSoftmaxIfLi8ELi8ELi8ELi32ELb0ELi4ELNS0_23SharedExpertScoringFuncE1EEEvPKT_PKbPfiPiS9_iiiiii ; -- Begin function _ZN4vllm3moe17topkGatingSoftmaxIfLi8ELi8ELi8ELi32ELb0ELi4ELNS0_23SharedExpertScoringFuncE1EEEvPKT_PKbPfiPiS9_iiiiii
	.globl	_ZN4vllm3moe17topkGatingSoftmaxIfLi8ELi8ELi8ELi32ELb0ELi4ELNS0_23SharedExpertScoringFuncE1EEEvPKT_PKbPfiPiS9_iiiiii
	.p2align	8
	.type	_ZN4vllm3moe17topkGatingSoftmaxIfLi8ELi8ELi8ELi32ELb0ELi4ELNS0_23SharedExpertScoringFuncE1EEEvPKT_PKbPfiPiS9_iiiiii,@function
_ZN4vllm3moe17topkGatingSoftmaxIfLi8ELi8ELi8ELi32ELb0ELi4ELNS0_23SharedExpertScoringFuncE1EEEvPKT_PKbPfiPiS9_iiiiii: ; @_ZN4vllm3moe17topkGatingSoftmaxIfLi8ELi8ELi8ELi32ELb0ELi4ELNS0_23SharedExpertScoringFuncE1EEEvPKT_PKbPfiPiS9_iiiiii
; %bb.0:
	s_load_dword s30, s[4:5], 0x18
	v_bfe_u32 v1, v0, 10, 10
	s_lshl_b32 s31, s6, 9
	v_lshlrev_b32_e32 v21, 6, v1
	v_and_b32_e32 v22, 0x3ff, v0
	v_add3_u32 v23, v21, v22, s31
	s_waitcnt lgkmcnt(0)
	v_cmp_gt_i32_e32 vcc, s30, v23
	s_and_saveexec_b64 s[0:1], vcc
	s_cbranch_execz .LBB38_19
; %bb.1:
	s_load_dwordx4 s[0:3], s[4:5], 0x0
	s_load_dwordx2 s[14:15], s[4:5], 0x10
	s_waitcnt lgkmcnt(0)
	s_cmp_eq_u64 s[2:3], 0
	s_cbranch_scc1 .LBB38_3
; %bb.2:
	v_ashrrev_i32_e32 v1, 31, v23
	v_mov_b32_e32 v2, s3
	v_add_co_u32_e32 v0, vcc, s2, v23
	v_addc_co_u32_e32 v1, vcc, v2, v1, vcc
	global_load_ubyte v0, v[0:1], off
	s_waitcnt vmcnt(0)
	v_and_b32_e32 v0, 1, v0
	v_cmp_eq_u32_e32 vcc, 1, v0
	s_xor_b64 s[2:3], vcc, -1
	s_orn2_b64 s[24:25], s[2:3], exec
	s_branch .LBB38_4
.LBB38_3:
	s_mov_b64 s[24:25], -1
.LBB38_4:
	s_load_dwordx2 s[28:29], s[4:5], 0x40
	s_load_dwordx4 s[16:19], s[4:5], 0x30
	v_mov_b32_e32 v2, s1
	s_mov_b32 s8, 0xbfb8aa3b
	s_mov_b32 s12, 0x42ce8ed0
	s_waitcnt lgkmcnt(0)
	v_mul_lo_u32 v0, v23, s29
	v_ashrrev_i32_e32 v1, 31, v0
	v_lshlrev_b64 v[0:1], 2, v[0:1]
	v_add_co_u32_e32 v12, vcc, s0, v0
	v_addc_co_u32_e32 v13, vcc, v2, v1, vcc
	global_load_dword v9, v[12:13], off offset:32
	s_mov_b32 s13, 0xc2b17218
	v_mov_b32_e32 v11, 0x7f800000
	v_mul_lo_u32 v8, v23, s19
	v_add_u32_e32 v0, s16, v8
	v_ashrrev_i32_e32 v1, 31, v0
	v_lshlrev_b64 v[14:15], 2, v[0:1]
	v_mov_b32_e32 v10, s15
	s_cmp_gt_i32 s16, 0
	v_mov_b32_e32 v20, 0
	s_cselect_b64 s[26:27], -1, 0
	s_cmp_lt_i32 s16, 1
	s_waitcnt vmcnt(0)
	v_mul_f32_e32 v2, 0xbfb8aa3b, v9
	v_fma_f32 v3, v9, s8, -v2
	v_rndne_f32_e32 v4, v2
	v_fmac_f32_e32 v3, 0xb2a5705f, v9
	v_sub_f32_e32 v2, v2, v4
	v_add_f32_e32 v2, v2, v3
	v_cvt_i32_f32_e32 v16, v4
	v_exp_f32_e32 v17, v2
	v_cmp_nlt_f32_e32 vcc, s12, v9
	global_load_dwordx4 v[0:3], v[12:13], off offset:16
	global_load_dwordx4 v[4:7], v[12:13], off
	v_ldexp_f32 v16, v17, v16
	v_cndmask_b32_e32 v16, 0, v16, vcc
	v_cmp_ngt_f32_e32 vcc, s13, v9
	v_cndmask_b32_e32 v9, v11, v16, vcc
	v_add_f32_e32 v9, 1.0, v9
	v_div_scale_f32 v16, s[0:1], v9, v9, 1.0
	v_rcp_f32_e32 v17, v16
	v_add_co_u32_e32 v14, vcc, s14, v14
	v_addc_co_u32_e32 v15, vcc, v10, v15, vcc
	v_fma_f32 v18, -v16, v17, 1.0
	v_div_scale_f32 v10, vcc, 1.0, v9, 1.0
	v_fmac_f32_e32 v17, v18, v17
	v_mul_f32_e32 v18, v10, v17
	v_fma_f32 v19, -v16, v18, v10
	v_fmac_f32_e32 v18, v19, v17
	v_fma_f32 v10, -v16, v18, v10
	v_div_fmas_f32 v10, v10, v17, v18
	v_div_fixup_f32 v9, v10, v9, 1.0
	global_store_dword v[14:15], v9, off
	global_load_dword v9, v[12:13], off offset:36
	s_waitcnt vmcnt(0)
	v_mul_f32_e32 v10, 0xbfb8aa3b, v9
	v_fma_f32 v16, v9, s8, -v10
	v_rndne_f32_e32 v17, v10
	v_fmac_f32_e32 v16, 0xb2a5705f, v9
	v_sub_f32_e32 v10, v10, v17
	v_add_f32_e32 v10, v10, v16
	v_cvt_i32_f32_e32 v17, v17
	v_exp_f32_e32 v10, v10
	v_cmp_nlt_f32_e32 vcc, s12, v9
	v_ldexp_f32 v10, v10, v17
	v_cndmask_b32_e32 v10, 0, v10, vcc
	v_cmp_ngt_f32_e32 vcc, s13, v9
	v_cndmask_b32_e32 v9, v11, v10, vcc
	v_add_f32_e32 v9, 1.0, v9
	v_div_scale_f32 v10, s[0:1], v9, v9, 1.0
	v_rcp_f32_e32 v16, v10
	v_div_scale_f32 v17, vcc, 1.0, v9, 1.0
	v_fma_f32 v18, -v10, v16, 1.0
	v_fmac_f32_e32 v16, v18, v16
	v_mul_f32_e32 v18, v17, v16
	v_fma_f32 v19, -v10, v18, v17
	v_fmac_f32_e32 v18, v19, v16
	v_fma_f32 v10, -v10, v18, v17
	v_div_fmas_f32 v10, v10, v16, v18
	v_div_fixup_f32 v9, v10, v9, 1.0
	global_store_dword v[14:15], v9, off offset:4
	global_load_dword v9, v[12:13], off offset:40
	s_waitcnt vmcnt(0)
	v_mul_f32_e32 v10, 0xbfb8aa3b, v9
	v_fma_f32 v16, v9, s8, -v10
	v_rndne_f32_e32 v17, v10
	v_fmac_f32_e32 v16, 0xb2a5705f, v9
	v_sub_f32_e32 v10, v10, v17
	v_add_f32_e32 v10, v10, v16
	v_cvt_i32_f32_e32 v17, v17
	v_exp_f32_e32 v10, v10
	v_cmp_nlt_f32_e32 vcc, s12, v9
	v_ldexp_f32 v10, v10, v17
	v_cndmask_b32_e32 v10, 0, v10, vcc
	v_cmp_ngt_f32_e32 vcc, s13, v9
	v_cndmask_b32_e32 v9, v11, v10, vcc
	v_add_f32_e32 v9, 1.0, v9
	v_div_scale_f32 v10, s[0:1], v9, v9, 1.0
	v_rcp_f32_e32 v16, v10
	v_div_scale_f32 v17, vcc, 1.0, v9, 1.0
	v_cmp_lt_f32_e64 s[0:1], v4, v5
	v_fma_f32 v18, -v10, v16, 1.0
	v_fmac_f32_e32 v16, v18, v16
	v_mul_f32_e32 v18, v17, v16
	v_fma_f32 v19, -v10, v18, v17
	v_fmac_f32_e32 v18, v19, v16
	v_fma_f32 v10, -v10, v18, v17
	v_div_fmas_f32 v10, v10, v16, v18
	v_div_fixup_f32 v9, v10, v9, 1.0
	global_store_dword v[14:15], v9, off offset:8
	global_load_dword v9, v[12:13], off offset:44
	v_cndmask_b32_e64 v10, v4, v5, s[0:1]
	v_cmp_lt_f32_e64 s[2:3], v10, v6
	v_cndmask_b32_e64 v10, v10, v6, s[2:3]
	v_cmp_lt_f32_e64 s[6:7], v10, v7
	v_cndmask_b32_e64 v10, v10, v7, s[6:7]
	s_waitcnt vmcnt(0)
	v_mul_f32_e32 v12, 0xbfb8aa3b, v9
	v_fma_f32 v13, v9, s8, -v12
	v_rndne_f32_e32 v16, v12
	v_fmac_f32_e32 v13, 0xb2a5705f, v9
	v_sub_f32_e32 v12, v12, v16
	v_add_f32_e32 v12, v12, v13
	v_cvt_i32_f32_e32 v16, v16
	v_exp_f32_e32 v12, v12
	v_cmp_nlt_f32_e32 vcc, s12, v9
	v_cmp_lt_f32_e64 s[8:9], v10, v0
	v_cndmask_b32_e64 v10, v10, v0, s[8:9]
	v_ldexp_f32 v12, v12, v16
	v_cndmask_b32_e32 v12, 0, v12, vcc
	v_cmp_ngt_f32_e32 vcc, s13, v9
	v_cndmask_b32_e32 v9, v11, v12, vcc
	v_add_f32_e32 v9, 1.0, v9
	v_div_scale_f32 v12, s[12:13], v9, v9, 1.0
	v_rcp_f32_e32 v13, v12
	v_div_scale_f32 v16, vcc, 1.0, v9, 1.0
	v_cmp_lt_f32_e64 s[10:11], v10, v1
	v_fma_f32 v17, -v12, v13, 1.0
	v_fmac_f32_e32 v13, v17, v13
	v_mul_f32_e32 v17, v16, v13
	v_cndmask_b32_e64 v10, v10, v1, s[10:11]
	v_fma_f32 v18, -v12, v17, v16
	v_cmp_lt_f32_e64 s[12:13], v10, v2
	v_fmac_f32_e32 v17, v18, v13
	v_cndmask_b32_e64 v10, v10, v2, s[12:13]
	v_fma_f32 v12, -v12, v17, v16
	v_div_fmas_f32 v12, v12, v13, v17
	v_cmp_lt_f32_e32 vcc, v10, v3
	v_div_fixup_f32 v9, v12, v9, 1.0
	v_cndmask_b32_e32 v10, v10, v3, vcc
	global_store_dword v[14:15], v9, off offset:12
	s_cbranch_scc1 .LBB38_8
; %bb.5:
	v_cndmask_b32_e64 v9, 0, 1, s[0:1]
	v_cndmask_b32_e64 v9, v9, 2, s[2:3]
	;; [unrolled: 1-line block ×6, first 2 shown]
	v_cndmask_b32_e64 v26, v9, 7, vcc
	v_sub_f32_e32 v9, v10, v10
	v_mul_f32_e32 v13, 0x3fb8aa3b, v9
	s_load_dwordx4 s[20:23], s[4:5], 0x20
	s_mov_b32 s4, 0x3fb8aa3b
	v_rndne_f32_e32 v14, v13
	v_sub_f32_e32 v15, v13, v14
	v_fma_f32 v13, v9, s4, -v13
	v_fmac_f32_e32 v13, 0x32a5705f, v9
	v_add_f32_e32 v13, v15, v13
	v_exp_f32_e32 v13, v13
	v_cvt_i32_f32_e32 v14, v14
	v_cmp_le_i32_e32 vcc, s17, v26
	v_cmp_gt_i32_e64 s[0:1], s18, v26
	s_mov_b32 s5, 0xc2ce8ed0
	s_and_b64 s[2:3], vcc, s[0:1]
	v_ldexp_f32 v13, v13, v14
	v_cmp_ngt_f32_e32 vcc, s5, v9
	s_mov_b32 s6, 0x42b17218
	v_cndmask_b32_e32 v13, 0, v13, vcc
	v_cmp_nlt_f32_e32 vcc, s6, v9
	v_ashrrev_i32_e32 v9, 31, v8
	v_lshlrev_b64 v[16:17], 2, v[8:9]
	v_mul_lo_u32 v12, v23, s28
	v_cndmask_b32_e32 v20, v11, v13, vcc
	v_mov_b32_e32 v9, s15
	v_add_co_u32_e32 v18, vcc, s14, v16
	v_addc_co_u32_e64 v19, s[0:1], v9, v17, vcc
	v_ashrrev_i32_e32 v13, 31, v12
	v_subrev_u32_e32 v9, s17, v26
	s_and_b64 s[0:1], s[24:25], s[2:3]
	v_lshlrev_b64 v[14:15], 2, v[12:13]
	v_mul_lo_u32 v24, v23, s16
	v_cndmask_b32_e64 v9, 8, v9, s[0:1]
	s_waitcnt lgkmcnt(0)
	v_mov_b32_e32 v13, s21
	v_add_co_u32_e64 v12, s[0:1], s20, v14
	v_addc_co_u32_e64 v13, s[0:1], v13, v15, s[0:1]
	v_ashrrev_i32_e32 v25, 31, v24
	global_store_dword v[12:13], v9, off
	v_lshlrev_b64 v[12:13], 2, v[24:25]
	v_mov_b32_e32 v9, s23
	v_add_co_u32_e64 v24, s[0:1], s22, v12
	v_addc_co_u32_e64 v25, s[0:1], v9, v13, s[0:1]
	v_mov_b32_e32 v9, 0xff800000
	v_cmp_ne_u32_e64 s[0:1], 7, v26
	v_cndmask_b32_e64 v3, v9, v3, s[0:1]
	v_cmp_ne_u32_e64 s[0:1], 6, v26
	v_cndmask_b32_e64 v2, v9, v2, s[0:1]
	;; [unrolled: 2-line block ×7, first 2 shown]
	v_cmp_ne_u32_e64 s[0:1], 0, v26
	s_cmp_eq_u32 s16, 1
	v_cndmask_b32_e64 v4, v9, v4, s[0:1]
	global_store_dword v[18:19], v20, off
	global_store_dword v[24:25], v23, off
	s_cbranch_scc1 .LBB38_8
; %bb.6:
	v_mov_b32_e32 v16, s23
	v_add_co_u32_e64 v12, s[0:1], s22, v12
	v_addc_co_u32_e64 v13, s[0:1], v13, v16, s[0:1]
	v_add_co_u32_e64 v12, s[0:1], 4, v12
	v_addc_co_u32_e64 v13, s[0:1], 0, v13, s[0:1]
	v_mov_b32_e32 v16, s21
	v_add_co_u32_e64 v14, s[0:1], s20, v14
	v_addc_co_u32_e64 v15, s[0:1], v15, v16, s[0:1]
	v_mov_b32_e32 v16, s15
	v_addc_co_u32_e32 v17, vcc, v17, v16, vcc
	v_add_co_u32_e64 v14, s[0:1], 4, v14
	v_add_co_u32_e32 v16, vcc, 4, v18
	s_add_i32 s31, s31, s30
	v_addc_co_u32_e64 v15, s[0:1], 0, v15, s[0:1]
	v_addc_co_u32_e32 v17, vcc, 0, v17, vcc
	s_add_i32 s7, s16, -1
	v_add3_u32 v18, s31, v22, v21
	v_mov_b32_e32 v19, 0x7f800000
.LBB38_7:                               ; =>This Inner Loop Header: Depth=1
	v_cmp_gt_f32_e32 vcc, v5, v4
	v_cndmask_b32_e32 v21, v4, v5, vcc
	v_cmp_gt_f32_e64 s[0:1], v6, v21
	v_cndmask_b32_e64 v21, v21, v6, s[0:1]
	v_cndmask_b32_e64 v22, 0, 1, vcc
	v_cmp_gt_f32_e32 vcc, v7, v21
	v_cndmask_b32_e32 v21, v21, v7, vcc
	v_cndmask_b32_e64 v22, v22, 2, s[0:1]
	v_cmp_gt_f32_e64 s[0:1], v0, v21
	v_cndmask_b32_e64 v21, v21, v0, s[0:1]
	v_cndmask_b32_e64 v22, v22, 3, vcc
	v_cmp_gt_f32_e32 vcc, v1, v21
	v_cndmask_b32_e32 v21, v21, v1, vcc
	v_cndmask_b32_e64 v22, v22, 4, s[0:1]
	v_cmp_gt_f32_e64 s[0:1], v2, v21
	v_cndmask_b32_e64 v21, v21, v2, s[0:1]
	v_cndmask_b32_e64 v22, v22, 5, vcc
	v_cmp_gt_f32_e32 vcc, v3, v21
	v_cndmask_b32_e64 v22, v22, 6, s[0:1]
	v_cndmask_b32_e64 v22, v22, 7, vcc
	v_cmp_ne_u32_e64 s[2:3], 7, v22
	v_cndmask_b32_e32 v21, v21, v3, vcc
	v_cndmask_b32_e64 v3, v9, v3, s[2:3]
	v_cmp_ne_u32_e64 s[2:3], 6, v22
	v_cndmask_b32_e64 v2, v9, v2, s[2:3]
	v_cmp_ne_u32_e64 s[2:3], 5, v22
	;; [unrolled: 2-line block ×4, first 2 shown]
	v_sub_f32_e32 v21, v21, v10
	v_cndmask_b32_e64 v7, v9, v7, s[2:3]
	v_cmp_ne_u32_e64 s[2:3], 2, v22
	v_cmp_le_i32_e32 vcc, s17, v22
	v_cmp_gt_i32_e64 s[0:1], s18, v22
	v_mul_f32_e32 v23, 0x3fb8aa3b, v21
	v_cndmask_b32_e64 v6, v9, v6, s[2:3]
	v_cmp_ne_u32_e64 s[2:3], 1, v22
	v_subrev_u32_e32 v24, s17, v22
	v_cndmask_b32_e64 v5, v9, v5, s[2:3]
	v_cmp_ne_u32_e64 s[2:3], 0, v22
	s_and_b64 s[0:1], vcc, s[0:1]
	v_fma_f32 v22, v21, s4, -v23
	v_rndne_f32_e32 v25, v23
	v_fmac_f32_e32 v22, 0x32a5705f, v21
	v_sub_f32_e32 v23, v23, v25
	s_and_b64 vcc, s[24:25], s[0:1]
	v_cndmask_b32_e32 v24, 8, v24, vcc
	v_add_f32_e32 v22, v23, v22
	v_cvt_i32_f32_e32 v25, v25
	global_store_dword v[14:15], v24, off
	global_store_dword v[12:13], v18, off
	v_add_co_u32_e32 v12, vcc, 4, v12
	v_exp_f32_e32 v22, v22
	v_addc_co_u32_e32 v13, vcc, 0, v13, vcc
	v_add_co_u32_e32 v14, vcc, 4, v14
	v_addc_co_u32_e32 v15, vcc, 0, v15, vcc
	v_ldexp_f32 v22, v22, v25
	v_cmp_ngt_f32_e32 vcc, s5, v21
	v_cndmask_b32_e32 v22, 0, v22, vcc
	v_cmp_nlt_f32_e32 vcc, s6, v21
	v_cndmask_b32_e32 v21, v19, v22, vcc
	s_add_i32 s7, s7, -1
	global_store_dword v[16:17], v21, off
	v_add_co_u32_e32 v16, vcc, 4, v16
	v_cndmask_b32_e64 v4, v9, v4, s[2:3]
	v_add_u32_e32 v18, s30, v18
	s_cmp_eq_u32 s7, 0
	v_add_f32_e32 v20, v20, v21
	v_addc_co_u32_e32 v17, vcc, 0, v17, vcc
	s_cbranch_scc0 .LBB38_7
.LBB38_8:
	v_pk_add_f32 v[4:5], v[4:5], v[10:11] op_sel_hi:[1,0] neg_lo:[0,1] neg_hi:[0,1]
	s_mov_b32 s0, 0x3fb8aa3b
	v_mul_f32_e32 v9, 0x3fb8aa3b, v5
	v_fma_f32 v12, v5, s0, -v9
	v_rndne_f32_e32 v13, v9
	v_fmac_f32_e32 v12, 0x32a5705f, v5
	v_sub_f32_e32 v9, v9, v13
	v_add_f32_e32 v9, v9, v12
	v_exp_f32_e32 v9, v9
	v_cvt_i32_f32_e32 v12, v13
	s_mov_b32 s1, 0xc2ce8ed0
	v_cmp_ngt_f32_e32 vcc, s1, v5
	s_mov_b32 s2, 0x42b17218
	v_ldexp_f32 v9, v9, v12
	v_mul_f32_e32 v12, 0x3fb8aa3b, v4
	v_fma_f32 v13, v4, s0, -v12
	v_rndne_f32_e32 v14, v12
	v_fmac_f32_e32 v13, 0x32a5705f, v4
	v_sub_f32_e32 v12, v12, v14
	v_add_f32_e32 v12, v12, v13
	v_exp_f32_e32 v12, v12
	v_cvt_i32_f32_e32 v13, v14
	v_cndmask_b32_e32 v9, 0, v9, vcc
	v_cmp_nlt_f32_e32 vcc, s2, v5
	v_sub_f32_e32 v6, v6, v10
	v_cndmask_b32_e32 v5, v11, v9, vcc
	v_ldexp_f32 v9, v12, v13
	v_mul_f32_e32 v12, 0x3fb8aa3b, v6
	v_fma_f32 v13, v6, s0, -v12
	v_rndne_f32_e32 v14, v12
	v_fmac_f32_e32 v13, 0x32a5705f, v6
	v_sub_f32_e32 v12, v12, v14
	v_add_f32_e32 v12, v12, v13
	v_exp_f32_e32 v12, v12
	v_cvt_i32_f32_e32 v13, v14
	v_cmp_ngt_f32_e32 vcc, s1, v4
	v_cndmask_b32_e32 v9, 0, v9, vcc
	v_cmp_nlt_f32_e32 vcc, s2, v4
	v_sub_f32_e32 v7, v7, v10
	v_cndmask_b32_e32 v4, v11, v9, vcc
	v_mul_f32_e32 v9, 0x3fb8aa3b, v7
	v_add_f32_e32 v4, v4, v5
	v_ldexp_f32 v5, v12, v13
	v_fma_f32 v12, v7, s0, -v9
	v_rndne_f32_e32 v13, v9
	v_fmac_f32_e32 v12, 0x32a5705f, v7
	v_sub_f32_e32 v9, v9, v13
	v_add_f32_e32 v9, v9, v12
	v_exp_f32_e32 v9, v9
	v_cvt_i32_f32_e32 v12, v13
	v_cmp_ngt_f32_e32 vcc, s1, v6
	v_cndmask_b32_e32 v5, 0, v5, vcc
	v_cmp_nlt_f32_e32 vcc, s2, v6
	v_sub_f32_e32 v0, v0, v10
	v_cndmask_b32_e32 v5, v11, v5, vcc
	v_mul_f32_e32 v6, 0x3fb8aa3b, v0
	v_add_f32_e32 v4, v4, v5
	v_ldexp_f32 v5, v9, v12
	v_fma_f32 v9, v0, s0, -v6
	v_rndne_f32_e32 v12, v6
	v_fmac_f32_e32 v9, 0x32a5705f, v0
	v_sub_f32_e32 v6, v6, v12
	v_add_f32_e32 v6, v6, v9
	v_exp_f32_e32 v6, v6
	v_cvt_i32_f32_e32 v9, v12
	v_cmp_ngt_f32_e32 vcc, s1, v7
	v_cndmask_b32_e32 v5, 0, v5, vcc
	v_cmp_nlt_f32_e32 vcc, s2, v7
	v_cndmask_b32_e32 v5, v11, v5, vcc
	v_sub_f32_e32 v1, v1, v10
	v_add_f32_e32 v4, v4, v5
	v_ldexp_f32 v5, v6, v9
	v_mul_f32_e32 v6, 0x3fb8aa3b, v1
	v_fma_f32 v7, v1, s0, -v6
	v_rndne_f32_e32 v9, v6
	v_fmac_f32_e32 v7, 0x32a5705f, v1
	v_sub_f32_e32 v6, v6, v9
	v_add_f32_e32 v6, v6, v7
	v_exp_f32_e32 v6, v6
	v_cvt_i32_f32_e32 v7, v9
	v_cmp_ngt_f32_e32 vcc, s1, v0
	v_cndmask_b32_e32 v5, 0, v5, vcc
	v_cmp_nlt_f32_e32 vcc, s2, v0
	v_sub_f32_e32 v2, v2, v10
	v_cndmask_b32_e32 v0, v11, v5, vcc
	v_mul_f32_e32 v5, 0x3fb8aa3b, v2
	v_add_f32_e32 v0, v4, v0
	v_ldexp_f32 v4, v6, v7
	v_fma_f32 v6, v2, s0, -v5
	v_rndne_f32_e32 v7, v5
	v_fmac_f32_e32 v6, 0x32a5705f, v2
	v_sub_f32_e32 v5, v5, v7
	v_add_f32_e32 v5, v5, v6
	v_exp_f32_e32 v5, v5
	v_cvt_i32_f32_e32 v6, v7
	v_cmp_ngt_f32_e32 vcc, s1, v1
	v_cndmask_b32_e32 v4, 0, v4, vcc
	v_cmp_nlt_f32_e32 vcc, s2, v1
	v_sub_f32_e32 v3, v3, v10
	v_cndmask_b32_e32 v1, v11, v4, vcc
	v_mul_f32_e32 v4, 0x3fb8aa3b, v3
	v_add_f32_e32 v0, v0, v1
	v_ldexp_f32 v1, v5, v6
	v_fma_f32 v5, v3, s0, -v4
	v_rndne_f32_e32 v6, v4
	v_fmac_f32_e32 v5, 0x32a5705f, v3
	v_sub_f32_e32 v4, v4, v6
	v_add_f32_e32 v4, v4, v5
	v_exp_f32_e32 v4, v4
	v_cvt_i32_f32_e32 v5, v6
	v_cmp_ngt_f32_e32 vcc, s1, v2
	v_cndmask_b32_e32 v1, 0, v1, vcc
	v_cmp_nlt_f32_e32 vcc, s2, v2
	v_cndmask_b32_e32 v1, v11, v1, vcc
	v_add_f32_e32 v0, v0, v1
	v_ldexp_f32 v1, v4, v5
	v_cmp_ngt_f32_e32 vcc, s1, v3
	v_cndmask_b32_e32 v1, 0, v1, vcc
	v_cmp_nlt_f32_e32 vcc, s2, v3
	v_cndmask_b32_e32 v1, v11, v1, vcc
	v_add_f32_e32 v0, v0, v1
	v_add_f32_e32 v0, v20, v0
	v_cmp_neq_f32_e32 vcc, 0, v0
	s_and_b64 exec, exec, vcc
	s_cbranch_execz .LBB38_19
; %bb.9:
	s_andn2_b64 vcc, exec, s[26:27]
	s_cbranch_vccnz .LBB38_19
; %bb.10:
	v_div_scale_f32 v1, s[0:1], v0, v0, 1.0
	v_rcp_f32_e32 v2, v1
	v_div_scale_f32 v3, vcc, 1.0, v0, 1.0
	s_cmp_gt_u32 s16, 3
	v_fma_f32 v4, -v1, v2, 1.0
	v_fmac_f32_e32 v2, v4, v2
	v_mul_f32_e32 v4, v3, v2
	v_fma_f32 v5, -v1, v4, v3
	v_fmac_f32_e32 v4, v5, v2
	v_fma_f32 v1, -v1, v4, v3
	v_div_fmas_f32 v1, v1, v2, v4
	v_div_fixup_f32 v0, v1, v0, 1.0
	v_ashrrev_i32_e32 v9, 31, v8
	s_cbranch_scc0 .LBB38_14
; %bb.11:
	v_lshlrev_b64 v[2:3], 2, v[8:9]
	v_mov_b32_e32 v4, s15
	v_add_co_u32_e32 v2, vcc, s14, v2
	v_addc_co_u32_e32 v3, vcc, v3, v4, vcc
	s_and_b32 s4, s16, 0x7ffffffc
	v_add_co_u32_e32 v2, vcc, 8, v2
	v_mov_b32_e32 v1, v0
	v_addc_co_u32_e32 v3, vcc, 0, v3, vcc
	s_mov_b32 s0, s4
.LBB38_12:                              ; =>This Inner Loop Header: Depth=1
	global_load_dwordx4 v[4:7], v[2:3], off offset:-8
	s_add_i32 s0, s0, -4
	s_cmp_lg_u32 s0, 0
	s_waitcnt vmcnt(0)
	v_pk_mul_f32 v[4:5], v[0:1], v[4:5]
	v_pk_mul_f32 v[6:7], v[0:1], v[6:7]
	global_store_dwordx4 v[2:3], v[4:7], off offset:-8
	v_add_co_u32_e32 v2, vcc, 16, v2
	v_addc_co_u32_e32 v3, vcc, 0, v3, vcc
	s_cbranch_scc1 .LBB38_12
; %bb.13:
	s_cmp_lg_u32 s4, s16
	s_cselect_b64 s[0:1], -1, 0
	s_branch .LBB38_16
.LBB38_14:
	s_mov_b64 s[0:1], 0
                                        ; implicit-def: $sgpr4
	s_cbranch_execz .LBB38_16
; %bb.15:
	s_mov_b64 s[0:1], -1
	s_mov_b32 s4, 0
.LBB38_16:
	s_andn2_b64 vcc, exec, s[0:1]
	s_cbranch_vccnz .LBB38_19
; %bb.17:
	v_add_co_u32_e32 v2, vcc, s4, v8
	v_addc_co_u32_e32 v3, vcc, 0, v9, vcc
	v_lshlrev_b64 v[2:3], 2, v[2:3]
	v_mov_b32_e32 v1, s15
	v_add_co_u32_e32 v2, vcc, s14, v2
	s_sub_i32 s0, s16, s4
	v_addc_co_u32_e32 v3, vcc, v1, v3, vcc
.LBB38_18:                              ; =>This Inner Loop Header: Depth=1
	global_load_dword v1, v[2:3], off
	s_add_i32 s0, s0, -1
	s_cmp_lg_u32 s0, 0
	s_waitcnt vmcnt(0)
	v_mul_f32_e32 v1, v0, v1
	global_store_dword v[2:3], v1, off
	v_add_co_u32_e32 v2, vcc, 4, v2
	v_addc_co_u32_e32 v3, vcc, 0, v3, vcc
	s_cbranch_scc1 .LBB38_18
.LBB38_19:
	s_endpgm
	.section	.rodata,"a",@progbits
	.p2align	6, 0x0
	.amdhsa_kernel _ZN4vllm3moe17topkGatingSoftmaxIfLi8ELi8ELi8ELi32ELb0ELi4ELNS0_23SharedExpertScoringFuncE1EEEvPKT_PKbPfiPiS9_iiiiii
		.amdhsa_group_segment_fixed_size 0
		.amdhsa_private_segment_fixed_size 0
		.amdhsa_kernarg_size 72
		.amdhsa_user_sgpr_count 6
		.amdhsa_user_sgpr_private_segment_buffer 1
		.amdhsa_user_sgpr_dispatch_ptr 0
		.amdhsa_user_sgpr_queue_ptr 0
		.amdhsa_user_sgpr_kernarg_segment_ptr 1
		.amdhsa_user_sgpr_dispatch_id 0
		.amdhsa_user_sgpr_flat_scratch_init 0
		.amdhsa_user_sgpr_kernarg_preload_length 0
		.amdhsa_user_sgpr_kernarg_preload_offset 0
		.amdhsa_user_sgpr_private_segment_size 0
		.amdhsa_uses_dynamic_stack 0
		.amdhsa_system_sgpr_private_segment_wavefront_offset 0
		.amdhsa_system_sgpr_workgroup_id_x 1
		.amdhsa_system_sgpr_workgroup_id_y 0
		.amdhsa_system_sgpr_workgroup_id_z 0
		.amdhsa_system_sgpr_workgroup_info 0
		.amdhsa_system_vgpr_workitem_id 1
		.amdhsa_next_free_vgpr 27
		.amdhsa_next_free_sgpr 32
		.amdhsa_accum_offset 28
		.amdhsa_reserve_vcc 1
		.amdhsa_reserve_flat_scratch 0
		.amdhsa_float_round_mode_32 0
		.amdhsa_float_round_mode_16_64 0
		.amdhsa_float_denorm_mode_32 3
		.amdhsa_float_denorm_mode_16_64 3
		.amdhsa_dx10_clamp 1
		.amdhsa_ieee_mode 1
		.amdhsa_fp16_overflow 0
		.amdhsa_tg_split 0
		.amdhsa_exception_fp_ieee_invalid_op 0
		.amdhsa_exception_fp_denorm_src 0
		.amdhsa_exception_fp_ieee_div_zero 0
		.amdhsa_exception_fp_ieee_overflow 0
		.amdhsa_exception_fp_ieee_underflow 0
		.amdhsa_exception_fp_ieee_inexact 0
		.amdhsa_exception_int_div_zero 0
	.end_amdhsa_kernel
	.section	.text._ZN4vllm3moe17topkGatingSoftmaxIfLi8ELi8ELi8ELi32ELb0ELi4ELNS0_23SharedExpertScoringFuncE1EEEvPKT_PKbPfiPiS9_iiiiii,"axG",@progbits,_ZN4vllm3moe17topkGatingSoftmaxIfLi8ELi8ELi8ELi32ELb0ELi4ELNS0_23SharedExpertScoringFuncE1EEEvPKT_PKbPfiPiS9_iiiiii,comdat
.Lfunc_end38:
	.size	_ZN4vllm3moe17topkGatingSoftmaxIfLi8ELi8ELi8ELi32ELb0ELi4ELNS0_23SharedExpertScoringFuncE1EEEvPKT_PKbPfiPiS9_iiiiii, .Lfunc_end38-_ZN4vllm3moe17topkGatingSoftmaxIfLi8ELi8ELi8ELi32ELb0ELi4ELNS0_23SharedExpertScoringFuncE1EEEvPKT_PKbPfiPiS9_iiiiii
                                        ; -- End function
	.section	.AMDGPU.csdata,"",@progbits
; Kernel info:
; codeLenInByte = 3020
; NumSgprs: 36
; NumVgprs: 27
; NumAgprs: 0
; TotalNumVgprs: 27
; ScratchSize: 0
; MemoryBound: 0
; FloatMode: 240
; IeeeMode: 1
; LDSByteSize: 0 bytes/workgroup (compile time only)
; SGPRBlocks: 4
; VGPRBlocks: 3
; NumSGPRsForWavesPerEU: 36
; NumVGPRsForWavesPerEU: 27
; AccumOffset: 28
; Occupancy: 8
; WaveLimiterHint : 0
; COMPUTE_PGM_RSRC2:SCRATCH_EN: 0
; COMPUTE_PGM_RSRC2:USER_SGPR: 6
; COMPUTE_PGM_RSRC2:TRAP_HANDLER: 0
; COMPUTE_PGM_RSRC2:TGID_X_EN: 1
; COMPUTE_PGM_RSRC2:TGID_Y_EN: 0
; COMPUTE_PGM_RSRC2:TGID_Z_EN: 0
; COMPUTE_PGM_RSRC2:TIDIG_COMP_CNT: 1
; COMPUTE_PGM_RSRC3_GFX90A:ACCUM_OFFSET: 6
; COMPUTE_PGM_RSRC3_GFX90A:TG_SPLIT: 0
	.section	.text._ZN4vllm3moe17topkGatingSoftmaxIfLi8ELi8ELi8ELi32ELb1ELi8ELNS0_23SharedExpertScoringFuncE1EEEvPKT_PKbPfiPiS9_iiiiii,"axG",@progbits,_ZN4vllm3moe17topkGatingSoftmaxIfLi8ELi8ELi8ELi32ELb1ELi8ELNS0_23SharedExpertScoringFuncE1EEEvPKT_PKbPfiPiS9_iiiiii,comdat
	.protected	_ZN4vllm3moe17topkGatingSoftmaxIfLi8ELi8ELi8ELi32ELb1ELi8ELNS0_23SharedExpertScoringFuncE1EEEvPKT_PKbPfiPiS9_iiiiii ; -- Begin function _ZN4vllm3moe17topkGatingSoftmaxIfLi8ELi8ELi8ELi32ELb1ELi8ELNS0_23SharedExpertScoringFuncE1EEEvPKT_PKbPfiPiS9_iiiiii
	.globl	_ZN4vllm3moe17topkGatingSoftmaxIfLi8ELi8ELi8ELi32ELb1ELi8ELNS0_23SharedExpertScoringFuncE1EEEvPKT_PKbPfiPiS9_iiiiii
	.p2align	8
	.type	_ZN4vllm3moe17topkGatingSoftmaxIfLi8ELi8ELi8ELi32ELb1ELi8ELNS0_23SharedExpertScoringFuncE1EEEvPKT_PKbPfiPiS9_iiiiii,@function
_ZN4vllm3moe17topkGatingSoftmaxIfLi8ELi8ELi8ELi32ELb1ELi8ELNS0_23SharedExpertScoringFuncE1EEEvPKT_PKbPfiPiS9_iiiiii: ; @_ZN4vllm3moe17topkGatingSoftmaxIfLi8ELi8ELi8ELi32ELb1ELi8ELNS0_23SharedExpertScoringFuncE1EEEvPKT_PKbPfiPiS9_iiiiii
; %bb.0:
	s_load_dword s28, s[4:5], 0x18
	v_bfe_u32 v1, v0, 10, 10
	s_lshl_b32 s6, s6, 9
	v_lshlrev_b32_e32 v18, 6, v1
	v_and_b32_e32 v19, 0x3ff, v0
	v_add3_u32 v20, v18, v19, s6
	s_waitcnt lgkmcnt(0)
	v_cmp_gt_i32_e32 vcc, s28, v20
	s_and_saveexec_b64 s[0:1], vcc
	s_cbranch_execz .LBB39_19
; %bb.1:
	s_load_dwordx4 s[0:3], s[4:5], 0x0
	s_load_dwordx2 s[18:19], s[4:5], 0x10
	s_waitcnt lgkmcnt(0)
	s_cmp_eq_u64 s[2:3], 0
	s_cbranch_scc1 .LBB39_3
; %bb.2:
	v_ashrrev_i32_e32 v1, 31, v20
	v_mov_b32_e32 v2, s3
	v_add_co_u32_e32 v0, vcc, s2, v20
	v_addc_co_u32_e32 v1, vcc, v2, v1, vcc
	global_load_ubyte v0, v[0:1], off
	s_waitcnt vmcnt(0)
	v_and_b32_e32 v0, 1, v0
	v_cmp_eq_u32_e32 vcc, 1, v0
	s_xor_b64 s[2:3], vcc, -1
	s_orn2_b64 s[24:25], s[2:3], exec
	s_branch .LBB39_4
.LBB39_3:
	s_mov_b64 s[24:25], -1
.LBB39_4:
	s_load_dwordx2 s[2:3], s[4:5], 0x40
	s_load_dwordx4 s[20:23], s[4:5], 0x30
	v_mov_b32_e32 v2, s1
	s_mov_b32 s1, 0xc2b17218
	v_mov_b32_e32 v9, 0x7f800000
	s_waitcnt lgkmcnt(0)
	v_mul_lo_u32 v0, v20, s3
	v_ashrrev_i32_e32 v1, 31, v0
	v_lshlrev_b64 v[0:1], 2, v[0:1]
	v_add_co_u32_e32 v10, vcc, s0, v0
	v_addc_co_u32_e32 v11, vcc, v2, v1, vcc
	global_load_dword v14, v[10:11], off offset:32
	s_mov_b32 s3, 0xbfb8aa3b
	s_mov_b32 s0, 0x42ce8ed0
	v_mul_lo_u32 v8, v20, s23
	v_add_u32_e32 v0, s20, v8
	v_ashrrev_i32_e32 v1, 31, v0
	v_lshlrev_b64 v[12:13], 2, v[0:1]
	v_mov_b32_e32 v15, s19
	s_cmp_gt_i32 s20, 0
	s_cselect_b64 s[26:27], -1, 0
	s_cmp_lt_i32 s20, 1
	s_waitcnt vmcnt(0)
	v_mul_f32_e32 v2, 0xbfb8aa3b, v14
	v_fma_f32 v3, v14, s3, -v2
	v_rndne_f32_e32 v4, v2
	v_fmac_f32_e32 v3, 0xb2a5705f, v14
	v_sub_f32_e32 v2, v2, v4
	v_add_f32_e32 v2, v2, v3
	v_cvt_i32_f32_e32 v16, v4
	v_exp_f32_e32 v17, v2
	v_cmp_nlt_f32_e32 vcc, s0, v14
	global_load_dwordx4 v[4:7], v[10:11], off offset:16
	global_load_dwordx4 v[0:3], v[10:11], off
	v_ldexp_f32 v16, v17, v16
	v_cndmask_b32_e32 v16, 0, v16, vcc
	v_cmp_ngt_f32_e32 vcc, s1, v14
	v_cndmask_b32_e32 v14, v9, v16, vcc
	v_add_f32_e32 v14, 1.0, v14
	v_div_scale_f32 v16, s[8:9], v14, v14, 1.0
	v_rcp_f32_e32 v17, v16
	v_add_co_u32_e32 v12, vcc, s18, v12
	v_addc_co_u32_e32 v13, vcc, v15, v13, vcc
	v_fma_f32 v21, -v16, v17, 1.0
	v_div_scale_f32 v15, vcc, 1.0, v14, 1.0
	v_fmac_f32_e32 v17, v21, v17
	v_mul_f32_e32 v21, v15, v17
	v_fma_f32 v22, -v16, v21, v15
	v_fmac_f32_e32 v21, v22, v17
	v_fma_f32 v15, -v16, v21, v15
	v_div_fmas_f32 v15, v15, v17, v21
	v_div_fixup_f32 v14, v15, v14, 1.0
	global_store_dword v[12:13], v14, off
	global_load_dword v14, v[10:11], off offset:36
	s_waitcnt vmcnt(0)
	v_mul_f32_e32 v15, 0xbfb8aa3b, v14
	v_fma_f32 v16, v14, s3, -v15
	v_rndne_f32_e32 v17, v15
	v_fmac_f32_e32 v16, 0xb2a5705f, v14
	v_sub_f32_e32 v15, v15, v17
	v_add_f32_e32 v15, v15, v16
	v_cvt_i32_f32_e32 v17, v17
	v_exp_f32_e32 v15, v15
	v_cmp_nlt_f32_e32 vcc, s0, v14
	v_ldexp_f32 v15, v15, v17
	v_cndmask_b32_e32 v15, 0, v15, vcc
	v_cmp_ngt_f32_e32 vcc, s1, v14
	v_cndmask_b32_e32 v14, v9, v15, vcc
	v_add_f32_e32 v14, 1.0, v14
	v_div_scale_f32 v15, s[8:9], v14, v14, 1.0
	v_rcp_f32_e32 v16, v15
	v_div_scale_f32 v17, vcc, 1.0, v14, 1.0
	v_fma_f32 v21, -v15, v16, 1.0
	v_fmac_f32_e32 v16, v21, v16
	v_mul_f32_e32 v21, v17, v16
	v_fma_f32 v22, -v15, v21, v17
	v_fmac_f32_e32 v21, v22, v16
	v_fma_f32 v15, -v15, v21, v17
	v_div_fmas_f32 v15, v15, v16, v21
	v_div_fixup_f32 v14, v15, v14, 1.0
	global_store_dword v[12:13], v14, off offset:4
	global_load_dword v14, v[10:11], off offset:40
	s_waitcnt vmcnt(0)
	v_mul_f32_e32 v15, 0xbfb8aa3b, v14
	v_fma_f32 v16, v14, s3, -v15
	v_rndne_f32_e32 v17, v15
	v_fmac_f32_e32 v16, 0xb2a5705f, v14
	v_sub_f32_e32 v15, v15, v17
	v_add_f32_e32 v15, v15, v16
	v_cvt_i32_f32_e32 v17, v17
	v_exp_f32_e32 v15, v15
	v_cmp_nlt_f32_e32 vcc, s0, v14
	v_ldexp_f32 v15, v15, v17
	v_cndmask_b32_e32 v15, 0, v15, vcc
	v_cmp_ngt_f32_e32 vcc, s1, v14
	v_cndmask_b32_e32 v14, v9, v15, vcc
	v_add_f32_e32 v14, 1.0, v14
	v_div_scale_f32 v15, s[8:9], v14, v14, 1.0
	v_rcp_f32_e32 v16, v15
	v_div_scale_f32 v17, vcc, 1.0, v14, 1.0
	v_fma_f32 v21, -v15, v16, 1.0
	v_fmac_f32_e32 v16, v21, v16
	v_mul_f32_e32 v21, v17, v16
	v_fma_f32 v22, -v15, v21, v17
	v_fmac_f32_e32 v21, v22, v16
	v_fma_f32 v15, -v15, v21, v17
	v_div_fmas_f32 v15, v15, v16, v21
	v_div_fixup_f32 v14, v15, v14, 1.0
	global_store_dword v[12:13], v14, off offset:8
	;; [unrolled: 28-line block ×6, first 2 shown]
	global_load_dword v10, v[10:11], off offset:60
	v_mov_b32_e32 v21, 0
	s_waitcnt vmcnt(0)
	v_mul_f32_e32 v11, 0xbfb8aa3b, v10
	v_fma_f32 v14, v10, s3, -v11
	v_rndne_f32_e32 v15, v11
	v_fmac_f32_e32 v14, 0xb2a5705f, v10
	v_sub_f32_e32 v11, v11, v15
	v_add_f32_e32 v11, v11, v14
	v_cvt_i32_f32_e32 v15, v15
	v_exp_f32_e32 v11, v11
	v_cmp_nlt_f32_e32 vcc, s0, v10
	v_ldexp_f32 v11, v11, v15
	v_cndmask_b32_e32 v11, 0, v11, vcc
	v_cmp_ngt_f32_e32 vcc, s1, v10
	v_cndmask_b32_e32 v10, v9, v11, vcc
	v_add_f32_e32 v10, 1.0, v10
	v_div_scale_f32 v11, s[0:1], v10, v10, 1.0
	v_rcp_f32_e32 v14, v11
	v_div_scale_f32 v15, vcc, 1.0, v10, 1.0
	v_fma_f32 v16, -v11, v14, 1.0
	v_fmac_f32_e32 v14, v16, v14
	v_mul_f32_e32 v16, v15, v14
	v_fma_f32 v17, -v11, v16, v15
	v_fmac_f32_e32 v16, v17, v14
	v_fma_f32 v11, -v11, v16, v15
	v_div_fmas_f32 v11, v11, v14, v16
	v_div_fixup_f32 v10, v11, v10, 1.0
	global_store_dword v[12:13], v10, off offset:28
	s_cbranch_scc1 .LBB39_8
; %bb.5:
	v_cmp_lt_f32_e32 vcc, v0, v1
	v_cndmask_b32_e32 v11, v0, v1, vcc
	v_cndmask_b32_e64 v10, 0, 1, vcc
	v_cmp_lt_f32_e32 vcc, v11, v2
	v_cndmask_b32_e32 v11, v11, v2, vcc
	v_cndmask_b32_e64 v10, v10, 2, vcc
	;; [unrolled: 3-line block ×6, first 2 shown]
	v_cmp_lt_f32_e32 vcc, v11, v7
	v_cndmask_b32_e32 v22, v11, v7, vcc
	v_sub_f32_e32 v11, v22, v22
	s_mov_b32 s23, 0x3fb8aa3b
	v_mul_f32_e32 v12, 0x3fb8aa3b, v11
	v_fma_f32 v13, v11, s23, -v12
	v_rndne_f32_e32 v14, v12
	v_fmac_f32_e32 v13, 0x32a5705f, v11
	v_sub_f32_e32 v12, v12, v14
	v_add_f32_e32 v12, v12, v13
	v_exp_f32_e32 v12, v12
	v_cvt_i32_f32_e32 v13, v14
	v_cndmask_b32_e64 v23, v10, 7, vcc
	v_cmp_le_i32_e32 vcc, s21, v23
	v_cmp_gt_i32_e64 s[0:1], s22, v23
	s_mov_b32 s29, 0xc2ce8ed0
	v_mul_lo_u32 v10, v20, s2
	s_and_b64 s[2:3], vcc, s[0:1]
	v_ldexp_f32 v12, v12, v13
	v_cmp_ngt_f32_e32 vcc, s29, v11
	s_mov_b32 s30, 0x42b17218
	v_cndmask_b32_e32 v12, 0, v12, vcc
	v_cmp_nlt_f32_e32 vcc, s30, v11
	s_load_dwordx4 s[8:11], s[4:5], 0x20
	v_cndmask_b32_e32 v21, v9, v12, vcc
	v_ashrrev_i32_e32 v9, 31, v8
	v_lshlrev_b64 v[14:15], 2, v[8:9]
	v_mov_b32_e32 v9, s19
	v_add_co_u32_e32 v16, vcc, s18, v14
	v_addc_co_u32_e64 v17, s[0:1], v9, v15, vcc
	v_ashrrev_i32_e32 v11, 31, v10
	v_subrev_u32_e32 v9, s21, v23
	s_and_b64 s[0:1], s[24:25], s[2:3]
	v_lshlrev_b64 v[12:13], 2, v[10:11]
	v_mul_lo_u32 v24, v20, s20
	v_cndmask_b32_e64 v9, 8, v9, s[0:1]
	s_waitcnt lgkmcnt(0)
	v_mov_b32_e32 v11, s9
	v_add_co_u32_e64 v10, s[0:1], s8, v12
	v_addc_co_u32_e64 v11, s[0:1], v11, v13, s[0:1]
	v_ashrrev_i32_e32 v25, 31, v24
	global_store_dword v[10:11], v9, off
	v_lshlrev_b64 v[10:11], 2, v[24:25]
	v_mov_b32_e32 v9, s11
	v_add_co_u32_e64 v24, s[0:1], s10, v10
	v_addc_co_u32_e64 v25, s[0:1], v9, v11, s[0:1]
	s_cmp_eq_u32 s20, 1
	global_store_dword v[16:17], v21, off
	global_store_dword v[24:25], v20, off
	s_cbranch_scc1 .LBB39_8
; %bb.6:
	v_mov_b32_e32 v14, s11
	v_add_co_u32_e64 v10, s[4:5], s10, v10
	v_addc_co_u32_e64 v11, s[4:5], v11, v14, s[4:5]
	v_add_co_u32_e64 v10, s[4:5], 4, v10
	v_addc_co_u32_e64 v11, s[4:5], 0, v11, s[4:5]
	v_mov_b32_e32 v9, 0xff800000
	v_cmp_ne_u32_e64 s[0:1], 7, v23
	v_mov_b32_e32 v14, s9
	v_add_co_u32_e64 v12, s[4:5], s8, v12
	v_cndmask_b32_e64 v7, v9, v7, s[0:1]
	v_cmp_ne_u32_e64 s[0:1], 6, v23
	v_addc_co_u32_e64 v13, s[4:5], v13, v14, s[4:5]
	v_mov_b32_e32 v14, s19
	v_cndmask_b32_e64 v6, v9, v6, s[0:1]
	v_cmp_ne_u32_e64 s[0:1], 5, v23
	v_addc_co_u32_e32 v15, vcc, v15, v14, vcc
	v_cndmask_b32_e64 v5, v9, v5, s[0:1]
	v_cmp_ne_u32_e64 s[0:1], 4, v23
	v_add_co_u32_e32 v14, vcc, 4, v16
	v_cndmask_b32_e64 v4, v9, v4, s[0:1]
	v_cmp_ne_u32_e64 s[0:1], 3, v23
	v_addc_co_u32_e32 v15, vcc, 0, v15, vcc
	v_cndmask_b32_e64 v3, v9, v3, s[0:1]
	v_cmp_ne_u32_e64 s[0:1], 1, v23
	v_cmp_ne_u32_e64 s[2:3], 0, v23
	v_add_co_u32_e64 v12, s[4:5], 4, v12
	s_add_i32 s6, s6, s28
	v_cmp_ne_u32_e32 vcc, 2, v23
	v_addc_co_u32_e64 v13, s[4:5], 0, v13, s[4:5]
	v_add3_u32 v16, s6, v19, v18
	v_cndmask_b32_e32 v2, v9, v2, vcc
	s_add_i32 s31, s20, -1
	v_mov_b32_e32 v17, 0x7f800000
	v_cndmask_b32_e64 v1, v9, v1, s[0:1]
	v_cndmask_b32_e64 v0, v9, v0, s[2:3]
.LBB39_7:                               ; =>This Inner Loop Header: Depth=1
	v_cmp_gt_f32_e32 vcc, v1, v0
	v_cndmask_b32_e32 v18, v0, v1, vcc
	v_cmp_gt_f32_e64 s[0:1], v2, v18
	v_cndmask_b32_e64 v18, v18, v2, s[0:1]
	v_cmp_gt_f32_e64 s[2:3], v3, v18
	v_cndmask_b32_e64 v18, v18, v3, s[2:3]
	;; [unrolled: 2-line block ×6, first 2 shown]
	v_sub_f32_e32 v18, v18, v22
	v_mul_f32_e32 v19, 0x3fb8aa3b, v18
	v_fma_f32 v20, v18, s23, -v19
	v_rndne_f32_e32 v23, v19
	v_fmac_f32_e32 v20, 0x32a5705f, v18
	v_sub_f32_e32 v19, v19, v23
	v_add_f32_e32 v19, v19, v20
	v_cndmask_b32_e64 v20, 0, 1, vcc
	v_cndmask_b32_e64 v20, v20, 2, s[0:1]
	v_cndmask_b32_e64 v20, v20, 3, s[2:3]
	;; [unrolled: 1-line block ×6, first 2 shown]
	v_cmp_le_i32_e32 vcc, s21, v20
	v_cmp_gt_i32_e64 s[0:1], s22, v20
	s_and_b64 s[0:1], vcc, s[0:1]
	v_cmp_ne_u32_e64 s[2:3], 7, v20
	v_cmp_ne_u32_e64 s[4:5], 6, v20
	;; [unrolled: 1-line block ×8, first 2 shown]
	v_subrev_u32_e32 v20, s21, v20
	s_and_b64 vcc, s[24:25], s[0:1]
	v_cndmask_b32_e32 v20, 8, v20, vcc
	global_store_dword v[12:13], v20, off
	v_cvt_i32_f32_e32 v20, v23
	v_exp_f32_e32 v19, v19
	v_cmp_ngt_f32_e32 vcc, s29, v18
	global_store_dword v[10:11], v16, off
	s_add_i32 s31, s31, -1
	v_ldexp_f32 v19, v19, v20
	v_cndmask_b32_e32 v19, 0, v19, vcc
	v_cmp_nlt_f32_e32 vcc, s30, v18
	v_cndmask_b32_e32 v18, v17, v19, vcc
	v_add_co_u32_e32 v10, vcc, 4, v10
	v_addc_co_u32_e32 v11, vcc, 0, v11, vcc
	v_add_co_u32_e32 v12, vcc, 4, v12
	v_addc_co_u32_e32 v13, vcc, 0, v13, vcc
	global_store_dword v[14:15], v18, off
	v_add_co_u32_e32 v14, vcc, 4, v14
	v_add_f32_e32 v21, v21, v18
	v_cndmask_b32_e64 v7, v9, v7, s[2:3]
	v_cndmask_b32_e64 v6, v9, v6, s[4:5]
	;; [unrolled: 1-line block ×8, first 2 shown]
	v_add_u32_e32 v16, s28, v16
	s_cmp_eq_u32 s31, 0
	v_addc_co_u32_e32 v15, vcc, 0, v15, vcc
	s_cbranch_scc0 .LBB39_7
.LBB39_8:
	v_cmp_neq_f32_e32 vcc, 0, v21
	s_and_b64 exec, exec, vcc
	s_cbranch_execz .LBB39_19
; %bb.9:
	s_andn2_b64 vcc, exec, s[26:27]
	s_cbranch_vccnz .LBB39_19
; %bb.10:
	v_div_scale_f32 v0, s[0:1], v21, v21, 1.0
	v_rcp_f32_e32 v1, v0
	v_div_scale_f32 v2, vcc, 1.0, v21, 1.0
	s_cmp_gt_u32 s20, 3
	v_fma_f32 v3, -v0, v1, 1.0
	v_fmac_f32_e32 v1, v3, v1
	v_mul_f32_e32 v3, v2, v1
	v_fma_f32 v4, -v0, v3, v2
	v_fmac_f32_e32 v3, v4, v1
	v_fma_f32 v0, -v0, v3, v2
	v_div_fmas_f32 v0, v0, v1, v3
	v_div_fixup_f32 v0, v0, v21, 1.0
	v_ashrrev_i32_e32 v9, 31, v8
	s_cbranch_scc0 .LBB39_14
; %bb.11:
	v_lshlrev_b64 v[2:3], 2, v[8:9]
	v_mov_b32_e32 v4, s19
	v_add_co_u32_e32 v2, vcc, s18, v2
	v_addc_co_u32_e32 v3, vcc, v3, v4, vcc
	s_and_b32 s4, s20, 0x7ffffffc
	v_add_co_u32_e32 v2, vcc, 8, v2
	v_mov_b32_e32 v1, v0
	v_addc_co_u32_e32 v3, vcc, 0, v3, vcc
	s_mov_b32 s0, s4
.LBB39_12:                              ; =>This Inner Loop Header: Depth=1
	global_load_dwordx4 v[4:7], v[2:3], off offset:-8
	s_add_i32 s0, s0, -4
	s_cmp_lg_u32 s0, 0
	s_waitcnt vmcnt(0)
	v_pk_mul_f32 v[4:5], v[0:1], v[4:5]
	v_pk_mul_f32 v[6:7], v[0:1], v[6:7]
	global_store_dwordx4 v[2:3], v[4:7], off offset:-8
	v_add_co_u32_e32 v2, vcc, 16, v2
	v_addc_co_u32_e32 v3, vcc, 0, v3, vcc
	s_cbranch_scc1 .LBB39_12
; %bb.13:
	s_cmp_lg_u32 s4, s20
	s_cselect_b64 s[0:1], -1, 0
	s_branch .LBB39_16
.LBB39_14:
	s_mov_b64 s[0:1], 0
                                        ; implicit-def: $sgpr4
	s_cbranch_execz .LBB39_16
; %bb.15:
	s_mov_b64 s[0:1], -1
	s_mov_b32 s4, 0
.LBB39_16:
	s_andn2_b64 vcc, exec, s[0:1]
	s_cbranch_vccnz .LBB39_19
; %bb.17:
	v_add_co_u32_e32 v2, vcc, s4, v8
	v_addc_co_u32_e32 v3, vcc, 0, v9, vcc
	v_lshlrev_b64 v[2:3], 2, v[2:3]
	v_mov_b32_e32 v1, s19
	v_add_co_u32_e32 v2, vcc, s18, v2
	s_sub_i32 s0, s20, s4
	v_addc_co_u32_e32 v3, vcc, v1, v3, vcc
.LBB39_18:                              ; =>This Inner Loop Header: Depth=1
	global_load_dword v1, v[2:3], off
	s_add_i32 s0, s0, -1
	s_cmp_lg_u32 s0, 0
	s_waitcnt vmcnt(0)
	v_mul_f32_e32 v1, v0, v1
	global_store_dword v[2:3], v1, off
	v_add_co_u32_e32 v2, vcc, 4, v2
	v_addc_co_u32_e32 v3, vcc, 0, v3, vcc
	s_cbranch_scc1 .LBB39_18
.LBB39_19:
	s_endpgm
	.section	.rodata,"a",@progbits
	.p2align	6, 0x0
	.amdhsa_kernel _ZN4vllm3moe17topkGatingSoftmaxIfLi8ELi8ELi8ELi32ELb1ELi8ELNS0_23SharedExpertScoringFuncE1EEEvPKT_PKbPfiPiS9_iiiiii
		.amdhsa_group_segment_fixed_size 0
		.amdhsa_private_segment_fixed_size 0
		.amdhsa_kernarg_size 72
		.amdhsa_user_sgpr_count 6
		.amdhsa_user_sgpr_private_segment_buffer 1
		.amdhsa_user_sgpr_dispatch_ptr 0
		.amdhsa_user_sgpr_queue_ptr 0
		.amdhsa_user_sgpr_kernarg_segment_ptr 1
		.amdhsa_user_sgpr_dispatch_id 0
		.amdhsa_user_sgpr_flat_scratch_init 0
		.amdhsa_user_sgpr_kernarg_preload_length 0
		.amdhsa_user_sgpr_kernarg_preload_offset 0
		.amdhsa_user_sgpr_private_segment_size 0
		.amdhsa_uses_dynamic_stack 0
		.amdhsa_system_sgpr_private_segment_wavefront_offset 0
		.amdhsa_system_sgpr_workgroup_id_x 1
		.amdhsa_system_sgpr_workgroup_id_y 0
		.amdhsa_system_sgpr_workgroup_id_z 0
		.amdhsa_system_sgpr_workgroup_info 0
		.amdhsa_system_vgpr_workitem_id 1
		.amdhsa_next_free_vgpr 26
		.amdhsa_next_free_sgpr 32
		.amdhsa_accum_offset 28
		.amdhsa_reserve_vcc 1
		.amdhsa_reserve_flat_scratch 0
		.amdhsa_float_round_mode_32 0
		.amdhsa_float_round_mode_16_64 0
		.amdhsa_float_denorm_mode_32 3
		.amdhsa_float_denorm_mode_16_64 3
		.amdhsa_dx10_clamp 1
		.amdhsa_ieee_mode 1
		.amdhsa_fp16_overflow 0
		.amdhsa_tg_split 0
		.amdhsa_exception_fp_ieee_invalid_op 0
		.amdhsa_exception_fp_denorm_src 0
		.amdhsa_exception_fp_ieee_div_zero 0
		.amdhsa_exception_fp_ieee_overflow 0
		.amdhsa_exception_fp_ieee_underflow 0
		.amdhsa_exception_fp_ieee_inexact 0
		.amdhsa_exception_int_div_zero 0
	.end_amdhsa_kernel
	.section	.text._ZN4vllm3moe17topkGatingSoftmaxIfLi8ELi8ELi8ELi32ELb1ELi8ELNS0_23SharedExpertScoringFuncE1EEEvPKT_PKbPfiPiS9_iiiiii,"axG",@progbits,_ZN4vllm3moe17topkGatingSoftmaxIfLi8ELi8ELi8ELi32ELb1ELi8ELNS0_23SharedExpertScoringFuncE1EEEvPKT_PKbPfiPiS9_iiiiii,comdat
.Lfunc_end39:
	.size	_ZN4vllm3moe17topkGatingSoftmaxIfLi8ELi8ELi8ELi32ELb1ELi8ELNS0_23SharedExpertScoringFuncE1EEEvPKT_PKbPfiPiS9_iiiiii, .Lfunc_end39-_ZN4vllm3moe17topkGatingSoftmaxIfLi8ELi8ELi8ELi32ELb1ELi8ELNS0_23SharedExpertScoringFuncE1EEEvPKT_PKbPfiPiS9_iiiiii
                                        ; -- End function
	.section	.AMDGPU.csdata,"",@progbits
; Kernel info:
; codeLenInByte = 3012
; NumSgprs: 36
; NumVgprs: 26
; NumAgprs: 0
; TotalNumVgprs: 26
; ScratchSize: 0
; MemoryBound: 0
; FloatMode: 240
; IeeeMode: 1
; LDSByteSize: 0 bytes/workgroup (compile time only)
; SGPRBlocks: 4
; VGPRBlocks: 3
; NumSGPRsForWavesPerEU: 36
; NumVGPRsForWavesPerEU: 26
; AccumOffset: 28
; Occupancy: 8
; WaveLimiterHint : 0
; COMPUTE_PGM_RSRC2:SCRATCH_EN: 0
; COMPUTE_PGM_RSRC2:USER_SGPR: 6
; COMPUTE_PGM_RSRC2:TRAP_HANDLER: 0
; COMPUTE_PGM_RSRC2:TGID_X_EN: 1
; COMPUTE_PGM_RSRC2:TGID_Y_EN: 0
; COMPUTE_PGM_RSRC2:TGID_Z_EN: 0
; COMPUTE_PGM_RSRC2:TIDIG_COMP_CNT: 1
; COMPUTE_PGM_RSRC3_GFX90A:ACCUM_OFFSET: 6
; COMPUTE_PGM_RSRC3_GFX90A:TG_SPLIT: 0
	.section	.text._ZN4vllm3moe17topkGatingSoftmaxIfLi8ELi8ELi8ELi32ELb0ELi8ELNS0_23SharedExpertScoringFuncE1EEEvPKT_PKbPfiPiS9_iiiiii,"axG",@progbits,_ZN4vllm3moe17topkGatingSoftmaxIfLi8ELi8ELi8ELi32ELb0ELi8ELNS0_23SharedExpertScoringFuncE1EEEvPKT_PKbPfiPiS9_iiiiii,comdat
	.protected	_ZN4vllm3moe17topkGatingSoftmaxIfLi8ELi8ELi8ELi32ELb0ELi8ELNS0_23SharedExpertScoringFuncE1EEEvPKT_PKbPfiPiS9_iiiiii ; -- Begin function _ZN4vllm3moe17topkGatingSoftmaxIfLi8ELi8ELi8ELi32ELb0ELi8ELNS0_23SharedExpertScoringFuncE1EEEvPKT_PKbPfiPiS9_iiiiii
	.globl	_ZN4vllm3moe17topkGatingSoftmaxIfLi8ELi8ELi8ELi32ELb0ELi8ELNS0_23SharedExpertScoringFuncE1EEEvPKT_PKbPfiPiS9_iiiiii
	.p2align	8
	.type	_ZN4vllm3moe17topkGatingSoftmaxIfLi8ELi8ELi8ELi32ELb0ELi8ELNS0_23SharedExpertScoringFuncE1EEEvPKT_PKbPfiPiS9_iiiiii,@function
_ZN4vllm3moe17topkGatingSoftmaxIfLi8ELi8ELi8ELi32ELb0ELi8ELNS0_23SharedExpertScoringFuncE1EEEvPKT_PKbPfiPiS9_iiiiii: ; @_ZN4vllm3moe17topkGatingSoftmaxIfLi8ELi8ELi8ELi32ELb0ELi8ELNS0_23SharedExpertScoringFuncE1EEEvPKT_PKbPfiPiS9_iiiiii
; %bb.0:
	s_load_dword s30, s[4:5], 0x18
	v_bfe_u32 v1, v0, 10, 10
	s_lshl_b32 s31, s6, 9
	v_lshlrev_b32_e32 v21, 6, v1
	v_and_b32_e32 v22, 0x3ff, v0
	v_add3_u32 v23, v21, v22, s31
	s_waitcnt lgkmcnt(0)
	v_cmp_gt_i32_e32 vcc, s30, v23
	s_and_saveexec_b64 s[0:1], vcc
	s_cbranch_execz .LBB40_19
; %bb.1:
	s_load_dwordx4 s[0:3], s[4:5], 0x0
	s_load_dwordx2 s[14:15], s[4:5], 0x10
	s_waitcnt lgkmcnt(0)
	s_cmp_eq_u64 s[2:3], 0
	s_cbranch_scc1 .LBB40_3
; %bb.2:
	v_ashrrev_i32_e32 v1, 31, v23
	v_mov_b32_e32 v2, s3
	v_add_co_u32_e32 v0, vcc, s2, v23
	v_addc_co_u32_e32 v1, vcc, v2, v1, vcc
	global_load_ubyte v0, v[0:1], off
	s_waitcnt vmcnt(0)
	v_and_b32_e32 v0, 1, v0
	v_cmp_eq_u32_e32 vcc, 1, v0
	s_xor_b64 s[2:3], vcc, -1
	s_orn2_b64 s[24:25], s[2:3], exec
	s_branch .LBB40_4
.LBB40_3:
	s_mov_b64 s[24:25], -1
.LBB40_4:
	s_load_dwordx2 s[28:29], s[4:5], 0x40
	s_load_dwordx4 s[16:19], s[4:5], 0x30
	v_mov_b32_e32 v2, s1
	s_mov_b32 s8, 0xbfb8aa3b
	s_mov_b32 s12, 0x42ce8ed0
	s_waitcnt lgkmcnt(0)
	v_mul_lo_u32 v0, v23, s29
	v_ashrrev_i32_e32 v1, 31, v0
	v_lshlrev_b64 v[0:1], 2, v[0:1]
	v_add_co_u32_e32 v10, vcc, s0, v0
	v_addc_co_u32_e32 v11, vcc, v2, v1, vcc
	global_load_dword v9, v[10:11], off offset:32
	s_mov_b32 s13, 0xc2b17218
	v_mov_b32_e32 v20, 0x7f800000
	v_mul_lo_u32 v8, v23, s19
	v_add_u32_e32 v0, s16, v8
	v_ashrrev_i32_e32 v1, 31, v0
	v_lshlrev_b64 v[12:13], 2, v[0:1]
	v_mov_b32_e32 v14, s15
	s_cmp_gt_i32 s16, 0
	s_cselect_b64 s[26:27], -1, 0
	s_cmp_lt_i32 s16, 1
	s_waitcnt vmcnt(0)
	v_mul_f32_e32 v2, 0xbfb8aa3b, v9
	v_fma_f32 v3, v9, s8, -v2
	v_rndne_f32_e32 v4, v2
	v_fmac_f32_e32 v3, 0xb2a5705f, v9
	v_sub_f32_e32 v2, v2, v4
	v_add_f32_e32 v2, v2, v3
	v_cvt_i32_f32_e32 v15, v4
	v_exp_f32_e32 v16, v2
	v_cmp_nlt_f32_e32 vcc, s12, v9
	global_load_dwordx4 v[0:3], v[10:11], off offset:16
	global_load_dwordx4 v[4:7], v[10:11], off
	v_ldexp_f32 v15, v16, v15
	v_cndmask_b32_e32 v15, 0, v15, vcc
	v_cmp_ngt_f32_e32 vcc, s13, v9
	v_cndmask_b32_e32 v9, v20, v15, vcc
	v_add_f32_e32 v9, 1.0, v9
	v_div_scale_f32 v15, s[0:1], v9, v9, 1.0
	v_rcp_f32_e32 v16, v15
	v_add_co_u32_e32 v12, vcc, s14, v12
	v_addc_co_u32_e32 v13, vcc, v14, v13, vcc
	v_fma_f32 v17, -v15, v16, 1.0
	v_div_scale_f32 v14, vcc, 1.0, v9, 1.0
	v_fmac_f32_e32 v16, v17, v16
	v_mul_f32_e32 v17, v14, v16
	v_fma_f32 v18, -v15, v17, v14
	v_fmac_f32_e32 v17, v18, v16
	v_fma_f32 v14, -v15, v17, v14
	v_div_fmas_f32 v14, v14, v16, v17
	v_div_fixup_f32 v9, v14, v9, 1.0
	global_store_dword v[12:13], v9, off
	global_load_dword v9, v[10:11], off offset:36
	s_waitcnt vmcnt(0)
	v_mul_f32_e32 v14, 0xbfb8aa3b, v9
	v_fma_f32 v15, v9, s8, -v14
	v_rndne_f32_e32 v16, v14
	v_fmac_f32_e32 v15, 0xb2a5705f, v9
	v_sub_f32_e32 v14, v14, v16
	v_add_f32_e32 v14, v14, v15
	v_cvt_i32_f32_e32 v16, v16
	v_exp_f32_e32 v14, v14
	v_cmp_nlt_f32_e32 vcc, s12, v9
	v_ldexp_f32 v14, v14, v16
	v_cndmask_b32_e32 v14, 0, v14, vcc
	v_cmp_ngt_f32_e32 vcc, s13, v9
	v_cndmask_b32_e32 v9, v20, v14, vcc
	v_add_f32_e32 v9, 1.0, v9
	v_div_scale_f32 v14, s[0:1], v9, v9, 1.0
	v_rcp_f32_e32 v15, v14
	v_div_scale_f32 v16, vcc, 1.0, v9, 1.0
	v_fma_f32 v17, -v14, v15, 1.0
	v_fmac_f32_e32 v15, v17, v15
	v_mul_f32_e32 v17, v16, v15
	v_fma_f32 v18, -v14, v17, v16
	v_fmac_f32_e32 v17, v18, v15
	v_fma_f32 v14, -v14, v17, v16
	v_div_fmas_f32 v14, v14, v15, v17
	v_div_fixup_f32 v9, v14, v9, 1.0
	global_store_dword v[12:13], v9, off offset:4
	global_load_dword v9, v[10:11], off offset:40
	s_waitcnt vmcnt(0)
	v_mul_f32_e32 v14, 0xbfb8aa3b, v9
	v_fma_f32 v15, v9, s8, -v14
	v_rndne_f32_e32 v16, v14
	v_fmac_f32_e32 v15, 0xb2a5705f, v9
	v_sub_f32_e32 v14, v14, v16
	v_add_f32_e32 v14, v14, v15
	v_cvt_i32_f32_e32 v16, v16
	v_exp_f32_e32 v14, v14
	v_cmp_nlt_f32_e32 vcc, s12, v9
	v_ldexp_f32 v14, v14, v16
	v_cndmask_b32_e32 v14, 0, v14, vcc
	v_cmp_ngt_f32_e32 vcc, s13, v9
	v_cndmask_b32_e32 v9, v20, v14, vcc
	v_add_f32_e32 v9, 1.0, v9
	v_div_scale_f32 v14, s[0:1], v9, v9, 1.0
	v_rcp_f32_e32 v15, v14
	v_div_scale_f32 v16, vcc, 1.0, v9, 1.0
	v_fma_f32 v17, -v14, v15, 1.0
	v_fmac_f32_e32 v15, v17, v15
	v_mul_f32_e32 v17, v16, v15
	v_fma_f32 v18, -v14, v17, v16
	v_fmac_f32_e32 v17, v18, v15
	v_fma_f32 v14, -v14, v17, v16
	v_div_fmas_f32 v14, v14, v15, v17
	v_div_fixup_f32 v9, v14, v9, 1.0
	global_store_dword v[12:13], v9, off offset:8
	;; [unrolled: 28-line block ×5, first 2 shown]
	global_load_dword v9, v[10:11], off offset:56
	s_waitcnt vmcnt(0)
	v_mul_f32_e32 v14, 0xbfb8aa3b, v9
	v_fma_f32 v15, v9, s8, -v14
	v_rndne_f32_e32 v16, v14
	v_fmac_f32_e32 v15, 0xb2a5705f, v9
	v_sub_f32_e32 v14, v14, v16
	v_add_f32_e32 v14, v14, v15
	v_cvt_i32_f32_e32 v16, v16
	v_exp_f32_e32 v14, v14
	v_cmp_nlt_f32_e32 vcc, s12, v9
	v_ldexp_f32 v14, v14, v16
	v_cndmask_b32_e32 v14, 0, v14, vcc
	v_cmp_ngt_f32_e32 vcc, s13, v9
	v_cndmask_b32_e32 v9, v20, v14, vcc
	v_add_f32_e32 v9, 1.0, v9
	v_div_scale_f32 v14, s[0:1], v9, v9, 1.0
	v_rcp_f32_e32 v15, v14
	v_div_scale_f32 v16, vcc, 1.0, v9, 1.0
	v_cmp_lt_f32_e64 s[0:1], v4, v5
	v_fma_f32 v17, -v14, v15, 1.0
	v_fmac_f32_e32 v15, v17, v15
	v_mul_f32_e32 v17, v16, v15
	v_fma_f32 v18, -v14, v17, v16
	v_fmac_f32_e32 v17, v18, v15
	v_fma_f32 v14, -v14, v17, v16
	v_div_fmas_f32 v14, v14, v15, v17
	v_div_fixup_f32 v9, v14, v9, 1.0
	global_store_dword v[12:13], v9, off offset:24
	global_load_dword v9, v[10:11], off offset:60
	v_cndmask_b32_e64 v10, v4, v5, s[0:1]
	v_cmp_lt_f32_e64 s[2:3], v10, v6
	v_cndmask_b32_e64 v10, v10, v6, s[2:3]
	v_cmp_lt_f32_e64 s[6:7], v10, v7
	v_cndmask_b32_e64 v10, v10, v7, s[6:7]
	v_mov_b32_e32 v11, 0
	s_waitcnt vmcnt(0)
	v_mul_f32_e32 v14, 0xbfb8aa3b, v9
	v_fma_f32 v15, v9, s8, -v14
	v_rndne_f32_e32 v16, v14
	v_fmac_f32_e32 v15, 0xb2a5705f, v9
	v_sub_f32_e32 v14, v14, v16
	v_add_f32_e32 v14, v14, v15
	v_cvt_i32_f32_e32 v16, v16
	v_exp_f32_e32 v14, v14
	v_cmp_nlt_f32_e32 vcc, s12, v9
	v_cmp_lt_f32_e64 s[8:9], v10, v0
	v_cndmask_b32_e64 v10, v10, v0, s[8:9]
	v_ldexp_f32 v14, v14, v16
	v_cndmask_b32_e32 v14, 0, v14, vcc
	v_cmp_ngt_f32_e32 vcc, s13, v9
	v_cndmask_b32_e32 v9, v20, v14, vcc
	v_add_f32_e32 v9, 1.0, v9
	v_div_scale_f32 v14, s[12:13], v9, v9, 1.0
	v_rcp_f32_e32 v15, v14
	v_div_scale_f32 v16, vcc, 1.0, v9, 1.0
	v_cmp_lt_f32_e64 s[10:11], v10, v1
	v_fma_f32 v17, -v14, v15, 1.0
	v_fmac_f32_e32 v15, v17, v15
	v_mul_f32_e32 v17, v16, v15
	v_cndmask_b32_e64 v10, v10, v1, s[10:11]
	v_fma_f32 v18, -v14, v17, v16
	v_cmp_lt_f32_e64 s[12:13], v10, v2
	v_fmac_f32_e32 v17, v18, v15
	v_cndmask_b32_e64 v10, v10, v2, s[12:13]
	v_fma_f32 v14, -v14, v17, v16
	v_div_fmas_f32 v14, v14, v15, v17
	v_cmp_lt_f32_e32 vcc, v10, v3
	v_div_fixup_f32 v9, v14, v9, 1.0
	v_cndmask_b32_e32 v10, v10, v3, vcc
	global_store_dword v[12:13], v9, off offset:28
	s_cbranch_scc1 .LBB40_8
; %bb.5:
	v_cndmask_b32_e64 v9, 0, 1, s[0:1]
	v_cndmask_b32_e64 v9, v9, 2, s[2:3]
	;; [unrolled: 1-line block ×6, first 2 shown]
	v_cndmask_b32_e64 v26, v9, 7, vcc
	v_sub_f32_e32 v9, v10, v10
	v_mul_f32_e32 v11, 0x3fb8aa3b, v9
	s_load_dwordx4 s[20:23], s[4:5], 0x20
	s_mov_b32 s4, 0x3fb8aa3b
	v_rndne_f32_e32 v13, v11
	v_sub_f32_e32 v14, v11, v13
	v_fma_f32 v11, v9, s4, -v11
	v_fmac_f32_e32 v11, 0x32a5705f, v9
	v_add_f32_e32 v11, v14, v11
	v_exp_f32_e32 v11, v11
	v_cvt_i32_f32_e32 v13, v13
	v_cmp_le_i32_e32 vcc, s17, v26
	v_cmp_gt_i32_e64 s[0:1], s18, v26
	s_mov_b32 s5, 0xc2ce8ed0
	s_and_b64 s[2:3], vcc, s[0:1]
	v_ldexp_f32 v11, v11, v13
	v_cmp_ngt_f32_e32 vcc, s5, v9
	s_mov_b32 s6, 0x42b17218
	v_cndmask_b32_e32 v11, 0, v11, vcc
	v_cmp_nlt_f32_e32 vcc, s6, v9
	v_ashrrev_i32_e32 v9, 31, v8
	v_lshlrev_b64 v[16:17], 2, v[8:9]
	v_mul_lo_u32 v12, v23, s28
	v_cndmask_b32_e32 v11, v20, v11, vcc
	v_mov_b32_e32 v9, s15
	v_add_co_u32_e32 v18, vcc, s14, v16
	v_addc_co_u32_e64 v19, s[0:1], v9, v17, vcc
	v_ashrrev_i32_e32 v13, 31, v12
	v_subrev_u32_e32 v9, s17, v26
	s_and_b64 s[0:1], s[24:25], s[2:3]
	v_lshlrev_b64 v[14:15], 2, v[12:13]
	v_mul_lo_u32 v24, v23, s16
	v_cndmask_b32_e64 v9, 8, v9, s[0:1]
	s_waitcnt lgkmcnt(0)
	v_mov_b32_e32 v13, s21
	v_add_co_u32_e64 v12, s[0:1], s20, v14
	v_addc_co_u32_e64 v13, s[0:1], v13, v15, s[0:1]
	v_ashrrev_i32_e32 v25, 31, v24
	global_store_dword v[12:13], v9, off
	v_lshlrev_b64 v[12:13], 2, v[24:25]
	v_mov_b32_e32 v9, s23
	v_add_co_u32_e64 v24, s[0:1], s22, v12
	v_addc_co_u32_e64 v25, s[0:1], v9, v13, s[0:1]
	v_mov_b32_e32 v9, 0xff800000
	v_cmp_ne_u32_e64 s[0:1], 7, v26
	v_cndmask_b32_e64 v3, v9, v3, s[0:1]
	v_cmp_ne_u32_e64 s[0:1], 6, v26
	v_cndmask_b32_e64 v2, v9, v2, s[0:1]
	v_cmp_ne_u32_e64 s[0:1], 5, v26
	v_cndmask_b32_e64 v1, v9, v1, s[0:1]
	v_cmp_ne_u32_e64 s[0:1], 4, v26
	v_cndmask_b32_e64 v0, v9, v0, s[0:1]
	v_cmp_ne_u32_e64 s[0:1], 3, v26
	v_cndmask_b32_e64 v7, v9, v7, s[0:1]
	v_cmp_ne_u32_e64 s[0:1], 2, v26
	v_cndmask_b32_e64 v6, v9, v6, s[0:1]
	v_cmp_ne_u32_e64 s[0:1], 1, v26
	v_cndmask_b32_e64 v5, v9, v5, s[0:1]
	v_cmp_ne_u32_e64 s[0:1], 0, v26
	s_cmp_eq_u32 s16, 1
	v_cndmask_b32_e64 v4, v9, v4, s[0:1]
	global_store_dword v[18:19], v11, off
	global_store_dword v[24:25], v23, off
	s_cbranch_scc1 .LBB40_8
; %bb.6:
	v_mov_b32_e32 v16, s23
	v_add_co_u32_e64 v12, s[0:1], s22, v12
	v_addc_co_u32_e64 v13, s[0:1], v13, v16, s[0:1]
	v_add_co_u32_e64 v12, s[0:1], 4, v12
	v_addc_co_u32_e64 v13, s[0:1], 0, v13, s[0:1]
	v_mov_b32_e32 v16, s21
	v_add_co_u32_e64 v14, s[0:1], s20, v14
	v_addc_co_u32_e64 v15, s[0:1], v15, v16, s[0:1]
	v_mov_b32_e32 v16, s15
	v_addc_co_u32_e32 v17, vcc, v17, v16, vcc
	v_add_co_u32_e64 v14, s[0:1], 4, v14
	v_add_co_u32_e32 v16, vcc, 4, v18
	s_add_i32 s31, s31, s30
	v_addc_co_u32_e64 v15, s[0:1], 0, v15, s[0:1]
	v_addc_co_u32_e32 v17, vcc, 0, v17, vcc
	s_add_i32 s7, s16, -1
	v_add3_u32 v18, s31, v22, v21
	v_mov_b32_e32 v19, 0x7f800000
.LBB40_7:                               ; =>This Inner Loop Header: Depth=1
	v_cmp_gt_f32_e32 vcc, v5, v4
	v_cndmask_b32_e32 v21, v4, v5, vcc
	v_cmp_gt_f32_e64 s[0:1], v6, v21
	v_cndmask_b32_e64 v21, v21, v6, s[0:1]
	v_cndmask_b32_e64 v22, 0, 1, vcc
	v_cmp_gt_f32_e32 vcc, v7, v21
	v_cndmask_b32_e32 v21, v21, v7, vcc
	v_cndmask_b32_e64 v22, v22, 2, s[0:1]
	v_cmp_gt_f32_e64 s[0:1], v0, v21
	v_cndmask_b32_e64 v21, v21, v0, s[0:1]
	v_cndmask_b32_e64 v22, v22, 3, vcc
	v_cmp_gt_f32_e32 vcc, v1, v21
	v_cndmask_b32_e32 v21, v21, v1, vcc
	v_cndmask_b32_e64 v22, v22, 4, s[0:1]
	v_cmp_gt_f32_e64 s[0:1], v2, v21
	v_cndmask_b32_e64 v21, v21, v2, s[0:1]
	v_cndmask_b32_e64 v22, v22, 5, vcc
	v_cmp_gt_f32_e32 vcc, v3, v21
	v_cndmask_b32_e64 v22, v22, 6, s[0:1]
	v_cndmask_b32_e64 v22, v22, 7, vcc
	v_cmp_ne_u32_e64 s[2:3], 7, v22
	v_cndmask_b32_e32 v21, v21, v3, vcc
	v_cndmask_b32_e64 v3, v9, v3, s[2:3]
	v_cmp_ne_u32_e64 s[2:3], 6, v22
	v_cndmask_b32_e64 v2, v9, v2, s[2:3]
	v_cmp_ne_u32_e64 s[2:3], 5, v22
	v_cndmask_b32_e64 v1, v9, v1, s[2:3]
	v_cmp_ne_u32_e64 s[2:3], 4, v22
	v_cndmask_b32_e64 v0, v9, v0, s[2:3]
	v_cmp_ne_u32_e64 s[2:3], 3, v22
	v_sub_f32_e32 v21, v21, v10
	v_cndmask_b32_e64 v7, v9, v7, s[2:3]
	v_cmp_ne_u32_e64 s[2:3], 2, v22
	v_cmp_le_i32_e32 vcc, s17, v22
	v_cmp_gt_i32_e64 s[0:1], s18, v22
	v_mul_f32_e32 v23, 0x3fb8aa3b, v21
	v_cndmask_b32_e64 v6, v9, v6, s[2:3]
	v_cmp_ne_u32_e64 s[2:3], 1, v22
	v_subrev_u32_e32 v24, s17, v22
	v_cndmask_b32_e64 v5, v9, v5, s[2:3]
	v_cmp_ne_u32_e64 s[2:3], 0, v22
	s_and_b64 s[0:1], vcc, s[0:1]
	v_fma_f32 v22, v21, s4, -v23
	v_rndne_f32_e32 v25, v23
	v_fmac_f32_e32 v22, 0x32a5705f, v21
	v_sub_f32_e32 v23, v23, v25
	s_and_b64 vcc, s[24:25], s[0:1]
	v_cndmask_b32_e32 v24, 8, v24, vcc
	v_add_f32_e32 v22, v23, v22
	v_cvt_i32_f32_e32 v25, v25
	global_store_dword v[14:15], v24, off
	global_store_dword v[12:13], v18, off
	v_add_co_u32_e32 v12, vcc, 4, v12
	v_exp_f32_e32 v22, v22
	v_addc_co_u32_e32 v13, vcc, 0, v13, vcc
	v_add_co_u32_e32 v14, vcc, 4, v14
	v_addc_co_u32_e32 v15, vcc, 0, v15, vcc
	v_ldexp_f32 v22, v22, v25
	v_cmp_ngt_f32_e32 vcc, s5, v21
	v_cndmask_b32_e32 v22, 0, v22, vcc
	v_cmp_nlt_f32_e32 vcc, s6, v21
	v_cndmask_b32_e32 v21, v19, v22, vcc
	s_add_i32 s7, s7, -1
	global_store_dword v[16:17], v21, off
	v_add_co_u32_e32 v16, vcc, 4, v16
	v_cndmask_b32_e64 v4, v9, v4, s[2:3]
	v_add_u32_e32 v18, s30, v18
	s_cmp_eq_u32 s7, 0
	v_add_f32_e32 v11, v11, v21
	v_addc_co_u32_e32 v17, vcc, 0, v17, vcc
	s_cbranch_scc0 .LBB40_7
.LBB40_8:
	v_pk_add_f32 v[4:5], v[4:5], v[10:11] op_sel_hi:[1,0] neg_lo:[0,1] neg_hi:[0,1]
	s_mov_b32 s0, 0x3fb8aa3b
	v_mul_f32_e32 v9, 0x3fb8aa3b, v5
	v_fma_f32 v12, v5, s0, -v9
	v_rndne_f32_e32 v13, v9
	v_fmac_f32_e32 v12, 0x32a5705f, v5
	v_sub_f32_e32 v9, v9, v13
	v_add_f32_e32 v9, v9, v12
	v_exp_f32_e32 v9, v9
	v_cvt_i32_f32_e32 v12, v13
	s_mov_b32 s1, 0xc2ce8ed0
	v_cmp_ngt_f32_e32 vcc, s1, v5
	s_mov_b32 s2, 0x42b17218
	v_ldexp_f32 v9, v9, v12
	v_mul_f32_e32 v12, 0x3fb8aa3b, v4
	v_fma_f32 v13, v4, s0, -v12
	v_rndne_f32_e32 v14, v12
	v_fmac_f32_e32 v13, 0x32a5705f, v4
	v_sub_f32_e32 v12, v12, v14
	v_add_f32_e32 v12, v12, v13
	v_exp_f32_e32 v12, v12
	v_cvt_i32_f32_e32 v13, v14
	v_cndmask_b32_e32 v9, 0, v9, vcc
	v_cmp_nlt_f32_e32 vcc, s2, v5
	v_sub_f32_e32 v6, v6, v10
	v_cndmask_b32_e32 v5, v20, v9, vcc
	v_ldexp_f32 v9, v12, v13
	v_mul_f32_e32 v12, 0x3fb8aa3b, v6
	v_fma_f32 v13, v6, s0, -v12
	v_rndne_f32_e32 v14, v12
	v_fmac_f32_e32 v13, 0x32a5705f, v6
	v_sub_f32_e32 v12, v12, v14
	v_add_f32_e32 v12, v12, v13
	v_exp_f32_e32 v12, v12
	v_cvt_i32_f32_e32 v13, v14
	v_cmp_ngt_f32_e32 vcc, s1, v4
	v_cndmask_b32_e32 v9, 0, v9, vcc
	v_cmp_nlt_f32_e32 vcc, s2, v4
	v_sub_f32_e32 v7, v7, v10
	v_cndmask_b32_e32 v4, v20, v9, vcc
	v_mul_f32_e32 v9, 0x3fb8aa3b, v7
	v_add_f32_e32 v4, v4, v5
	v_ldexp_f32 v5, v12, v13
	v_fma_f32 v12, v7, s0, -v9
	v_rndne_f32_e32 v13, v9
	v_fmac_f32_e32 v12, 0x32a5705f, v7
	v_sub_f32_e32 v9, v9, v13
	v_add_f32_e32 v9, v9, v12
	v_exp_f32_e32 v9, v9
	v_cvt_i32_f32_e32 v12, v13
	v_cmp_ngt_f32_e32 vcc, s1, v6
	v_cndmask_b32_e32 v5, 0, v5, vcc
	v_cmp_nlt_f32_e32 vcc, s2, v6
	v_sub_f32_e32 v0, v0, v10
	v_cndmask_b32_e32 v5, v20, v5, vcc
	v_mul_f32_e32 v6, 0x3fb8aa3b, v0
	v_add_f32_e32 v4, v4, v5
	v_ldexp_f32 v5, v9, v12
	v_fma_f32 v9, v0, s0, -v6
	v_rndne_f32_e32 v12, v6
	v_fmac_f32_e32 v9, 0x32a5705f, v0
	v_sub_f32_e32 v6, v6, v12
	v_add_f32_e32 v6, v6, v9
	v_exp_f32_e32 v6, v6
	v_cvt_i32_f32_e32 v9, v12
	v_cmp_ngt_f32_e32 vcc, s1, v7
	v_cndmask_b32_e32 v5, 0, v5, vcc
	v_cmp_nlt_f32_e32 vcc, s2, v7
	v_cndmask_b32_e32 v5, v20, v5, vcc
	v_sub_f32_e32 v1, v1, v10
	v_add_f32_e32 v4, v4, v5
	v_ldexp_f32 v5, v6, v9
	v_mul_f32_e32 v6, 0x3fb8aa3b, v1
	v_fma_f32 v7, v1, s0, -v6
	v_rndne_f32_e32 v9, v6
	v_fmac_f32_e32 v7, 0x32a5705f, v1
	v_sub_f32_e32 v6, v6, v9
	v_add_f32_e32 v6, v6, v7
	v_exp_f32_e32 v6, v6
	v_cvt_i32_f32_e32 v7, v9
	v_cmp_ngt_f32_e32 vcc, s1, v0
	v_cndmask_b32_e32 v5, 0, v5, vcc
	v_cmp_nlt_f32_e32 vcc, s2, v0
	v_sub_f32_e32 v2, v2, v10
	v_cndmask_b32_e32 v0, v20, v5, vcc
	v_mul_f32_e32 v5, 0x3fb8aa3b, v2
	v_add_f32_e32 v0, v4, v0
	v_ldexp_f32 v4, v6, v7
	v_fma_f32 v6, v2, s0, -v5
	v_rndne_f32_e32 v7, v5
	v_fmac_f32_e32 v6, 0x32a5705f, v2
	v_sub_f32_e32 v5, v5, v7
	v_add_f32_e32 v5, v5, v6
	v_exp_f32_e32 v5, v5
	v_cvt_i32_f32_e32 v6, v7
	v_cmp_ngt_f32_e32 vcc, s1, v1
	v_cndmask_b32_e32 v4, 0, v4, vcc
	v_cmp_nlt_f32_e32 vcc, s2, v1
	v_sub_f32_e32 v3, v3, v10
	v_cndmask_b32_e32 v1, v20, v4, vcc
	v_mul_f32_e32 v4, 0x3fb8aa3b, v3
	v_add_f32_e32 v0, v0, v1
	v_ldexp_f32 v1, v5, v6
	v_fma_f32 v5, v3, s0, -v4
	v_rndne_f32_e32 v6, v4
	v_fmac_f32_e32 v5, 0x32a5705f, v3
	v_sub_f32_e32 v4, v4, v6
	v_add_f32_e32 v4, v4, v5
	v_exp_f32_e32 v4, v4
	v_cvt_i32_f32_e32 v5, v6
	v_cmp_ngt_f32_e32 vcc, s1, v2
	v_cndmask_b32_e32 v1, 0, v1, vcc
	v_cmp_nlt_f32_e32 vcc, s2, v2
	v_cndmask_b32_e32 v1, v20, v1, vcc
	v_add_f32_e32 v0, v0, v1
	v_ldexp_f32 v1, v4, v5
	v_cmp_ngt_f32_e32 vcc, s1, v3
	v_cndmask_b32_e32 v1, 0, v1, vcc
	v_cmp_nlt_f32_e32 vcc, s2, v3
	v_cndmask_b32_e32 v1, v20, v1, vcc
	v_add_f32_e32 v0, v0, v1
	v_add_f32_e32 v0, v11, v0
	v_cmp_neq_f32_e32 vcc, 0, v0
	s_and_b64 exec, exec, vcc
	s_cbranch_execz .LBB40_19
; %bb.9:
	s_andn2_b64 vcc, exec, s[26:27]
	s_cbranch_vccnz .LBB40_19
; %bb.10:
	v_div_scale_f32 v1, s[0:1], v0, v0, 1.0
	v_rcp_f32_e32 v2, v1
	v_div_scale_f32 v3, vcc, 1.0, v0, 1.0
	s_cmp_gt_u32 s16, 3
	v_fma_f32 v4, -v1, v2, 1.0
	v_fmac_f32_e32 v2, v4, v2
	v_mul_f32_e32 v4, v3, v2
	v_fma_f32 v5, -v1, v4, v3
	v_fmac_f32_e32 v4, v5, v2
	v_fma_f32 v1, -v1, v4, v3
	v_div_fmas_f32 v1, v1, v2, v4
	v_div_fixup_f32 v0, v1, v0, 1.0
	v_ashrrev_i32_e32 v9, 31, v8
	s_cbranch_scc0 .LBB40_14
; %bb.11:
	v_lshlrev_b64 v[2:3], 2, v[8:9]
	v_mov_b32_e32 v4, s15
	v_add_co_u32_e32 v2, vcc, s14, v2
	v_addc_co_u32_e32 v3, vcc, v3, v4, vcc
	s_and_b32 s4, s16, 0x7ffffffc
	v_add_co_u32_e32 v2, vcc, 8, v2
	v_mov_b32_e32 v1, v0
	v_addc_co_u32_e32 v3, vcc, 0, v3, vcc
	s_mov_b32 s0, s4
.LBB40_12:                              ; =>This Inner Loop Header: Depth=1
	global_load_dwordx4 v[4:7], v[2:3], off offset:-8
	s_add_i32 s0, s0, -4
	s_cmp_lg_u32 s0, 0
	s_waitcnt vmcnt(0)
	v_pk_mul_f32 v[4:5], v[0:1], v[4:5]
	v_pk_mul_f32 v[6:7], v[0:1], v[6:7]
	global_store_dwordx4 v[2:3], v[4:7], off offset:-8
	v_add_co_u32_e32 v2, vcc, 16, v2
	v_addc_co_u32_e32 v3, vcc, 0, v3, vcc
	s_cbranch_scc1 .LBB40_12
; %bb.13:
	s_cmp_lg_u32 s4, s16
	s_cselect_b64 s[0:1], -1, 0
	s_branch .LBB40_16
.LBB40_14:
	s_mov_b64 s[0:1], 0
                                        ; implicit-def: $sgpr4
	s_cbranch_execz .LBB40_16
; %bb.15:
	s_mov_b64 s[0:1], -1
	s_mov_b32 s4, 0
.LBB40_16:
	s_andn2_b64 vcc, exec, s[0:1]
	s_cbranch_vccnz .LBB40_19
; %bb.17:
	v_add_co_u32_e32 v2, vcc, s4, v8
	v_addc_co_u32_e32 v3, vcc, 0, v9, vcc
	v_lshlrev_b64 v[2:3], 2, v[2:3]
	v_mov_b32_e32 v1, s15
	v_add_co_u32_e32 v2, vcc, s14, v2
	s_sub_i32 s0, s16, s4
	v_addc_co_u32_e32 v3, vcc, v1, v3, vcc
.LBB40_18:                              ; =>This Inner Loop Header: Depth=1
	global_load_dword v1, v[2:3], off
	s_add_i32 s0, s0, -1
	s_cmp_lg_u32 s0, 0
	s_waitcnt vmcnt(0)
	v_mul_f32_e32 v1, v0, v1
	global_store_dword v[2:3], v1, off
	v_add_co_u32_e32 v2, vcc, 4, v2
	v_addc_co_u32_e32 v3, vcc, 0, v3, vcc
	s_cbranch_scc1 .LBB40_18
.LBB40_19:
	s_endpgm
	.section	.rodata,"a",@progbits
	.p2align	6, 0x0
	.amdhsa_kernel _ZN4vllm3moe17topkGatingSoftmaxIfLi8ELi8ELi8ELi32ELb0ELi8ELNS0_23SharedExpertScoringFuncE1EEEvPKT_PKbPfiPiS9_iiiiii
		.amdhsa_group_segment_fixed_size 0
		.amdhsa_private_segment_fixed_size 0
		.amdhsa_kernarg_size 72
		.amdhsa_user_sgpr_count 6
		.amdhsa_user_sgpr_private_segment_buffer 1
		.amdhsa_user_sgpr_dispatch_ptr 0
		.amdhsa_user_sgpr_queue_ptr 0
		.amdhsa_user_sgpr_kernarg_segment_ptr 1
		.amdhsa_user_sgpr_dispatch_id 0
		.amdhsa_user_sgpr_flat_scratch_init 0
		.amdhsa_user_sgpr_kernarg_preload_length 0
		.amdhsa_user_sgpr_kernarg_preload_offset 0
		.amdhsa_user_sgpr_private_segment_size 0
		.amdhsa_uses_dynamic_stack 0
		.amdhsa_system_sgpr_private_segment_wavefront_offset 0
		.amdhsa_system_sgpr_workgroup_id_x 1
		.amdhsa_system_sgpr_workgroup_id_y 0
		.amdhsa_system_sgpr_workgroup_id_z 0
		.amdhsa_system_sgpr_workgroup_info 0
		.amdhsa_system_vgpr_workitem_id 1
		.amdhsa_next_free_vgpr 27
		.amdhsa_next_free_sgpr 32
		.amdhsa_accum_offset 28
		.amdhsa_reserve_vcc 1
		.amdhsa_reserve_flat_scratch 0
		.amdhsa_float_round_mode_32 0
		.amdhsa_float_round_mode_16_64 0
		.amdhsa_float_denorm_mode_32 3
		.amdhsa_float_denorm_mode_16_64 3
		.amdhsa_dx10_clamp 1
		.amdhsa_ieee_mode 1
		.amdhsa_fp16_overflow 0
		.amdhsa_tg_split 0
		.amdhsa_exception_fp_ieee_invalid_op 0
		.amdhsa_exception_fp_denorm_src 0
		.amdhsa_exception_fp_ieee_div_zero 0
		.amdhsa_exception_fp_ieee_overflow 0
		.amdhsa_exception_fp_ieee_underflow 0
		.amdhsa_exception_fp_ieee_inexact 0
		.amdhsa_exception_int_div_zero 0
	.end_amdhsa_kernel
	.section	.text._ZN4vllm3moe17topkGatingSoftmaxIfLi8ELi8ELi8ELi32ELb0ELi8ELNS0_23SharedExpertScoringFuncE1EEEvPKT_PKbPfiPiS9_iiiiii,"axG",@progbits,_ZN4vllm3moe17topkGatingSoftmaxIfLi8ELi8ELi8ELi32ELb0ELi8ELNS0_23SharedExpertScoringFuncE1EEEvPKT_PKbPfiPiS9_iiiiii,comdat
.Lfunc_end40:
	.size	_ZN4vllm3moe17topkGatingSoftmaxIfLi8ELi8ELi8ELi32ELb0ELi8ELNS0_23SharedExpertScoringFuncE1EEEvPKT_PKbPfiPiS9_iiiiii, .Lfunc_end40-_ZN4vllm3moe17topkGatingSoftmaxIfLi8ELi8ELi8ELi32ELb0ELi8ELNS0_23SharedExpertScoringFuncE1EEEvPKT_PKbPfiPiS9_iiiiii
                                        ; -- End function
	.section	.AMDGPU.csdata,"",@progbits
; Kernel info:
; codeLenInByte = 3676
; NumSgprs: 36
; NumVgprs: 27
; NumAgprs: 0
; TotalNumVgprs: 27
; ScratchSize: 0
; MemoryBound: 0
; FloatMode: 240
; IeeeMode: 1
; LDSByteSize: 0 bytes/workgroup (compile time only)
; SGPRBlocks: 4
; VGPRBlocks: 3
; NumSGPRsForWavesPerEU: 36
; NumVGPRsForWavesPerEU: 27
; AccumOffset: 28
; Occupancy: 8
; WaveLimiterHint : 0
; COMPUTE_PGM_RSRC2:SCRATCH_EN: 0
; COMPUTE_PGM_RSRC2:USER_SGPR: 6
; COMPUTE_PGM_RSRC2:TRAP_HANDLER: 0
; COMPUTE_PGM_RSRC2:TGID_X_EN: 1
; COMPUTE_PGM_RSRC2:TGID_Y_EN: 0
; COMPUTE_PGM_RSRC2:TGID_Z_EN: 0
; COMPUTE_PGM_RSRC2:TIDIG_COMP_CNT: 1
; COMPUTE_PGM_RSRC3_GFX90A:ACCUM_OFFSET: 6
; COMPUTE_PGM_RSRC3_GFX90A:TG_SPLIT: 0
	.section	.text._ZN4vllm3moe17topkGatingSoftmaxIfLi8ELi16ELi8ELi32ELb1ELi0ELNS0_23SharedExpertScoringFuncE0EEEvPKT_PKbPfiPiS9_iiiiii,"axG",@progbits,_ZN4vllm3moe17topkGatingSoftmaxIfLi8ELi16ELi8ELi32ELb1ELi0ELNS0_23SharedExpertScoringFuncE0EEEvPKT_PKbPfiPiS9_iiiiii,comdat
	.protected	_ZN4vllm3moe17topkGatingSoftmaxIfLi8ELi16ELi8ELi32ELb1ELi0ELNS0_23SharedExpertScoringFuncE0EEEvPKT_PKbPfiPiS9_iiiiii ; -- Begin function _ZN4vllm3moe17topkGatingSoftmaxIfLi8ELi16ELi8ELi32ELb1ELi0ELNS0_23SharedExpertScoringFuncE0EEEvPKT_PKbPfiPiS9_iiiiii
	.globl	_ZN4vllm3moe17topkGatingSoftmaxIfLi8ELi16ELi8ELi32ELb1ELi0ELNS0_23SharedExpertScoringFuncE0EEEvPKT_PKbPfiPiS9_iiiiii
	.p2align	8
	.type	_ZN4vllm3moe17topkGatingSoftmaxIfLi8ELi16ELi8ELi32ELb1ELi0ELNS0_23SharedExpertScoringFuncE0EEEvPKT_PKbPfiPiS9_iiiiii,@function
_ZN4vllm3moe17topkGatingSoftmaxIfLi8ELi16ELi8ELi32ELb1ELi0ELNS0_23SharedExpertScoringFuncE0EEEvPKT_PKbPfiPiS9_iiiiii: ; @_ZN4vllm3moe17topkGatingSoftmaxIfLi8ELi16ELi8ELi32ELb1ELi0ELNS0_23SharedExpertScoringFuncE0EEEvPKT_PKbPfiPiS9_iiiiii
; %bb.0:
	s_load_dword s24, s[4:5], 0x18
	v_bfe_u32 v1, v0, 10, 10
	v_and_b32_e32 v0, 0x3ff, v0
	s_lshl_b32 s25, s6, 8
	v_lshlrev_b32_e32 v26, 5, v1
	v_lshrrev_b32_e32 v27, 1, v0
	v_add3_u32 v14, s25, v26, v27
	s_waitcnt lgkmcnt(0)
	v_cmp_gt_i32_e32 vcc, s24, v14
	s_and_saveexec_b64 s[0:1], vcc
	s_cbranch_execz .LBB41_27
; %bb.1:
	s_load_dwordx4 s[0:3], s[4:5], 0x0
	s_load_dwordx2 s[16:17], s[4:5], 0x10
	s_waitcnt lgkmcnt(0)
	s_cmp_eq_u64 s[2:3], 0
	s_cbranch_scc1 .LBB41_3
; %bb.2:
	v_ashrrev_i32_e32 v1, 31, v14
	v_mov_b32_e32 v3, s3
	v_add_co_u32_e32 v2, vcc, s2, v14
	v_addc_co_u32_e32 v3, vcc, v3, v1, vcc
	global_load_ubyte v1, v[2:3], off
	s_waitcnt vmcnt(0)
	v_and_b32_e32 v1, 1, v1
	v_cmp_eq_u32_e32 vcc, 1, v1
	s_xor_b64 s[2:3], vcc, -1
	s_orn2_b64 s[18:19], s[2:3], exec
	s_branch .LBB41_4
.LBB41_3:
	s_mov_b64 s[18:19], -1
.LBB41_4:
	s_load_dwordx2 s[22:23], s[4:5], 0x40
	s_load_dwordx4 s[8:11], s[4:5], 0x30
	v_mov_b32_e32 v1, s1
	v_and_b32_e32 v15, 1, v0
	v_lshlrev_b32_e32 v0, 5, v15
	s_waitcnt lgkmcnt(0)
	v_mul_lo_u32 v2, v14, s23
	v_ashrrev_i32_e32 v3, 31, v2
	v_lshlrev_b64 v[2:3], 2, v[2:3]
	v_add_co_u32_e32 v2, vcc, s0, v2
	v_addc_co_u32_e32 v1, vcc, v1, v3, vcc
	v_add_co_u32_e32 v8, vcc, v2, v0
	v_addc_co_u32_e32 v9, vcc, 0, v1, vcc
	global_load_dwordx4 v[0:3], v[8:9], off
	global_load_dwordx4 v[4:7], v[8:9], off offset:16
	v_lshlrev_b32_e32 v17, 3, v15
	v_or_b32_e32 v18, 1, v17
	v_or_b32_e32 v19, 2, v17
	;; [unrolled: 1-line block ×7, first 2 shown]
	s_cmp_gt_i32 s8, 0
	v_mov_b32_e32 v16, 0
	s_cselect_b64 s[20:21], -1, 0
	s_cmp_lt_i32 s8, 1
	s_waitcnt vmcnt(1)
	v_cmp_lt_f32_e32 vcc, v0, v1
	v_cndmask_b32_e32 v9, v0, v1, vcc
	v_cndmask_b32_e32 v8, v17, v18, vcc
	v_cmp_lt_f32_e32 vcc, v9, v2
	v_cndmask_b32_e32 v9, v9, v2, vcc
	v_cndmask_b32_e32 v8, v8, v19, vcc
	;; [unrolled: 3-line block ×3, first 2 shown]
	s_waitcnt vmcnt(0)
	v_cmp_lt_f32_e32 vcc, v9, v4
	v_cndmask_b32_e32 v9, v9, v4, vcc
	v_cndmask_b32_e32 v8, v8, v21, vcc
	v_cmp_lt_f32_e32 vcc, v9, v5
	v_cndmask_b32_e32 v9, v9, v5, vcc
	v_cndmask_b32_e32 v8, v8, v22, vcc
	;; [unrolled: 3-line block ×4, first 2 shown]
	v_cmp_eq_u32_e32 vcc, 0, v15
	v_mov_b32_dpp v10, v8 quad_perm:[1,0,3,2] row_mask:0xf bank_mask:0xf
	v_mov_b32_dpp v11, v9 quad_perm:[1,0,3,2] row_mask:0xf bank_mask:0xf
	s_cbranch_scc1 .LBB41_16
; %bb.5:
	s_load_dwordx4 s[12:15], s[4:5], 0x20
	v_cmp_eq_f32_e64 s[2:3], v9, v11
	v_cmp_lt_i32_e64 s[6:7], v10, v8
	v_cmp_lt_f32_e64 s[0:1], v9, v11
	s_and_b64 s[2:3], s[2:3], s[6:7]
	s_or_b64 s[0:1], s[0:1], s[2:3]
	v_cndmask_b32_e64 v28, v8, v10, s[0:1]
	v_cndmask_b32_e64 v25, v9, v11, s[0:1]
	v_mul_lo_u32 v12, v14, s11
	v_mul_lo_u32 v10, v14, s22
	;; [unrolled: 1-line block ×3, first 2 shown]
	v_mov_b32_e32 v16, 0
	s_and_saveexec_b64 s[4:5], vcc
	s_cbranch_execz .LBB41_7
; %bb.6:
	v_sub_f32_e32 v9, v25, v25
	v_mul_f32_e32 v11, 0x3fb8aa3b, v9
	s_mov_b32 s0, 0x3fb8aa3b
	v_rndne_f32_e32 v13, v11
	v_sub_f32_e32 v16, v11, v13
	v_fma_f32 v11, v9, s0, -v11
	v_fmac_f32_e32 v11, 0x32a5705f, v9
	v_add_f32_e32 v11, v16, v11
	v_exp_f32_e32 v11, v11
	v_cvt_i32_f32_e32 v13, v13
	v_cmp_le_i32_e64 s[0:1], s9, v28
	v_cmp_gt_i32_e64 s[2:3], s10, v28
	s_and_b64 s[2:3], s[0:1], s[2:3]
	s_mov_b32 s0, 0xc2ce8ed0
	v_ldexp_f32 v11, v11, v13
	v_cmp_ngt_f32_e64 s[0:1], s0, v9
	v_cndmask_b32_e64 v11, 0, v11, s[0:1]
	s_mov_b32 s0, 0x42b17218
	v_mov_b32_e32 v13, 0x7f800000
	v_cmp_nlt_f32_e64 s[0:1], s0, v9
	v_cndmask_b32_e64 v16, v13, v11, s[0:1]
	v_ashrrev_i32_e32 v13, 31, v12
	v_lshlrev_b64 v[30:31], 2, v[12:13]
	v_mov_b32_e32 v9, s17
	v_add_co_u32_e64 v30, s[0:1], s16, v30
	v_addc_co_u32_e64 v31, s[0:1], v9, v31, s[0:1]
	v_ashrrev_i32_e32 v11, 31, v10
	global_store_dword v[30:31], v16, off
	v_subrev_u32_e32 v9, s9, v28
	s_and_b64 s[0:1], s[18:19], s[2:3]
	v_lshlrev_b64 v[30:31], 2, v[10:11]
	v_cndmask_b32_e64 v9, 16, v9, s[0:1]
	s_waitcnt lgkmcnt(0)
	v_mov_b32_e32 v11, s13
	v_add_co_u32_e64 v30, s[0:1], s12, v30
	v_addc_co_u32_e64 v31, s[0:1], v11, v31, s[0:1]
	global_store_dword v[30:31], v9, off
	v_ashrrev_i32_e32 v9, 31, v8
	v_lshlrev_b64 v[30:31], 2, v[8:9]
	v_mov_b32_e32 v9, s15
	v_add_co_u32_e64 v30, s[0:1], s14, v30
	v_addc_co_u32_e64 v31, s[0:1], v9, v31, s[0:1]
	global_store_dword v[30:31], v14, off
.LBB41_7:
	s_or_b64 exec, exec, s[4:5]
	v_ashrrev_i32_e32 v11, 31, v28
	v_lshrrev_b32_e32 v9, 29, v11
	v_add_u32_e32 v13, v28, v9
	v_ashrrev_i32_e32 v9, 3, v13
	v_lshrrev_b32_e32 v13, 31, v13
	v_add_u32_e32 v13, v9, v13
	v_and_b32_e32 v13, -2, v13
	v_sub_u32_e32 v13, v9, v13
	v_cmp_eq_u32_e64 s[0:1], v15, v13
	s_and_saveexec_b64 s[2:3], s[0:1]
	s_cbranch_execz .LBB41_9
; %bb.8:
	v_lshrrev_b32_e32 v11, 28, v11
	v_add_u32_e32 v11, v28, v11
	v_lshlrev_b32_e32 v9, 3, v9
	v_ashrrev_i32_e32 v11, 4, v11
	v_sub_u32_e32 v9, v28, v9
	v_lshl_add_u32 v9, v11, 3, v9
	v_mov_b32_e32 v11, 0xff800000
	v_cmp_ne_u32_e64 s[0:1], 7, v9
	v_cndmask_b32_e64 v7, v11, v7, s[0:1]
	v_cmp_ne_u32_e64 s[0:1], 6, v9
	v_cndmask_b32_e64 v6, v11, v6, s[0:1]
	;; [unrolled: 2-line block ×8, first 2 shown]
.LBB41_9:
	s_or_b64 exec, exec, s[2:3]
	s_cmp_eq_u32 s8, 1
	s_cbranch_scc1 .LBB41_16
; %bb.10:
	s_add_i32 s25, s25, s24
	s_add_i32 s6, s8, -1
	v_add3_u32 v26, s25, v27, v26
	v_add_u32_e32 v8, 1, v8
	v_add_u32_e32 v10, 1, v10
	;; [unrolled: 1-line block ×3, first 2 shown]
	s_mov_b32 s7, 0x3fb8aa3b
	s_mov_b32 s22, 0xc2ce8ed0
	;; [unrolled: 1-line block ×3, first 2 shown]
	v_mov_b32_e32 v27, 0x7f800000
	v_mov_b32_e32 v28, 0xff800000
	s_branch .LBB41_12
.LBB41_11:                              ;   in Loop: Header=BB41_12 Depth=1
	s_or_b64 exec, exec, s[2:3]
	s_add_i32 s6, s6, -1
	v_add_u32_e32 v26, s24, v26
	v_add_u32_e32 v8, 1, v8
	v_add_u32_e32 v10, 1, v10
	s_cmp_eq_u32 s6, 0
	v_add_u32_e32 v12, 1, v12
	s_cbranch_scc1 .LBB41_16
.LBB41_12:                              ; =>This Inner Loop Header: Depth=1
	v_cmp_gt_f32_e64 s[0:1], v1, v0
	v_cndmask_b32_e64 v11, v0, v1, s[0:1]
	v_cndmask_b32_e64 v9, v17, v18, s[0:1]
	v_cmp_gt_f32_e64 s[0:1], v2, v11
	v_cndmask_b32_e64 v11, v11, v2, s[0:1]
	v_cndmask_b32_e64 v9, v9, v19, s[0:1]
	v_cmp_gt_f32_e64 s[0:1], v3, v11
	v_cndmask_b32_e64 v11, v11, v3, s[0:1]
	v_cndmask_b32_e64 v9, v9, v20, s[0:1]
	v_cmp_gt_f32_e64 s[0:1], v4, v11
	v_cndmask_b32_e64 v11, v11, v4, s[0:1]
	v_cndmask_b32_e64 v9, v9, v21, s[0:1]
	v_cmp_gt_f32_e64 s[0:1], v5, v11
	v_cndmask_b32_e64 v11, v11, v5, s[0:1]
	v_cndmask_b32_e64 v9, v9, v22, s[0:1]
	v_cmp_gt_f32_e64 s[0:1], v6, v11
	v_cndmask_b32_e64 v11, v11, v6, s[0:1]
	v_cndmask_b32_e64 v9, v9, v23, s[0:1]
	v_cmp_gt_f32_e64 s[0:1], v7, v11
	v_cndmask_b32_e64 v13, v9, v24, s[0:1]
	v_cndmask_b32_e64 v9, v11, v7, s[0:1]
	s_nop 0
	v_mov_b32_dpp v29, v13 quad_perm:[1,0,3,2] row_mask:0xf bank_mask:0xf
	v_mov_b32_dpp v11, v9 quad_perm:[1,0,3,2] row_mask:0xf bank_mask:0xf
	v_cmp_eq_f32_e64 s[2:3], v9, v11
	v_cmp_lt_i32_e64 s[4:5], v29, v13
	v_cmp_lt_f32_e64 s[0:1], v9, v11
	s_and_b64 s[2:3], s[2:3], s[4:5]
	s_or_b64 s[0:1], s[0:1], s[2:3]
	v_cndmask_b32_e64 v29, v13, v29, s[0:1]
	s_and_saveexec_b64 s[4:5], vcc
	s_cbranch_execz .LBB41_14
; %bb.13:                               ;   in Loop: Header=BB41_12 Depth=1
	v_cndmask_b32_e64 v9, v9, v11, s[0:1]
	v_sub_f32_e32 v9, v9, v25
	v_mul_f32_e32 v11, 0x3fb8aa3b, v9
	v_fma_f32 v13, v9, s7, -v11
	v_rndne_f32_e32 v30, v11
	v_fmac_f32_e32 v13, 0x32a5705f, v9
	v_sub_f32_e32 v11, v11, v30
	v_add_f32_e32 v11, v11, v13
	v_exp_f32_e32 v11, v11
	v_cvt_i32_f32_e32 v13, v30
	v_cmp_le_i32_e64 s[0:1], s9, v29
	v_cmp_gt_i32_e64 s[2:3], s10, v29
	s_and_b64 s[2:3], s[0:1], s[2:3]
	v_ldexp_f32 v11, v11, v13
	v_cmp_ngt_f32_e64 s[0:1], s22, v9
	v_ashrrev_i32_e32 v13, 31, v12
	v_cndmask_b32_e64 v11, 0, v11, s[0:1]
	v_cmp_nlt_f32_e64 s[0:1], s23, v9
	v_lshlrev_b64 v[30:31], 2, v[12:13]
	v_cndmask_b32_e64 v32, v27, v11, s[0:1]
	v_mov_b32_e32 v9, s17
	v_add_co_u32_e64 v30, s[0:1], s16, v30
	v_addc_co_u32_e64 v31, s[0:1], v9, v31, s[0:1]
	v_ashrrev_i32_e32 v11, 31, v10
	global_store_dword v[30:31], v32, off
	v_subrev_u32_e32 v9, s9, v29
	s_and_b64 s[0:1], s[18:19], s[2:3]
	v_lshlrev_b64 v[30:31], 2, v[10:11]
	v_cndmask_b32_e64 v9, 16, v9, s[0:1]
	s_waitcnt lgkmcnt(0)
	v_mov_b32_e32 v11, s13
	v_add_co_u32_e64 v30, s[0:1], s12, v30
	v_addc_co_u32_e64 v31, s[0:1], v11, v31, s[0:1]
	global_store_dword v[30:31], v9, off
	v_ashrrev_i32_e32 v9, 31, v8
	v_lshlrev_b64 v[30:31], 2, v[8:9]
	v_mov_b32_e32 v9, s15
	v_add_co_u32_e64 v30, s[0:1], s14, v30
	v_addc_co_u32_e64 v31, s[0:1], v9, v31, s[0:1]
	v_add_f32_e32 v16, v16, v32
	global_store_dword v[30:31], v26, off
.LBB41_14:                              ;   in Loop: Header=BB41_12 Depth=1
	s_or_b64 exec, exec, s[4:5]
	v_ashrrev_i32_e32 v11, 31, v29
	v_lshrrev_b32_e32 v9, 29, v11
	v_add_u32_e32 v13, v29, v9
	v_ashrrev_i32_e32 v9, 3, v13
	v_lshrrev_b32_e32 v13, 31, v13
	v_add_u32_e32 v13, v9, v13
	v_and_b32_e32 v13, -2, v13
	v_sub_u32_e32 v13, v9, v13
	v_cmp_eq_u32_e64 s[0:1], v15, v13
	s_and_saveexec_b64 s[2:3], s[0:1]
	s_cbranch_execz .LBB41_11
; %bb.15:                               ;   in Loop: Header=BB41_12 Depth=1
	v_lshrrev_b32_e32 v11, 28, v11
	v_add_u32_e32 v11, v29, v11
	v_lshlrev_b32_e32 v9, 3, v9
	v_ashrrev_i32_e32 v11, 4, v11
	v_sub_u32_e32 v9, v29, v9
	v_lshl_add_u32 v9, v11, 3, v9
	v_cmp_ne_u32_e64 s[0:1], 7, v9
	v_cndmask_b32_e64 v7, v28, v7, s[0:1]
	v_cmp_ne_u32_e64 s[0:1], 6, v9
	v_cndmask_b32_e64 v6, v28, v6, s[0:1]
	;; [unrolled: 2-line block ×8, first 2 shown]
	s_branch .LBB41_11
.LBB41_16:
	v_cmp_eq_u32_e32 vcc, 0, v15
	v_cmp_neq_f32_e64 s[0:1], 0, v16
	s_and_b64 s[0:1], vcc, s[0:1]
	s_and_b64 exec, exec, s[0:1]
	s_cbranch_execz .LBB41_27
; %bb.17:
	s_andn2_b64 vcc, exec, s[20:21]
	s_cbranch_vccnz .LBB41_27
; %bb.18:
	v_div_scale_f32 v0, s[0:1], v16, v16, 1.0
	v_rcp_f32_e32 v1, v0
	v_div_scale_f32 v2, vcc, 1.0, v16, 1.0
	s_cmp_gt_u32 s8, 3
	v_fma_f32 v3, -v0, v1, 1.0
	v_fmac_f32_e32 v1, v3, v1
	v_mul_f32_e32 v3, v2, v1
	v_fma_f32 v4, -v0, v3, v2
	v_fmac_f32_e32 v3, v4, v1
	v_fma_f32 v0, -v0, v3, v2
	v_div_fmas_f32 v0, v0, v1, v3
	v_mul_lo_u32 v2, v14, s11
	v_div_fixup_f32 v0, v0, v16, 1.0
	v_ashrrev_i32_e32 v3, 31, v2
	s_cbranch_scc0 .LBB41_22
; %bb.19:
	v_lshlrev_b64 v[4:5], 2, v[2:3]
	v_mov_b32_e32 v6, s17
	v_add_co_u32_e32 v4, vcc, s16, v4
	v_addc_co_u32_e32 v5, vcc, v5, v6, vcc
	s_and_b32 s4, s8, 0x7ffffffc
	v_add_co_u32_e32 v4, vcc, 8, v4
	v_mov_b32_e32 v1, v0
	v_addc_co_u32_e32 v5, vcc, 0, v5, vcc
	s_mov_b32 s0, s4
.LBB41_20:                              ; =>This Inner Loop Header: Depth=1
	global_load_dwordx4 v[6:9], v[4:5], off offset:-8
	s_add_i32 s0, s0, -4
	s_cmp_lg_u32 s0, 0
	s_waitcnt vmcnt(0)
	v_pk_mul_f32 v[6:7], v[0:1], v[6:7]
	v_pk_mul_f32 v[8:9], v[0:1], v[8:9]
	global_store_dwordx4 v[4:5], v[6:9], off offset:-8
	v_add_co_u32_e32 v4, vcc, 16, v4
	v_addc_co_u32_e32 v5, vcc, 0, v5, vcc
	s_cbranch_scc1 .LBB41_20
; %bb.21:
	s_cmp_lg_u32 s4, s8
	s_cselect_b64 s[0:1], -1, 0
	s_branch .LBB41_24
.LBB41_22:
	s_mov_b64 s[0:1], 0
                                        ; implicit-def: $sgpr4
	s_cbranch_execz .LBB41_24
; %bb.23:
	s_mov_b64 s[0:1], -1
	s_mov_b32 s4, 0
.LBB41_24:
	s_andn2_b64 vcc, exec, s[0:1]
	s_cbranch_vccnz .LBB41_27
; %bb.25:
	v_add_co_u32_e32 v2, vcc, s4, v2
	v_addc_co_u32_e32 v3, vcc, 0, v3, vcc
	v_lshlrev_b64 v[2:3], 2, v[2:3]
	v_mov_b32_e32 v1, s17
	v_add_co_u32_e32 v2, vcc, s16, v2
	s_sub_i32 s0, s8, s4
	v_addc_co_u32_e32 v3, vcc, v1, v3, vcc
.LBB41_26:                              ; =>This Inner Loop Header: Depth=1
	global_load_dword v1, v[2:3], off
	s_add_i32 s0, s0, -1
	s_cmp_lg_u32 s0, 0
	s_waitcnt vmcnt(0)
	v_mul_f32_e32 v1, v0, v1
	global_store_dword v[2:3], v1, off
	v_add_co_u32_e32 v2, vcc, 4, v2
	v_addc_co_u32_e32 v3, vcc, 0, v3, vcc
	s_cbranch_scc1 .LBB41_26
.LBB41_27:
	s_endpgm
	.section	.rodata,"a",@progbits
	.p2align	6, 0x0
	.amdhsa_kernel _ZN4vllm3moe17topkGatingSoftmaxIfLi8ELi16ELi8ELi32ELb1ELi0ELNS0_23SharedExpertScoringFuncE0EEEvPKT_PKbPfiPiS9_iiiiii
		.amdhsa_group_segment_fixed_size 0
		.amdhsa_private_segment_fixed_size 0
		.amdhsa_kernarg_size 72
		.amdhsa_user_sgpr_count 6
		.amdhsa_user_sgpr_private_segment_buffer 1
		.amdhsa_user_sgpr_dispatch_ptr 0
		.amdhsa_user_sgpr_queue_ptr 0
		.amdhsa_user_sgpr_kernarg_segment_ptr 1
		.amdhsa_user_sgpr_dispatch_id 0
		.amdhsa_user_sgpr_flat_scratch_init 0
		.amdhsa_user_sgpr_kernarg_preload_length 0
		.amdhsa_user_sgpr_kernarg_preload_offset 0
		.amdhsa_user_sgpr_private_segment_size 0
		.amdhsa_uses_dynamic_stack 0
		.amdhsa_system_sgpr_private_segment_wavefront_offset 0
		.amdhsa_system_sgpr_workgroup_id_x 1
		.amdhsa_system_sgpr_workgroup_id_y 0
		.amdhsa_system_sgpr_workgroup_id_z 0
		.amdhsa_system_sgpr_workgroup_info 0
		.amdhsa_system_vgpr_workitem_id 1
		.amdhsa_next_free_vgpr 33
		.amdhsa_next_free_sgpr 26
		.amdhsa_accum_offset 36
		.amdhsa_reserve_vcc 1
		.amdhsa_reserve_flat_scratch 0
		.amdhsa_float_round_mode_32 0
		.amdhsa_float_round_mode_16_64 0
		.amdhsa_float_denorm_mode_32 3
		.amdhsa_float_denorm_mode_16_64 3
		.amdhsa_dx10_clamp 1
		.amdhsa_ieee_mode 1
		.amdhsa_fp16_overflow 0
		.amdhsa_tg_split 0
		.amdhsa_exception_fp_ieee_invalid_op 0
		.amdhsa_exception_fp_denorm_src 0
		.amdhsa_exception_fp_ieee_div_zero 0
		.amdhsa_exception_fp_ieee_overflow 0
		.amdhsa_exception_fp_ieee_underflow 0
		.amdhsa_exception_fp_ieee_inexact 0
		.amdhsa_exception_int_div_zero 0
	.end_amdhsa_kernel
	.section	.text._ZN4vllm3moe17topkGatingSoftmaxIfLi8ELi16ELi8ELi32ELb1ELi0ELNS0_23SharedExpertScoringFuncE0EEEvPKT_PKbPfiPiS9_iiiiii,"axG",@progbits,_ZN4vllm3moe17topkGatingSoftmaxIfLi8ELi16ELi8ELi32ELb1ELi0ELNS0_23SharedExpertScoringFuncE0EEEvPKT_PKbPfiPiS9_iiiiii,comdat
.Lfunc_end41:
	.size	_ZN4vllm3moe17topkGatingSoftmaxIfLi8ELi16ELi8ELi32ELb1ELi0ELNS0_23SharedExpertScoringFuncE0EEEvPKT_PKbPfiPiS9_iiiiii, .Lfunc_end41-_ZN4vllm3moe17topkGatingSoftmaxIfLi8ELi16ELi8ELi32ELb1ELi0ELNS0_23SharedExpertScoringFuncE0EEEvPKT_PKbPfiPiS9_iiiiii
                                        ; -- End function
	.section	.AMDGPU.csdata,"",@progbits
; Kernel info:
; codeLenInByte = 2140
; NumSgprs: 30
; NumVgprs: 33
; NumAgprs: 0
; TotalNumVgprs: 33
; ScratchSize: 0
; MemoryBound: 0
; FloatMode: 240
; IeeeMode: 1
; LDSByteSize: 0 bytes/workgroup (compile time only)
; SGPRBlocks: 3
; VGPRBlocks: 4
; NumSGPRsForWavesPerEU: 30
; NumVGPRsForWavesPerEU: 33
; AccumOffset: 36
; Occupancy: 8
; WaveLimiterHint : 0
; COMPUTE_PGM_RSRC2:SCRATCH_EN: 0
; COMPUTE_PGM_RSRC2:USER_SGPR: 6
; COMPUTE_PGM_RSRC2:TRAP_HANDLER: 0
; COMPUTE_PGM_RSRC2:TGID_X_EN: 1
; COMPUTE_PGM_RSRC2:TGID_Y_EN: 0
; COMPUTE_PGM_RSRC2:TGID_Z_EN: 0
; COMPUTE_PGM_RSRC2:TIDIG_COMP_CNT: 1
; COMPUTE_PGM_RSRC3_GFX90A:ACCUM_OFFSET: 8
; COMPUTE_PGM_RSRC3_GFX90A:TG_SPLIT: 0
	.section	.text._ZN4vllm3moe17topkGatingSoftmaxIfLi8ELi16ELi8ELi32ELb0ELi0ELNS0_23SharedExpertScoringFuncE0EEEvPKT_PKbPfiPiS9_iiiiii,"axG",@progbits,_ZN4vllm3moe17topkGatingSoftmaxIfLi8ELi16ELi8ELi32ELb0ELi0ELNS0_23SharedExpertScoringFuncE0EEEvPKT_PKbPfiPiS9_iiiiii,comdat
	.protected	_ZN4vllm3moe17topkGatingSoftmaxIfLi8ELi16ELi8ELi32ELb0ELi0ELNS0_23SharedExpertScoringFuncE0EEEvPKT_PKbPfiPiS9_iiiiii ; -- Begin function _ZN4vllm3moe17topkGatingSoftmaxIfLi8ELi16ELi8ELi32ELb0ELi0ELNS0_23SharedExpertScoringFuncE0EEEvPKT_PKbPfiPiS9_iiiiii
	.globl	_ZN4vllm3moe17topkGatingSoftmaxIfLi8ELi16ELi8ELi32ELb0ELi0ELNS0_23SharedExpertScoringFuncE0EEEvPKT_PKbPfiPiS9_iiiiii
	.p2align	8
	.type	_ZN4vllm3moe17topkGatingSoftmaxIfLi8ELi16ELi8ELi32ELb0ELi0ELNS0_23SharedExpertScoringFuncE0EEEvPKT_PKbPfiPiS9_iiiiii,@function
_ZN4vllm3moe17topkGatingSoftmaxIfLi8ELi16ELi8ELi32ELb0ELi0ELNS0_23SharedExpertScoringFuncE0EEEvPKT_PKbPfiPiS9_iiiiii: ; @_ZN4vllm3moe17topkGatingSoftmaxIfLi8ELi16ELi8ELi32ELb0ELi0ELNS0_23SharedExpertScoringFuncE0EEEvPKT_PKbPfiPiS9_iiiiii
; %bb.0:
	s_load_dword s22, s[4:5], 0x18
	v_bfe_u32 v1, v0, 10, 10
	v_and_b32_e32 v0, 0x3ff, v0
	s_lshl_b32 s23, s6, 8
	v_lshlrev_b32_e32 v26, 5, v1
	v_lshrrev_b32_e32 v27, 1, v0
	v_add3_u32 v14, s23, v26, v27
	s_waitcnt lgkmcnt(0)
	v_cmp_gt_i32_e32 vcc, s22, v14
	s_and_saveexec_b64 s[0:1], vcc
	s_cbranch_execz .LBB42_29
; %bb.1:
	s_load_dwordx4 s[0:3], s[4:5], 0x0
	s_load_dwordx2 s[6:7], s[4:5], 0x10
	s_waitcnt lgkmcnt(0)
	s_cmp_eq_u64 s[2:3], 0
	s_cbranch_scc1 .LBB42_3
; %bb.2:
	v_ashrrev_i32_e32 v1, 31, v14
	v_mov_b32_e32 v3, s3
	v_add_co_u32_e32 v2, vcc, s2, v14
	v_addc_co_u32_e32 v3, vcc, v3, v1, vcc
	global_load_ubyte v1, v[2:3], off
	s_waitcnt vmcnt(0)
	v_and_b32_e32 v1, 1, v1
	v_cmp_eq_u32_e32 vcc, 1, v1
	s_xor_b64 s[2:3], vcc, -1
	s_orn2_b64 s[18:19], s[2:3], exec
	s_branch .LBB42_4
.LBB42_3:
	s_mov_b64 s[18:19], -1
.LBB42_4:
	s_load_dwordx2 s[20:21], s[4:5], 0x40
	s_load_dwordx4 s[8:11], s[4:5], 0x30
	v_mov_b32_e32 v1, s1
	v_and_b32_e32 v15, 1, v0
	v_lshlrev_b32_e32 v0, 5, v15
	s_waitcnt lgkmcnt(0)
	v_mul_lo_u32 v2, v14, s21
	v_ashrrev_i32_e32 v3, 31, v2
	v_lshlrev_b64 v[2:3], 2, v[2:3]
	v_add_co_u32_e32 v2, vcc, s0, v2
	v_addc_co_u32_e32 v1, vcc, v1, v3, vcc
	v_add_co_u32_e32 v8, vcc, v2, v0
	v_addc_co_u32_e32 v9, vcc, 0, v1, vcc
	global_load_dwordx4 v[4:7], v[8:9], off
	global_load_dwordx4 v[0:3], v[8:9], off offset:16
	v_lshlrev_b32_e32 v18, 3, v15
	v_or_b32_e32 v19, 1, v18
	v_or_b32_e32 v20, 2, v18
	;; [unrolled: 1-line block ×7, first 2 shown]
	v_mov_b32_e32 v16, 0
	s_waitcnt vmcnt(1)
	v_cmp_lt_f32_e32 vcc, v4, v5
	v_cndmask_b32_e32 v9, v4, v5, vcc
	v_cndmask_b32_e32 v8, v18, v19, vcc
	v_cmp_lt_f32_e32 vcc, v9, v6
	v_cndmask_b32_e32 v9, v9, v6, vcc
	v_cndmask_b32_e32 v8, v8, v20, vcc
	;; [unrolled: 3-line block ×3, first 2 shown]
	s_waitcnt vmcnt(0)
	v_cmp_lt_f32_e32 vcc, v9, v0
	v_cndmask_b32_e32 v9, v9, v0, vcc
	v_cndmask_b32_e32 v8, v8, v22, vcc
	v_cmp_lt_f32_e32 vcc, v9, v1
	v_cndmask_b32_e32 v9, v9, v1, vcc
	v_cndmask_b32_e32 v8, v8, v23, vcc
	;; [unrolled: 3-line block ×4, first 2 shown]
	s_nop 0
	v_mov_b32_dpp v9, v8 quad_perm:[1,0,3,2] row_mask:0xf bank_mask:0xf
	v_mov_b32_dpp v11, v10 quad_perm:[1,0,3,2] row_mask:0xf bank_mask:0xf
	v_cmp_lt_i32_e32 vcc, v9, v8
	v_cmp_eq_f32_e64 s[2:3], v10, v11
	v_cmp_lt_f32_e64 s[0:1], v10, v11
	s_and_b64 s[2:3], s[2:3], vcc
	s_or_b64 s[0:1], s[0:1], s[2:3]
	s_cmp_gt_i32 s8, 0
	v_cndmask_b32_e64 v17, v10, v11, s[0:1]
	s_cselect_b64 s[16:17], -1, 0
	s_cmp_lt_i32 s8, 1
	v_cmp_eq_u32_e32 vcc, 0, v15
	s_cbranch_scc1 .LBB42_16
; %bb.5:
	s_load_dwordx4 s[12:15], s[4:5], 0x20
	v_cndmask_b32_e64 v28, v8, v9, s[0:1]
	v_mul_lo_u32 v12, v14, s11
	v_mul_lo_u32 v10, v14, s20
	;; [unrolled: 1-line block ×3, first 2 shown]
	v_mov_b32_e32 v16, 0
	s_and_saveexec_b64 s[4:5], vcc
	s_cbranch_execz .LBB42_7
; %bb.6:
	v_sub_f32_e32 v9, v17, v17
	v_mul_f32_e32 v11, 0x3fb8aa3b, v9
	s_mov_b32 s0, 0x3fb8aa3b
	v_rndne_f32_e32 v13, v11
	v_sub_f32_e32 v16, v11, v13
	v_fma_f32 v11, v9, s0, -v11
	v_fmac_f32_e32 v11, 0x32a5705f, v9
	v_add_f32_e32 v11, v16, v11
	v_exp_f32_e32 v11, v11
	v_cvt_i32_f32_e32 v13, v13
	v_cmp_le_i32_e64 s[0:1], s9, v28
	v_cmp_gt_i32_e64 s[2:3], s10, v28
	s_and_b64 s[2:3], s[0:1], s[2:3]
	s_mov_b32 s0, 0xc2ce8ed0
	v_ldexp_f32 v11, v11, v13
	v_cmp_ngt_f32_e64 s[0:1], s0, v9
	v_cndmask_b32_e64 v11, 0, v11, s[0:1]
	s_mov_b32 s0, 0x42b17218
	v_mov_b32_e32 v13, 0x7f800000
	v_cmp_nlt_f32_e64 s[0:1], s0, v9
	v_cndmask_b32_e64 v16, v13, v11, s[0:1]
	v_ashrrev_i32_e32 v13, 31, v12
	v_lshlrev_b64 v[30:31], 2, v[12:13]
	v_mov_b32_e32 v9, s7
	v_add_co_u32_e64 v30, s[0:1], s6, v30
	v_addc_co_u32_e64 v31, s[0:1], v9, v31, s[0:1]
	v_ashrrev_i32_e32 v11, 31, v10
	global_store_dword v[30:31], v16, off
	v_subrev_u32_e32 v9, s9, v28
	s_and_b64 s[0:1], s[18:19], s[2:3]
	v_lshlrev_b64 v[30:31], 2, v[10:11]
	v_cndmask_b32_e64 v9, 16, v9, s[0:1]
	s_waitcnt lgkmcnt(0)
	v_mov_b32_e32 v11, s13
	v_add_co_u32_e64 v30, s[0:1], s12, v30
	v_addc_co_u32_e64 v31, s[0:1], v11, v31, s[0:1]
	global_store_dword v[30:31], v9, off
	v_ashrrev_i32_e32 v9, 31, v8
	v_lshlrev_b64 v[30:31], 2, v[8:9]
	v_mov_b32_e32 v9, s15
	v_add_co_u32_e64 v30, s[0:1], s14, v30
	v_addc_co_u32_e64 v31, s[0:1], v9, v31, s[0:1]
	global_store_dword v[30:31], v14, off
.LBB42_7:
	s_or_b64 exec, exec, s[4:5]
	v_ashrrev_i32_e32 v11, 31, v28
	v_lshrrev_b32_e32 v9, 29, v11
	v_add_u32_e32 v13, v28, v9
	v_ashrrev_i32_e32 v9, 3, v13
	v_lshrrev_b32_e32 v13, 31, v13
	v_add_u32_e32 v13, v9, v13
	v_and_b32_e32 v13, -2, v13
	v_sub_u32_e32 v13, v9, v13
	v_cmp_eq_u32_e64 s[0:1], v15, v13
	s_and_saveexec_b64 s[2:3], s[0:1]
	s_cbranch_execz .LBB42_9
; %bb.8:
	v_lshrrev_b32_e32 v11, 28, v11
	v_add_u32_e32 v11, v28, v11
	v_lshlrev_b32_e32 v9, 3, v9
	v_ashrrev_i32_e32 v11, 4, v11
	v_sub_u32_e32 v9, v28, v9
	v_lshl_add_u32 v9, v11, 3, v9
	v_mov_b32_e32 v11, 0xff800000
	v_cmp_ne_u32_e64 s[0:1], 7, v9
	v_cndmask_b32_e64 v3, v11, v3, s[0:1]
	v_cmp_ne_u32_e64 s[0:1], 6, v9
	v_cndmask_b32_e64 v2, v11, v2, s[0:1]
	;; [unrolled: 2-line block ×8, first 2 shown]
.LBB42_9:
	s_or_b64 exec, exec, s[2:3]
	s_cmp_eq_u32 s8, 1
	s_cbranch_scc1 .LBB42_16
; %bb.10:
	s_add_i32 s23, s23, s22
	s_add_i32 s20, s8, -1
	v_add3_u32 v26, s23, v27, v26
	v_add_u32_e32 v8, 1, v8
	v_add_u32_e32 v10, 1, v10
	;; [unrolled: 1-line block ×3, first 2 shown]
	s_mov_b32 s21, 0x3fb8aa3b
	s_mov_b32 s23, 0xc2ce8ed0
	;; [unrolled: 1-line block ×3, first 2 shown]
	v_mov_b32_e32 v27, 0x7f800000
	v_mov_b32_e32 v28, 0xff800000
	s_branch .LBB42_12
.LBB42_11:                              ;   in Loop: Header=BB42_12 Depth=1
	s_or_b64 exec, exec, s[2:3]
	s_add_i32 s20, s20, -1
	v_add_u32_e32 v26, s22, v26
	v_add_u32_e32 v8, 1, v8
	;; [unrolled: 1-line block ×3, first 2 shown]
	s_cmp_eq_u32 s20, 0
	v_add_u32_e32 v12, 1, v12
	s_cbranch_scc1 .LBB42_16
.LBB42_12:                              ; =>This Inner Loop Header: Depth=1
	v_cmp_gt_f32_e64 s[0:1], v5, v4
	v_cndmask_b32_e64 v11, v4, v5, s[0:1]
	v_cndmask_b32_e64 v9, v18, v19, s[0:1]
	v_cmp_gt_f32_e64 s[0:1], v6, v11
	v_cndmask_b32_e64 v11, v11, v6, s[0:1]
	v_cndmask_b32_e64 v9, v9, v20, s[0:1]
	;; [unrolled: 3-line block ×7, first 2 shown]
	s_nop 0
	v_mov_b32_dpp v29, v13 quad_perm:[1,0,3,2] row_mask:0xf bank_mask:0xf
	v_mov_b32_dpp v11, v9 quad_perm:[1,0,3,2] row_mask:0xf bank_mask:0xf
	v_cmp_eq_f32_e64 s[2:3], v9, v11
	v_cmp_lt_i32_e64 s[4:5], v29, v13
	v_cmp_lt_f32_e64 s[0:1], v9, v11
	s_and_b64 s[2:3], s[2:3], s[4:5]
	s_or_b64 s[0:1], s[0:1], s[2:3]
	v_cndmask_b32_e64 v29, v13, v29, s[0:1]
	s_and_saveexec_b64 s[4:5], vcc
	s_cbranch_execz .LBB42_14
; %bb.13:                               ;   in Loop: Header=BB42_12 Depth=1
	v_cndmask_b32_e64 v9, v9, v11, s[0:1]
	v_sub_f32_e32 v9, v9, v17
	v_mul_f32_e32 v11, 0x3fb8aa3b, v9
	v_fma_f32 v13, v9, s21, -v11
	v_rndne_f32_e32 v30, v11
	v_fmac_f32_e32 v13, 0x32a5705f, v9
	v_sub_f32_e32 v11, v11, v30
	v_add_f32_e32 v11, v11, v13
	v_exp_f32_e32 v11, v11
	v_cvt_i32_f32_e32 v13, v30
	v_cmp_le_i32_e64 s[0:1], s9, v29
	v_cmp_gt_i32_e64 s[2:3], s10, v29
	s_and_b64 s[2:3], s[0:1], s[2:3]
	v_ldexp_f32 v11, v11, v13
	v_cmp_ngt_f32_e64 s[0:1], s23, v9
	v_ashrrev_i32_e32 v13, 31, v12
	v_cndmask_b32_e64 v11, 0, v11, s[0:1]
	v_cmp_nlt_f32_e64 s[0:1], s24, v9
	v_lshlrev_b64 v[30:31], 2, v[12:13]
	v_cndmask_b32_e64 v32, v27, v11, s[0:1]
	v_mov_b32_e32 v9, s7
	v_add_co_u32_e64 v30, s[0:1], s6, v30
	v_addc_co_u32_e64 v31, s[0:1], v9, v31, s[0:1]
	v_ashrrev_i32_e32 v11, 31, v10
	global_store_dword v[30:31], v32, off
	v_subrev_u32_e32 v9, s9, v29
	s_and_b64 s[0:1], s[18:19], s[2:3]
	v_lshlrev_b64 v[30:31], 2, v[10:11]
	v_cndmask_b32_e64 v9, 16, v9, s[0:1]
	s_waitcnt lgkmcnt(0)
	v_mov_b32_e32 v11, s13
	v_add_co_u32_e64 v30, s[0:1], s12, v30
	v_addc_co_u32_e64 v31, s[0:1], v11, v31, s[0:1]
	global_store_dword v[30:31], v9, off
	v_ashrrev_i32_e32 v9, 31, v8
	v_lshlrev_b64 v[30:31], 2, v[8:9]
	v_mov_b32_e32 v9, s15
	v_add_co_u32_e64 v30, s[0:1], s14, v30
	v_addc_co_u32_e64 v31, s[0:1], v9, v31, s[0:1]
	v_add_f32_e32 v16, v16, v32
	global_store_dword v[30:31], v26, off
.LBB42_14:                              ;   in Loop: Header=BB42_12 Depth=1
	s_or_b64 exec, exec, s[4:5]
	v_ashrrev_i32_e32 v11, 31, v29
	v_lshrrev_b32_e32 v9, 29, v11
	v_add_u32_e32 v13, v29, v9
	v_ashrrev_i32_e32 v9, 3, v13
	v_lshrrev_b32_e32 v13, 31, v13
	v_add_u32_e32 v13, v9, v13
	v_and_b32_e32 v13, -2, v13
	v_sub_u32_e32 v13, v9, v13
	v_cmp_eq_u32_e64 s[0:1], v15, v13
	s_and_saveexec_b64 s[2:3], s[0:1]
	s_cbranch_execz .LBB42_11
; %bb.15:                               ;   in Loop: Header=BB42_12 Depth=1
	v_lshrrev_b32_e32 v11, 28, v11
	v_add_u32_e32 v11, v29, v11
	v_lshlrev_b32_e32 v9, 3, v9
	v_ashrrev_i32_e32 v11, 4, v11
	v_sub_u32_e32 v9, v29, v9
	v_lshl_add_u32 v9, v11, 3, v9
	v_cmp_ne_u32_e64 s[0:1], 7, v9
	v_cndmask_b32_e64 v3, v28, v3, s[0:1]
	v_cmp_ne_u32_e64 s[0:1], 6, v9
	v_cndmask_b32_e64 v2, v28, v2, s[0:1]
	;; [unrolled: 2-line block ×8, first 2 shown]
	s_branch .LBB42_11
.LBB42_16:
	v_sub_f32_e32 v4, v4, v17
	s_mov_b32 s0, 0x3fb8aa3b
	v_mul_f32_e32 v8, 0x3fb8aa3b, v4
	v_fma_f32 v9, v4, s0, -v8
	v_rndne_f32_e32 v10, v8
	v_fmac_f32_e32 v9, 0x32a5705f, v4
	v_sub_f32_e32 v8, v8, v10
	v_add_f32_e32 v8, v8, v9
	v_exp_f32_e32 v8, v8
	v_cvt_i32_f32_e32 v9, v10
	v_sub_f32_e32 v5, v5, v17
	s_mov_b32 s1, 0xc2ce8ed0
	v_cmp_ngt_f32_e32 vcc, s1, v4
	v_ldexp_f32 v8, v8, v9
	v_mul_f32_e32 v9, 0x3fb8aa3b, v5
	v_fma_f32 v10, v5, s0, -v9
	v_rndne_f32_e32 v11, v9
	v_fmac_f32_e32 v10, 0x32a5705f, v5
	v_sub_f32_e32 v9, v9, v11
	v_add_f32_e32 v9, v9, v10
	v_exp_f32_e32 v9, v9
	v_cvt_i32_f32_e32 v10, v11
	s_mov_b32 s2, 0x42b17218
	v_cndmask_b32_e32 v8, 0, v8, vcc
	v_mov_b32_e32 v11, 0x7f800000
	v_cmp_nlt_f32_e32 vcc, s2, v4
	v_sub_f32_e32 v6, v6, v17
	v_cndmask_b32_e32 v4, v11, v8, vcc
	v_ldexp_f32 v8, v9, v10
	v_mul_f32_e32 v9, 0x3fb8aa3b, v6
	v_fma_f32 v10, v6, s0, -v9
	v_rndne_f32_e32 v12, v9
	v_fmac_f32_e32 v10, 0x32a5705f, v6
	v_sub_f32_e32 v9, v9, v12
	v_add_f32_e32 v9, v9, v10
	v_exp_f32_e32 v9, v9
	v_cvt_i32_f32_e32 v10, v12
	v_cmp_ngt_f32_e32 vcc, s1, v5
	v_cndmask_b32_e32 v8, 0, v8, vcc
	v_cmp_nlt_f32_e32 vcc, s2, v5
	v_sub_f32_e32 v7, v7, v17
	v_cndmask_b32_e32 v5, v11, v8, vcc
	v_mul_f32_e32 v8, 0x3fb8aa3b, v7
	v_add_f32_e32 v4, v4, v5
	v_ldexp_f32 v5, v9, v10
	v_fma_f32 v9, v7, s0, -v8
	v_rndne_f32_e32 v10, v8
	v_fmac_f32_e32 v9, 0x32a5705f, v7
	v_sub_f32_e32 v8, v8, v10
	v_add_f32_e32 v8, v8, v9
	v_exp_f32_e32 v8, v8
	v_cvt_i32_f32_e32 v9, v10
	v_cmp_ngt_f32_e32 vcc, s1, v6
	v_cndmask_b32_e32 v5, 0, v5, vcc
	v_cmp_nlt_f32_e32 vcc, s2, v6
	v_sub_f32_e32 v0, v0, v17
	v_cndmask_b32_e32 v5, v11, v5, vcc
	v_mul_f32_e32 v6, 0x3fb8aa3b, v0
	v_add_f32_e32 v4, v4, v5
	v_ldexp_f32 v5, v8, v9
	v_fma_f32 v8, v0, s0, -v6
	v_rndne_f32_e32 v9, v6
	v_fmac_f32_e32 v8, 0x32a5705f, v0
	v_sub_f32_e32 v6, v6, v9
	v_add_f32_e32 v6, v6, v8
	v_exp_f32_e32 v6, v6
	v_cvt_i32_f32_e32 v8, v9
	v_cmp_ngt_f32_e32 vcc, s1, v7
	v_cndmask_b32_e32 v5, 0, v5, vcc
	v_cmp_nlt_f32_e32 vcc, s2, v7
	v_cndmask_b32_e32 v5, v11, v5, vcc
	v_sub_f32_e32 v1, v1, v17
	v_add_f32_e32 v4, v4, v5
	v_ldexp_f32 v5, v6, v8
	v_mul_f32_e32 v6, 0x3fb8aa3b, v1
	v_fma_f32 v7, v1, s0, -v6
	v_rndne_f32_e32 v8, v6
	v_fmac_f32_e32 v7, 0x32a5705f, v1
	v_sub_f32_e32 v6, v6, v8
	v_add_f32_e32 v6, v6, v7
	v_exp_f32_e32 v6, v6
	v_cvt_i32_f32_e32 v7, v8
	v_cmp_ngt_f32_e32 vcc, s1, v0
	v_cndmask_b32_e32 v5, 0, v5, vcc
	v_cmp_nlt_f32_e32 vcc, s2, v0
	v_sub_f32_e32 v2, v2, v17
	v_cndmask_b32_e32 v0, v11, v5, vcc
	v_mul_f32_e32 v5, 0x3fb8aa3b, v2
	v_add_f32_e32 v0, v4, v0
	v_ldexp_f32 v4, v6, v7
	v_fma_f32 v6, v2, s0, -v5
	v_rndne_f32_e32 v7, v5
	v_fmac_f32_e32 v6, 0x32a5705f, v2
	v_sub_f32_e32 v5, v5, v7
	v_add_f32_e32 v5, v5, v6
	v_exp_f32_e32 v5, v5
	v_cvt_i32_f32_e32 v6, v7
	v_cmp_ngt_f32_e32 vcc, s1, v1
	v_cndmask_b32_e32 v4, 0, v4, vcc
	v_cmp_nlt_f32_e32 vcc, s2, v1
	v_sub_f32_e32 v3, v3, v17
	v_cndmask_b32_e32 v1, v11, v4, vcc
	v_mul_f32_e32 v4, 0x3fb8aa3b, v3
	v_add_f32_e32 v0, v0, v1
	v_ldexp_f32 v1, v5, v6
	v_fma_f32 v5, v3, s0, -v4
	v_rndne_f32_e32 v6, v4
	v_fmac_f32_e32 v5, 0x32a5705f, v3
	v_sub_f32_e32 v4, v4, v6
	v_add_f32_e32 v4, v4, v5
	v_exp_f32_e32 v4, v4
	v_cvt_i32_f32_e32 v5, v6
	v_cmp_ngt_f32_e32 vcc, s1, v2
	v_cndmask_b32_e32 v1, 0, v1, vcc
	v_cmp_nlt_f32_e32 vcc, s2, v2
	v_cndmask_b32_e32 v1, v11, v1, vcc
	v_add_f32_e32 v0, v0, v1
	v_ldexp_f32 v1, v4, v5
	v_cmp_ngt_f32_e32 vcc, s1, v3
	v_cndmask_b32_e32 v1, 0, v1, vcc
	v_cmp_nlt_f32_e32 vcc, s2, v3
	v_cndmask_b32_e32 v1, v11, v1, vcc
	v_add_f32_e32 v0, v0, v1
	v_cmp_eq_u32_e32 vcc, 0, v15
	s_nop 0
	v_mov_b32_dpp v1, v0 quad_perm:[1,0,3,2] row_mask:0xf bank_mask:0xf
	s_and_b64 exec, exec, vcc
	s_cbranch_execz .LBB42_29
; %bb.17:
	v_add_f32_e32 v0, v0, v1
	v_add_f32_e32 v0, v16, v0
	v_cmp_neq_f32_e32 vcc, 0, v0
	s_and_b64 exec, exec, vcc
	s_cbranch_execz .LBB42_29
; %bb.18:
	s_andn2_b64 vcc, exec, s[16:17]
	s_cbranch_vccnz .LBB42_29
; %bb.19:
	v_div_scale_f32 v1, s[0:1], v0, v0, 1.0
	v_rcp_f32_e32 v2, v1
	v_div_scale_f32 v3, vcc, 1.0, v0, 1.0
	s_cmp_gt_u32 s8, 3
	v_fma_f32 v4, -v1, v2, 1.0
	v_fmac_f32_e32 v2, v4, v2
	v_mul_f32_e32 v4, v3, v2
	v_fma_f32 v5, -v1, v4, v3
	v_fmac_f32_e32 v4, v5, v2
	v_fma_f32 v1, -v1, v4, v3
	v_div_fmas_f32 v1, v1, v2, v4
	v_mul_lo_u32 v2, v14, s11
	v_div_fixup_f32 v0, v1, v0, 1.0
	v_ashrrev_i32_e32 v3, 31, v2
	s_cbranch_scc0 .LBB42_23
; %bb.20:
	v_lshlrev_b64 v[4:5], 2, v[2:3]
	v_mov_b32_e32 v6, s7
	v_add_co_u32_e32 v4, vcc, s6, v4
	v_addc_co_u32_e32 v5, vcc, v5, v6, vcc
	s_and_b32 s4, s8, 0x7ffffffc
	v_add_co_u32_e32 v4, vcc, 8, v4
	v_mov_b32_e32 v1, v0
	v_addc_co_u32_e32 v5, vcc, 0, v5, vcc
	s_mov_b32 s0, s4
.LBB42_21:                              ; =>This Inner Loop Header: Depth=1
	global_load_dwordx4 v[6:9], v[4:5], off offset:-8
	s_add_i32 s0, s0, -4
	s_cmp_lg_u32 s0, 0
	s_waitcnt vmcnt(0)
	v_pk_mul_f32 v[6:7], v[0:1], v[6:7]
	v_pk_mul_f32 v[8:9], v[0:1], v[8:9]
	global_store_dwordx4 v[4:5], v[6:9], off offset:-8
	v_add_co_u32_e32 v4, vcc, 16, v4
	v_addc_co_u32_e32 v5, vcc, 0, v5, vcc
	s_cbranch_scc1 .LBB42_21
; %bb.22:
	s_cmp_lg_u32 s4, s8
	s_mov_b64 s[2:3], 0
	s_cselect_b64 s[0:1], -1, 0
	s_branch .LBB42_24
.LBB42_23:
	s_mov_b64 s[2:3], -1
	s_mov_b64 s[0:1], 0
                                        ; implicit-def: $sgpr4
.LBB42_24:
	s_and_b64 vcc, exec, s[2:3]
	s_cbranch_vccz .LBB42_26
; %bb.25:
	s_mov_b64 s[0:1], -1
	s_mov_b32 s4, 0
.LBB42_26:
	s_andn2_b64 vcc, exec, s[0:1]
	s_cbranch_vccnz .LBB42_29
; %bb.27:
	v_add_co_u32_e32 v2, vcc, s4, v2
	v_addc_co_u32_e32 v3, vcc, 0, v3, vcc
	v_lshlrev_b64 v[2:3], 2, v[2:3]
	v_mov_b32_e32 v1, s7
	v_add_co_u32_e32 v2, vcc, s6, v2
	s_sub_i32 s0, s8, s4
	v_addc_co_u32_e32 v3, vcc, v1, v3, vcc
.LBB42_28:                              ; =>This Inner Loop Header: Depth=1
	global_load_dword v1, v[2:3], off
	s_add_i32 s0, s0, -1
	s_cmp_lg_u32 s0, 0
	s_waitcnt vmcnt(0)
	v_mul_f32_e32 v1, v0, v1
	global_store_dword v[2:3], v1, off
	v_add_co_u32_e32 v2, vcc, 4, v2
	v_addc_co_u32_e32 v3, vcc, 0, v3, vcc
	s_cbranch_scc1 .LBB42_28
.LBB42_29:
	s_endpgm
	.section	.rodata,"a",@progbits
	.p2align	6, 0x0
	.amdhsa_kernel _ZN4vllm3moe17topkGatingSoftmaxIfLi8ELi16ELi8ELi32ELb0ELi0ELNS0_23SharedExpertScoringFuncE0EEEvPKT_PKbPfiPiS9_iiiiii
		.amdhsa_group_segment_fixed_size 0
		.amdhsa_private_segment_fixed_size 0
		.amdhsa_kernarg_size 72
		.amdhsa_user_sgpr_count 6
		.amdhsa_user_sgpr_private_segment_buffer 1
		.amdhsa_user_sgpr_dispatch_ptr 0
		.amdhsa_user_sgpr_queue_ptr 0
		.amdhsa_user_sgpr_kernarg_segment_ptr 1
		.amdhsa_user_sgpr_dispatch_id 0
		.amdhsa_user_sgpr_flat_scratch_init 0
		.amdhsa_user_sgpr_kernarg_preload_length 0
		.amdhsa_user_sgpr_kernarg_preload_offset 0
		.amdhsa_user_sgpr_private_segment_size 0
		.amdhsa_uses_dynamic_stack 0
		.amdhsa_system_sgpr_private_segment_wavefront_offset 0
		.amdhsa_system_sgpr_workgroup_id_x 1
		.amdhsa_system_sgpr_workgroup_id_y 0
		.amdhsa_system_sgpr_workgroup_id_z 0
		.amdhsa_system_sgpr_workgroup_info 0
		.amdhsa_system_vgpr_workitem_id 1
		.amdhsa_next_free_vgpr 33
		.amdhsa_next_free_sgpr 25
		.amdhsa_accum_offset 36
		.amdhsa_reserve_vcc 1
		.amdhsa_reserve_flat_scratch 0
		.amdhsa_float_round_mode_32 0
		.amdhsa_float_round_mode_16_64 0
		.amdhsa_float_denorm_mode_32 3
		.amdhsa_float_denorm_mode_16_64 3
		.amdhsa_dx10_clamp 1
		.amdhsa_ieee_mode 1
		.amdhsa_fp16_overflow 0
		.amdhsa_tg_split 0
		.amdhsa_exception_fp_ieee_invalid_op 0
		.amdhsa_exception_fp_denorm_src 0
		.amdhsa_exception_fp_ieee_div_zero 0
		.amdhsa_exception_fp_ieee_overflow 0
		.amdhsa_exception_fp_ieee_underflow 0
		.amdhsa_exception_fp_ieee_inexact 0
		.amdhsa_exception_int_div_zero 0
	.end_amdhsa_kernel
	.section	.text._ZN4vllm3moe17topkGatingSoftmaxIfLi8ELi16ELi8ELi32ELb0ELi0ELNS0_23SharedExpertScoringFuncE0EEEvPKT_PKbPfiPiS9_iiiiii,"axG",@progbits,_ZN4vllm3moe17topkGatingSoftmaxIfLi8ELi16ELi8ELi32ELb0ELi0ELNS0_23SharedExpertScoringFuncE0EEEvPKT_PKbPfiPiS9_iiiiii,comdat
.Lfunc_end42:
	.size	_ZN4vllm3moe17topkGatingSoftmaxIfLi8ELi16ELi8ELi32ELb0ELi0ELNS0_23SharedExpertScoringFuncE0EEEvPKT_PKbPfiPiS9_iiiiii, .Lfunc_end42-_ZN4vllm3moe17topkGatingSoftmaxIfLi8ELi16ELi8ELi32ELb0ELi0ELNS0_23SharedExpertScoringFuncE0EEEvPKT_PKbPfiPiS9_iiiiii
                                        ; -- End function
	.section	.AMDGPU.csdata,"",@progbits
; Kernel info:
; codeLenInByte = 2808
; NumSgprs: 29
; NumVgprs: 33
; NumAgprs: 0
; TotalNumVgprs: 33
; ScratchSize: 0
; MemoryBound: 0
; FloatMode: 240
; IeeeMode: 1
; LDSByteSize: 0 bytes/workgroup (compile time only)
; SGPRBlocks: 3
; VGPRBlocks: 4
; NumSGPRsForWavesPerEU: 29
; NumVGPRsForWavesPerEU: 33
; AccumOffset: 36
; Occupancy: 8
; WaveLimiterHint : 0
; COMPUTE_PGM_RSRC2:SCRATCH_EN: 0
; COMPUTE_PGM_RSRC2:USER_SGPR: 6
; COMPUTE_PGM_RSRC2:TRAP_HANDLER: 0
; COMPUTE_PGM_RSRC2:TGID_X_EN: 1
; COMPUTE_PGM_RSRC2:TGID_Y_EN: 0
; COMPUTE_PGM_RSRC2:TGID_Z_EN: 0
; COMPUTE_PGM_RSRC2:TIDIG_COMP_CNT: 1
; COMPUTE_PGM_RSRC3_GFX90A:ACCUM_OFFSET: 8
; COMPUTE_PGM_RSRC3_GFX90A:TG_SPLIT: 0
	.section	.text._ZN4vllm3moe17topkGatingSoftmaxIfLi8ELi16ELi8ELi32ELb1ELi1ELNS0_23SharedExpertScoringFuncE1EEEvPKT_PKbPfiPiS9_iiiiii,"axG",@progbits,_ZN4vllm3moe17topkGatingSoftmaxIfLi8ELi16ELi8ELi32ELb1ELi1ELNS0_23SharedExpertScoringFuncE1EEEvPKT_PKbPfiPiS9_iiiiii,comdat
	.protected	_ZN4vllm3moe17topkGatingSoftmaxIfLi8ELi16ELi8ELi32ELb1ELi1ELNS0_23SharedExpertScoringFuncE1EEEvPKT_PKbPfiPiS9_iiiiii ; -- Begin function _ZN4vllm3moe17topkGatingSoftmaxIfLi8ELi16ELi8ELi32ELb1ELi1ELNS0_23SharedExpertScoringFuncE1EEEvPKT_PKbPfiPiS9_iiiiii
	.globl	_ZN4vllm3moe17topkGatingSoftmaxIfLi8ELi16ELi8ELi32ELb1ELi1ELNS0_23SharedExpertScoringFuncE1EEEvPKT_PKbPfiPiS9_iiiiii
	.p2align	8
	.type	_ZN4vllm3moe17topkGatingSoftmaxIfLi8ELi16ELi8ELi32ELb1ELi1ELNS0_23SharedExpertScoringFuncE1EEEvPKT_PKbPfiPiS9_iiiiii,@function
_ZN4vllm3moe17topkGatingSoftmaxIfLi8ELi16ELi8ELi32ELb1ELi1ELNS0_23SharedExpertScoringFuncE1EEEvPKT_PKbPfiPiS9_iiiiii: ; @_ZN4vllm3moe17topkGatingSoftmaxIfLi8ELi16ELi8ELi32ELb1ELi1ELNS0_23SharedExpertScoringFuncE1EEEvPKT_PKbPfiPiS9_iiiiii
; %bb.0:
	s_load_dword s24, s[4:5], 0x18
	v_bfe_u32 v1, v0, 10, 10
	v_and_b32_e32 v0, 0x3ff, v0
	s_lshl_b32 s25, s6, 8
	v_lshlrev_b32_e32 v22, 5, v1
	v_lshrrev_b32_e32 v23, 1, v0
	v_add3_u32 v14, s25, v22, v23
	s_waitcnt lgkmcnt(0)
	v_cmp_gt_i32_e32 vcc, s24, v14
	s_and_saveexec_b64 s[0:1], vcc
	s_cbranch_execz .LBB43_29
; %bb.1:
	s_load_dwordx4 s[0:3], s[4:5], 0x0
	s_load_dwordx2 s[16:17], s[4:5], 0x10
	s_waitcnt lgkmcnt(0)
	s_cmp_eq_u64 s[2:3], 0
	s_cbranch_scc1 .LBB43_3
; %bb.2:
	v_ashrrev_i32_e32 v1, 31, v14
	v_mov_b32_e32 v3, s3
	v_add_co_u32_e32 v2, vcc, s2, v14
	v_addc_co_u32_e32 v3, vcc, v3, v1, vcc
	global_load_ubyte v1, v[2:3], off
	s_waitcnt vmcnt(0)
	v_and_b32_e32 v1, 1, v1
	v_cmp_eq_u32_e32 vcc, 1, v1
	s_xor_b64 s[2:3], vcc, -1
	s_orn2_b64 s[18:19], s[2:3], exec
	s_branch .LBB43_4
.LBB43_3:
	s_mov_b64 s[18:19], -1
.LBB43_4:
	s_load_dwordx2 s[22:23], s[4:5], 0x40
	s_load_dwordx4 s[8:11], s[4:5], 0x30
	v_mov_b32_e32 v1, s1
	v_and_b32_e32 v15, 1, v0
	v_lshlrev_b32_e32 v0, 5, v15
	s_waitcnt lgkmcnt(0)
	v_mul_lo_u32 v2, v14, s23
	v_ashrrev_i32_e32 v3, 31, v2
	v_lshlrev_b64 v[2:3], 2, v[2:3]
	v_add_co_u32_e32 v8, vcc, s0, v2
	v_addc_co_u32_e32 v9, vcc, v1, v3, vcc
	v_add_co_u32_e32 v10, vcc, v8, v0
	v_addc_co_u32_e32 v11, vcc, 0, v9, vcc
	global_load_dwordx4 v[0:3], v[10:11], off offset:16
	global_load_dwordx4 v[4:7], v[10:11], off
	v_lshlrev_b32_e32 v17, 3, v15
	v_mov_b32_e32 v16, 0
	v_cmp_eq_u32_e64 s[0:1], 0, v15
	s_and_saveexec_b64 s[2:3], s[0:1]
	s_cbranch_execz .LBB43_6
; %bb.5:
	global_load_dword v10, v[8:9], off offset:64
	s_mov_b32 s6, 0xbfb8aa3b
	s_mov_b32 s7, 0x42ce8ed0
	;; [unrolled: 1-line block ×3, first 2 shown]
	v_mov_b32_e32 v11, 0x7f800000
	v_mul_lo_u32 v8, v14, s11
	v_add_u32_e32 v8, s8, v8
	v_mov_b32_e32 v18, s17
	s_waitcnt vmcnt(0)
	v_mul_f32_e32 v9, 0xbfb8aa3b, v10
	v_rndne_f32_e32 v12, v9
	v_fma_f32 v13, v10, s6, -v9
	v_sub_f32_e32 v9, v9, v12
	v_fmac_f32_e32 v13, 0xb2a5705f, v10
	v_add_f32_e32 v9, v9, v13
	v_cvt_i32_f32_e32 v12, v12
	v_exp_f32_e32 v13, v9
	v_cmp_nlt_f32_e32 vcc, s7, v10
	v_ashrrev_i32_e32 v9, 31, v8
	v_lshlrev_b64 v[8:9], 2, v[8:9]
	v_ldexp_f32 v12, v13, v12
	v_cndmask_b32_e32 v12, 0, v12, vcc
	v_cmp_ngt_f32_e32 vcc, s12, v10
	v_cndmask_b32_e32 v10, v11, v12, vcc
	v_add_f32_e32 v10, 1.0, v10
	v_div_scale_f32 v11, s[6:7], v10, v10, 1.0
	v_rcp_f32_e32 v12, v11
	v_div_scale_f32 v13, vcc, 1.0, v10, 1.0
	v_fma_f32 v19, -v11, v12, 1.0
	v_fmac_f32_e32 v12, v19, v12
	v_mul_f32_e32 v19, v13, v12
	v_fma_f32 v20, -v11, v19, v13
	v_fmac_f32_e32 v19, v20, v12
	v_fma_f32 v11, -v11, v19, v13
	v_div_fmas_f32 v11, v11, v12, v19
	v_add_co_u32_e32 v8, vcc, s16, v8
	v_div_fixup_f32 v10, v11, v10, 1.0
	v_addc_co_u32_e32 v9, vcc, v18, v9, vcc
	global_store_dword v[8:9], v10, off
.LBB43_6:
	s_or_b64 exec, exec, s[2:3]
	s_waitcnt vmcnt(0)
	v_cmp_lt_f32_e32 vcc, v4, v5
	v_or_b32_e32 v18, 1, v17
	v_cndmask_b32_e32 v9, v4, v5, vcc
	v_cndmask_b32_e32 v8, v17, v18, vcc
	v_cmp_lt_f32_e32 vcc, v9, v6
	v_or_b32_e32 v19, 2, v17
	v_cndmask_b32_e32 v9, v9, v6, vcc
	v_cndmask_b32_e32 v8, v8, v19, vcc
	;; [unrolled: 4-line block ×6, first 2 shown]
	v_or_b32_e32 v26, 7, v17
	v_cmp_lt_f32_e32 vcc, v9, v3
	s_cmp_gt_i32 s8, 0
	v_cndmask_b32_e32 v8, v8, v26, vcc
	v_cndmask_b32_e32 v9, v9, v3, vcc
	s_cselect_b64 s[20:21], -1, 0
	v_mov_b32_dpp v10, v8 quad_perm:[1,0,3,2] row_mask:0xf bank_mask:0xf
	v_mov_b32_dpp v11, v9 quad_perm:[1,0,3,2] row_mask:0xf bank_mask:0xf
	s_and_b64 vcc, exec, s[20:21]
	s_cbranch_vccz .LBB43_18
; %bb.7:
	s_load_dwordx4 s[12:15], s[4:5], 0x20
	v_cmp_eq_f32_e64 s[2:3], v9, v11
	v_cmp_lt_i32_e64 s[6:7], v10, v8
	v_cmp_lt_f32_e32 vcc, v9, v11
	s_and_b64 s[2:3], s[2:3], s[6:7]
	s_or_b64 vcc, vcc, s[2:3]
	v_cndmask_b32_e32 v28, v8, v10, vcc
	v_cndmask_b32_e32 v27, v9, v11, vcc
	v_mul_lo_u32 v12, v14, s11
	v_mul_lo_u32 v10, v14, s22
	v_mul_lo_u32 v8, v14, s8
	v_mov_b32_e32 v16, 0
	s_and_saveexec_b64 s[4:5], s[0:1]
	s_cbranch_execz .LBB43_9
; %bb.8:
	v_sub_f32_e32 v9, v27, v27
	v_mul_f32_e32 v11, 0x3fb8aa3b, v9
	s_mov_b32 s2, 0x3fb8aa3b
	v_rndne_f32_e32 v13, v11
	v_sub_f32_e32 v16, v11, v13
	v_fma_f32 v11, v9, s2, -v11
	v_fmac_f32_e32 v11, 0x32a5705f, v9
	v_add_f32_e32 v11, v16, v11
	v_exp_f32_e32 v11, v11
	v_cvt_i32_f32_e32 v13, v13
	v_cmp_le_i32_e32 vcc, s9, v28
	v_cmp_gt_i32_e64 s[2:3], s10, v28
	s_mov_b32 s6, 0xc2ce8ed0
	s_and_b64 s[2:3], vcc, s[2:3]
	v_ldexp_f32 v11, v11, v13
	v_cmp_ngt_f32_e32 vcc, s6, v9
	s_mov_b32 s6, 0x42b17218
	v_cndmask_b32_e32 v11, 0, v11, vcc
	v_mov_b32_e32 v13, 0x7f800000
	v_cmp_nlt_f32_e32 vcc, s6, v9
	v_cndmask_b32_e32 v16, v13, v11, vcc
	v_ashrrev_i32_e32 v13, 31, v12
	v_lshlrev_b64 v[30:31], 2, v[12:13]
	v_mov_b32_e32 v9, s17
	v_add_co_u32_e32 v30, vcc, s16, v30
	v_addc_co_u32_e32 v31, vcc, v9, v31, vcc
	v_ashrrev_i32_e32 v11, 31, v10
	global_store_dword v[30:31], v16, off
	v_subrev_u32_e32 v9, s9, v28
	s_and_b64 vcc, s[18:19], s[2:3]
	v_lshlrev_b64 v[30:31], 2, v[10:11]
	v_cndmask_b32_e32 v9, 16, v9, vcc
	s_waitcnt lgkmcnt(0)
	v_mov_b32_e32 v11, s13
	v_add_co_u32_e32 v30, vcc, s12, v30
	v_addc_co_u32_e32 v31, vcc, v11, v31, vcc
	global_store_dword v[30:31], v9, off
	v_ashrrev_i32_e32 v9, 31, v8
	v_lshlrev_b64 v[30:31], 2, v[8:9]
	v_mov_b32_e32 v9, s15
	v_add_co_u32_e32 v30, vcc, s14, v30
	v_addc_co_u32_e32 v31, vcc, v9, v31, vcc
	global_store_dword v[30:31], v14, off
.LBB43_9:
	s_or_b64 exec, exec, s[4:5]
	v_ashrrev_i32_e32 v11, 31, v28
	v_lshrrev_b32_e32 v9, 29, v11
	v_add_u32_e32 v13, v28, v9
	v_ashrrev_i32_e32 v9, 3, v13
	v_lshrrev_b32_e32 v13, 31, v13
	v_add_u32_e32 v13, v9, v13
	v_and_b32_e32 v13, -2, v13
	v_sub_u32_e32 v13, v9, v13
	v_cmp_eq_u32_e32 vcc, v15, v13
	s_and_saveexec_b64 s[2:3], vcc
	s_cbranch_execz .LBB43_11
; %bb.10:
	v_lshrrev_b32_e32 v11, 28, v11
	v_add_u32_e32 v11, v28, v11
	v_lshlrev_b32_e32 v9, 3, v9
	v_ashrrev_i32_e32 v11, 4, v11
	v_sub_u32_e32 v9, v28, v9
	v_lshl_add_u32 v9, v11, 3, v9
	v_mov_b32_e32 v11, 0xff800000
	v_cmp_ne_u32_e32 vcc, 7, v9
	v_cndmask_b32_e32 v3, v11, v3, vcc
	v_cmp_ne_u32_e32 vcc, 6, v9
	v_cndmask_b32_e32 v2, v11, v2, vcc
	;; [unrolled: 2-line block ×8, first 2 shown]
.LBB43_11:
	s_or_b64 exec, exec, s[2:3]
	s_cmp_eq_u32 s8, 1
	s_cbranch_scc1 .LBB43_18
; %bb.12:
	s_add_i32 s25, s25, s24
	s_add_i32 s6, s8, -1
	v_add3_u32 v22, s25, v23, v22
	v_add_u32_e32 v8, 1, v8
	v_add_u32_e32 v10, 1, v10
	;; [unrolled: 1-line block ×3, first 2 shown]
	s_mov_b32 s7, 0x3fb8aa3b
	s_mov_b32 s22, 0xc2ce8ed0
	;; [unrolled: 1-line block ×3, first 2 shown]
	v_mov_b32_e32 v23, 0x7f800000
	v_mov_b32_e32 v28, 0xff800000
	s_branch .LBB43_14
.LBB43_13:                              ;   in Loop: Header=BB43_14 Depth=1
	s_or_b64 exec, exec, s[2:3]
	s_add_i32 s6, s6, -1
	v_add_u32_e32 v22, s24, v22
	v_add_u32_e32 v8, 1, v8
	;; [unrolled: 1-line block ×3, first 2 shown]
	s_cmp_eq_u32 s6, 0
	v_add_u32_e32 v12, 1, v12
	s_cbranch_scc1 .LBB43_18
.LBB43_14:                              ; =>This Inner Loop Header: Depth=1
	v_cmp_gt_f32_e32 vcc, v5, v4
	v_cndmask_b32_e32 v11, v4, v5, vcc
	v_cndmask_b32_e32 v9, v17, v18, vcc
	v_cmp_gt_f32_e32 vcc, v6, v11
	v_cndmask_b32_e32 v11, v11, v6, vcc
	v_cndmask_b32_e32 v9, v9, v19, vcc
	;; [unrolled: 3-line block ×7, first 2 shown]
	s_nop 0
	v_mov_b32_dpp v29, v13 quad_perm:[1,0,3,2] row_mask:0xf bank_mask:0xf
	v_mov_b32_dpp v11, v9 quad_perm:[1,0,3,2] row_mask:0xf bank_mask:0xf
	v_cmp_eq_f32_e64 s[2:3], v9, v11
	v_cmp_lt_i32_e64 s[4:5], v29, v13
	v_cmp_lt_f32_e32 vcc, v9, v11
	s_and_b64 s[2:3], s[2:3], s[4:5]
	s_or_b64 vcc, vcc, s[2:3]
	v_cndmask_b32_e32 v29, v13, v29, vcc
	s_and_saveexec_b64 s[4:5], s[0:1]
	s_cbranch_execz .LBB43_16
; %bb.15:                               ;   in Loop: Header=BB43_14 Depth=1
	v_cndmask_b32_e32 v9, v9, v11, vcc
	v_sub_f32_e32 v9, v9, v27
	v_mul_f32_e32 v11, 0x3fb8aa3b, v9
	v_fma_f32 v13, v9, s7, -v11
	v_rndne_f32_e32 v30, v11
	v_fmac_f32_e32 v13, 0x32a5705f, v9
	v_sub_f32_e32 v11, v11, v30
	v_add_f32_e32 v11, v11, v13
	v_exp_f32_e32 v11, v11
	v_cvt_i32_f32_e32 v13, v30
	v_cmp_le_i32_e32 vcc, s9, v29
	v_cmp_gt_i32_e64 s[2:3], s10, v29
	s_and_b64 s[2:3], vcc, s[2:3]
	v_ldexp_f32 v11, v11, v13
	v_cmp_ngt_f32_e32 vcc, s22, v9
	v_ashrrev_i32_e32 v13, 31, v12
	v_cndmask_b32_e32 v11, 0, v11, vcc
	v_cmp_nlt_f32_e32 vcc, s23, v9
	v_lshlrev_b64 v[30:31], 2, v[12:13]
	v_cndmask_b32_e32 v32, v23, v11, vcc
	v_mov_b32_e32 v9, s17
	v_add_co_u32_e32 v30, vcc, s16, v30
	v_addc_co_u32_e32 v31, vcc, v9, v31, vcc
	v_ashrrev_i32_e32 v11, 31, v10
	global_store_dword v[30:31], v32, off
	v_subrev_u32_e32 v9, s9, v29
	s_and_b64 vcc, s[18:19], s[2:3]
	v_lshlrev_b64 v[30:31], 2, v[10:11]
	v_cndmask_b32_e32 v9, 16, v9, vcc
	s_waitcnt lgkmcnt(0)
	v_mov_b32_e32 v11, s13
	v_add_co_u32_e32 v30, vcc, s12, v30
	v_addc_co_u32_e32 v31, vcc, v11, v31, vcc
	global_store_dword v[30:31], v9, off
	v_ashrrev_i32_e32 v9, 31, v8
	v_lshlrev_b64 v[30:31], 2, v[8:9]
	v_mov_b32_e32 v9, s15
	v_add_co_u32_e32 v30, vcc, s14, v30
	v_addc_co_u32_e32 v31, vcc, v9, v31, vcc
	v_add_f32_e32 v16, v16, v32
	global_store_dword v[30:31], v22, off
.LBB43_16:                              ;   in Loop: Header=BB43_14 Depth=1
	s_or_b64 exec, exec, s[4:5]
	v_ashrrev_i32_e32 v11, 31, v29
	v_lshrrev_b32_e32 v9, 29, v11
	v_add_u32_e32 v13, v29, v9
	v_ashrrev_i32_e32 v9, 3, v13
	v_lshrrev_b32_e32 v13, 31, v13
	v_add_u32_e32 v13, v9, v13
	v_and_b32_e32 v13, -2, v13
	v_sub_u32_e32 v13, v9, v13
	v_cmp_eq_u32_e32 vcc, v15, v13
	s_and_saveexec_b64 s[2:3], vcc
	s_cbranch_execz .LBB43_13
; %bb.17:                               ;   in Loop: Header=BB43_14 Depth=1
	v_lshrrev_b32_e32 v11, 28, v11
	v_add_u32_e32 v11, v29, v11
	v_lshlrev_b32_e32 v9, 3, v9
	v_ashrrev_i32_e32 v11, 4, v11
	v_sub_u32_e32 v9, v29, v9
	v_lshl_add_u32 v9, v11, 3, v9
	v_cmp_ne_u32_e32 vcc, 7, v9
	v_cndmask_b32_e32 v3, v28, v3, vcc
	v_cmp_ne_u32_e32 vcc, 6, v9
	v_cndmask_b32_e32 v2, v28, v2, vcc
	;; [unrolled: 2-line block ×8, first 2 shown]
	s_branch .LBB43_13
.LBB43_18:
	v_cmp_neq_f32_e32 vcc, 0, v16
	s_and_b64 s[0:1], s[0:1], vcc
	s_and_b64 exec, exec, s[0:1]
	s_cbranch_execz .LBB43_29
; %bb.19:
	s_andn2_b64 vcc, exec, s[20:21]
	s_cbranch_vccnz .LBB43_29
; %bb.20:
	v_div_scale_f32 v0, s[0:1], v16, v16, 1.0
	v_rcp_f32_e32 v1, v0
	v_div_scale_f32 v2, vcc, 1.0, v16, 1.0
	s_cmp_gt_u32 s8, 3
	v_fma_f32 v3, -v0, v1, 1.0
	v_fmac_f32_e32 v1, v3, v1
	v_mul_f32_e32 v3, v2, v1
	v_fma_f32 v4, -v0, v3, v2
	v_fmac_f32_e32 v3, v4, v1
	v_fma_f32 v0, -v0, v3, v2
	v_div_fmas_f32 v0, v0, v1, v3
	v_mul_lo_u32 v2, v14, s11
	v_div_fixup_f32 v0, v0, v16, 1.0
	v_ashrrev_i32_e32 v3, 31, v2
	s_cbranch_scc0 .LBB43_24
; %bb.21:
	v_lshlrev_b64 v[4:5], 2, v[2:3]
	v_mov_b32_e32 v6, s17
	v_add_co_u32_e32 v4, vcc, s16, v4
	v_addc_co_u32_e32 v5, vcc, v5, v6, vcc
	s_and_b32 s4, s8, 0x7ffffffc
	v_add_co_u32_e32 v4, vcc, 8, v4
	v_mov_b32_e32 v1, v0
	v_addc_co_u32_e32 v5, vcc, 0, v5, vcc
	s_mov_b32 s0, s4
.LBB43_22:                              ; =>This Inner Loop Header: Depth=1
	global_load_dwordx4 v[6:9], v[4:5], off offset:-8
	s_add_i32 s0, s0, -4
	s_cmp_lg_u32 s0, 0
	s_waitcnt vmcnt(0)
	v_pk_mul_f32 v[6:7], v[0:1], v[6:7]
	v_pk_mul_f32 v[8:9], v[0:1], v[8:9]
	global_store_dwordx4 v[4:5], v[6:9], off offset:-8
	v_add_co_u32_e32 v4, vcc, 16, v4
	v_addc_co_u32_e32 v5, vcc, 0, v5, vcc
	s_cbranch_scc1 .LBB43_22
; %bb.23:
	s_cmp_lg_u32 s4, s8
	s_cselect_b64 s[0:1], -1, 0
	s_branch .LBB43_26
.LBB43_24:
	s_mov_b64 s[0:1], 0
                                        ; implicit-def: $sgpr4
	s_cbranch_execz .LBB43_26
; %bb.25:
	s_mov_b64 s[0:1], -1
	s_mov_b32 s4, 0
.LBB43_26:
	s_andn2_b64 vcc, exec, s[0:1]
	s_cbranch_vccnz .LBB43_29
; %bb.27:
	v_add_co_u32_e32 v2, vcc, s4, v2
	v_addc_co_u32_e32 v3, vcc, 0, v3, vcc
	v_lshlrev_b64 v[2:3], 2, v[2:3]
	v_mov_b32_e32 v1, s17
	v_add_co_u32_e32 v2, vcc, s16, v2
	s_sub_i32 s0, s8, s4
	v_addc_co_u32_e32 v3, vcc, v1, v3, vcc
.LBB43_28:                              ; =>This Inner Loop Header: Depth=1
	global_load_dword v1, v[2:3], off
	s_add_i32 s0, s0, -1
	s_cmp_lg_u32 s0, 0
	s_waitcnt vmcnt(0)
	v_mul_f32_e32 v1, v0, v1
	global_store_dword v[2:3], v1, off
	v_add_co_u32_e32 v2, vcc, 4, v2
	v_addc_co_u32_e32 v3, vcc, 0, v3, vcc
	s_cbranch_scc1 .LBB43_28
.LBB43_29:
	s_endpgm
	.section	.rodata,"a",@progbits
	.p2align	6, 0x0
	.amdhsa_kernel _ZN4vllm3moe17topkGatingSoftmaxIfLi8ELi16ELi8ELi32ELb1ELi1ELNS0_23SharedExpertScoringFuncE1EEEvPKT_PKbPfiPiS9_iiiiii
		.amdhsa_group_segment_fixed_size 0
		.amdhsa_private_segment_fixed_size 0
		.amdhsa_kernarg_size 72
		.amdhsa_user_sgpr_count 6
		.amdhsa_user_sgpr_private_segment_buffer 1
		.amdhsa_user_sgpr_dispatch_ptr 0
		.amdhsa_user_sgpr_queue_ptr 0
		.amdhsa_user_sgpr_kernarg_segment_ptr 1
		.amdhsa_user_sgpr_dispatch_id 0
		.amdhsa_user_sgpr_flat_scratch_init 0
		.amdhsa_user_sgpr_kernarg_preload_length 0
		.amdhsa_user_sgpr_kernarg_preload_offset 0
		.amdhsa_user_sgpr_private_segment_size 0
		.amdhsa_uses_dynamic_stack 0
		.amdhsa_system_sgpr_private_segment_wavefront_offset 0
		.amdhsa_system_sgpr_workgroup_id_x 1
		.amdhsa_system_sgpr_workgroup_id_y 0
		.amdhsa_system_sgpr_workgroup_id_z 0
		.amdhsa_system_sgpr_workgroup_info 0
		.amdhsa_system_vgpr_workitem_id 1
		.amdhsa_next_free_vgpr 33
		.amdhsa_next_free_sgpr 26
		.amdhsa_accum_offset 36
		.amdhsa_reserve_vcc 1
		.amdhsa_reserve_flat_scratch 0
		.amdhsa_float_round_mode_32 0
		.amdhsa_float_round_mode_16_64 0
		.amdhsa_float_denorm_mode_32 3
		.amdhsa_float_denorm_mode_16_64 3
		.amdhsa_dx10_clamp 1
		.amdhsa_ieee_mode 1
		.amdhsa_fp16_overflow 0
		.amdhsa_tg_split 0
		.amdhsa_exception_fp_ieee_invalid_op 0
		.amdhsa_exception_fp_denorm_src 0
		.amdhsa_exception_fp_ieee_div_zero 0
		.amdhsa_exception_fp_ieee_overflow 0
		.amdhsa_exception_fp_ieee_underflow 0
		.amdhsa_exception_fp_ieee_inexact 0
		.amdhsa_exception_int_div_zero 0
	.end_amdhsa_kernel
	.section	.text._ZN4vllm3moe17topkGatingSoftmaxIfLi8ELi16ELi8ELi32ELb1ELi1ELNS0_23SharedExpertScoringFuncE1EEEvPKT_PKbPfiPiS9_iiiiii,"axG",@progbits,_ZN4vllm3moe17topkGatingSoftmaxIfLi8ELi16ELi8ELi32ELb1ELi1ELNS0_23SharedExpertScoringFuncE1EEEvPKT_PKbPfiPiS9_iiiiii,comdat
.Lfunc_end43:
	.size	_ZN4vllm3moe17topkGatingSoftmaxIfLi8ELi16ELi8ELi32ELb1ELi1ELNS0_23SharedExpertScoringFuncE1EEEvPKT_PKbPfiPiS9_iiiiii, .Lfunc_end43-_ZN4vllm3moe17topkGatingSoftmaxIfLi8ELi16ELi8ELi32ELb1ELi1ELNS0_23SharedExpertScoringFuncE1EEEvPKT_PKbPfiPiS9_iiiiii
                                        ; -- End function
	.section	.AMDGPU.csdata,"",@progbits
; Kernel info:
; codeLenInByte = 2036
; NumSgprs: 30
; NumVgprs: 33
; NumAgprs: 0
; TotalNumVgprs: 33
; ScratchSize: 0
; MemoryBound: 0
; FloatMode: 240
; IeeeMode: 1
; LDSByteSize: 0 bytes/workgroup (compile time only)
; SGPRBlocks: 3
; VGPRBlocks: 4
; NumSGPRsForWavesPerEU: 30
; NumVGPRsForWavesPerEU: 33
; AccumOffset: 36
; Occupancy: 8
; WaveLimiterHint : 0
; COMPUTE_PGM_RSRC2:SCRATCH_EN: 0
; COMPUTE_PGM_RSRC2:USER_SGPR: 6
; COMPUTE_PGM_RSRC2:TRAP_HANDLER: 0
; COMPUTE_PGM_RSRC2:TGID_X_EN: 1
; COMPUTE_PGM_RSRC2:TGID_Y_EN: 0
; COMPUTE_PGM_RSRC2:TGID_Z_EN: 0
; COMPUTE_PGM_RSRC2:TIDIG_COMP_CNT: 1
; COMPUTE_PGM_RSRC3_GFX90A:ACCUM_OFFSET: 8
; COMPUTE_PGM_RSRC3_GFX90A:TG_SPLIT: 0
	.section	.text._ZN4vllm3moe17topkGatingSoftmaxIfLi8ELi16ELi8ELi32ELb0ELi1ELNS0_23SharedExpertScoringFuncE1EEEvPKT_PKbPfiPiS9_iiiiii,"axG",@progbits,_ZN4vllm3moe17topkGatingSoftmaxIfLi8ELi16ELi8ELi32ELb0ELi1ELNS0_23SharedExpertScoringFuncE1EEEvPKT_PKbPfiPiS9_iiiiii,comdat
	.protected	_ZN4vllm3moe17topkGatingSoftmaxIfLi8ELi16ELi8ELi32ELb0ELi1ELNS0_23SharedExpertScoringFuncE1EEEvPKT_PKbPfiPiS9_iiiiii ; -- Begin function _ZN4vllm3moe17topkGatingSoftmaxIfLi8ELi16ELi8ELi32ELb0ELi1ELNS0_23SharedExpertScoringFuncE1EEEvPKT_PKbPfiPiS9_iiiiii
	.globl	_ZN4vllm3moe17topkGatingSoftmaxIfLi8ELi16ELi8ELi32ELb0ELi1ELNS0_23SharedExpertScoringFuncE1EEEvPKT_PKbPfiPiS9_iiiiii
	.p2align	8
	.type	_ZN4vllm3moe17topkGatingSoftmaxIfLi8ELi16ELi8ELi32ELb0ELi1ELNS0_23SharedExpertScoringFuncE1EEEvPKT_PKbPfiPiS9_iiiiii,@function
_ZN4vllm3moe17topkGatingSoftmaxIfLi8ELi16ELi8ELi32ELb0ELi1ELNS0_23SharedExpertScoringFuncE1EEEvPKT_PKbPfiPiS9_iiiiii: ; @_ZN4vllm3moe17topkGatingSoftmaxIfLi8ELi16ELi8ELi32ELb0ELi1ELNS0_23SharedExpertScoringFuncE1EEEvPKT_PKbPfiPiS9_iiiiii
; %bb.0:
	s_load_dword s22, s[4:5], 0x18
	v_bfe_u32 v1, v0, 10, 10
	v_and_b32_e32 v0, 0x3ff, v0
	s_lshl_b32 s23, s6, 8
	v_lshlrev_b32_e32 v23, 5, v1
	v_lshrrev_b32_e32 v24, 1, v0
	v_add3_u32 v14, s23, v23, v24
	s_waitcnt lgkmcnt(0)
	v_cmp_gt_i32_e32 vcc, s22, v14
	s_and_saveexec_b64 s[0:1], vcc
	s_cbranch_execz .LBB44_31
; %bb.1:
	s_load_dwordx4 s[0:3], s[4:5], 0x0
	s_load_dwordx2 s[16:17], s[4:5], 0x10
	s_waitcnt lgkmcnt(0)
	s_cmp_eq_u64 s[2:3], 0
	s_cbranch_scc1 .LBB44_3
; %bb.2:
	v_ashrrev_i32_e32 v1, 31, v14
	v_mov_b32_e32 v3, s3
	v_add_co_u32_e32 v2, vcc, s2, v14
	v_addc_co_u32_e32 v3, vcc, v3, v1, vcc
	global_load_ubyte v1, v[2:3], off
	s_waitcnt vmcnt(0)
	v_and_b32_e32 v1, 1, v1
	v_cmp_eq_u32_e32 vcc, 1, v1
	s_xor_b64 s[2:3], vcc, -1
	s_orn2_b64 s[18:19], s[2:3], exec
	s_branch .LBB44_4
.LBB44_3:
	s_mov_b64 s[18:19], -1
.LBB44_4:
	s_load_dwordx2 s[20:21], s[4:5], 0x40
	s_load_dwordx4 s[8:11], s[4:5], 0x30
	v_mov_b32_e32 v1, s1
	v_and_b32_e32 v16, 1, v0
	v_lshlrev_b32_e32 v0, 5, v16
	s_waitcnt lgkmcnt(0)
	v_mul_lo_u32 v2, v14, s21
	v_ashrrev_i32_e32 v3, 31, v2
	v_lshlrev_b64 v[2:3], 2, v[2:3]
	v_add_co_u32_e32 v8, vcc, s0, v2
	v_addc_co_u32_e32 v9, vcc, v1, v3, vcc
	v_add_co_u32_e32 v10, vcc, v8, v0
	v_addc_co_u32_e32 v11, vcc, 0, v9, vcc
	global_load_dwordx4 v[0:3], v[10:11], off offset:16
	global_load_dwordx4 v[4:7], v[10:11], off
	v_lshlrev_b32_e32 v18, 3, v16
	v_mov_b32_e32 v15, 0
	v_cmp_eq_u32_e64 s[0:1], 0, v16
	s_and_saveexec_b64 s[2:3], s[0:1]
	s_cbranch_execz .LBB44_6
; %bb.5:
	global_load_dword v10, v[8:9], off offset:64
	s_mov_b32 s6, 0xbfb8aa3b
	s_mov_b32 s7, 0x42ce8ed0
	;; [unrolled: 1-line block ×3, first 2 shown]
	v_mov_b32_e32 v11, 0x7f800000
	v_mul_lo_u32 v8, v14, s11
	v_add_u32_e32 v8, s8, v8
	v_mov_b32_e32 v17, s17
	s_waitcnt vmcnt(0)
	v_mul_f32_e32 v9, 0xbfb8aa3b, v10
	v_rndne_f32_e32 v12, v9
	v_fma_f32 v13, v10, s6, -v9
	v_sub_f32_e32 v9, v9, v12
	v_fmac_f32_e32 v13, 0xb2a5705f, v10
	v_add_f32_e32 v9, v9, v13
	v_cvt_i32_f32_e32 v12, v12
	v_exp_f32_e32 v13, v9
	v_cmp_nlt_f32_e32 vcc, s7, v10
	v_ashrrev_i32_e32 v9, 31, v8
	v_lshlrev_b64 v[8:9], 2, v[8:9]
	v_ldexp_f32 v12, v13, v12
	v_cndmask_b32_e32 v12, 0, v12, vcc
	v_cmp_ngt_f32_e32 vcc, s12, v10
	v_cndmask_b32_e32 v10, v11, v12, vcc
	v_add_f32_e32 v10, 1.0, v10
	v_div_scale_f32 v11, s[6:7], v10, v10, 1.0
	v_rcp_f32_e32 v12, v11
	v_div_scale_f32 v13, vcc, 1.0, v10, 1.0
	v_fma_f32 v19, -v11, v12, 1.0
	v_fmac_f32_e32 v12, v19, v12
	v_mul_f32_e32 v19, v13, v12
	v_fma_f32 v20, -v11, v19, v13
	v_fmac_f32_e32 v19, v20, v12
	v_fma_f32 v11, -v11, v19, v13
	v_div_fmas_f32 v11, v11, v12, v19
	v_add_co_u32_e32 v8, vcc, s16, v8
	v_div_fixup_f32 v10, v11, v10, 1.0
	v_addc_co_u32_e32 v9, vcc, v17, v9, vcc
	global_store_dword v[8:9], v10, off
.LBB44_6:
	s_or_b64 exec, exec, s[2:3]
	s_waitcnt vmcnt(0)
	v_cmp_lt_f32_e32 vcc, v4, v5
	v_or_b32_e32 v19, 1, v18
	v_cndmask_b32_e32 v9, v4, v5, vcc
	v_cndmask_b32_e32 v8, v18, v19, vcc
	v_cmp_lt_f32_e32 vcc, v9, v6
	v_or_b32_e32 v20, 2, v18
	v_cndmask_b32_e32 v9, v9, v6, vcc
	v_cndmask_b32_e32 v8, v8, v20, vcc
	;; [unrolled: 4-line block ×6, first 2 shown]
	v_or_b32_e32 v27, 7, v18
	v_cmp_lt_f32_e32 vcc, v9, v3
	v_cndmask_b32_e32 v8, v8, v27, vcc
	v_cndmask_b32_e32 v10, v9, v3, vcc
	s_nop 0
	v_mov_b32_dpp v9, v8 quad_perm:[1,0,3,2] row_mask:0xf bank_mask:0xf
	v_mov_b32_dpp v11, v10 quad_perm:[1,0,3,2] row_mask:0xf bank_mask:0xf
	v_cmp_eq_f32_e64 s[2:3], v10, v11
	v_cmp_lt_i32_e64 s[6:7], v9, v8
	v_cmp_lt_f32_e32 vcc, v10, v11
	s_and_b64 s[2:3], s[2:3], s[6:7]
	s_or_b64 s[2:3], vcc, s[2:3]
	s_cmp_gt_i32 s8, 0
	s_cselect_b64 s[6:7], -1, 0
	v_cndmask_b32_e64 v17, v10, v11, s[2:3]
	s_and_b64 vcc, exec, s[6:7]
	s_cbranch_vccz .LBB44_18
; %bb.7:
	s_load_dwordx4 s[12:15], s[4:5], 0x20
	v_cndmask_b32_e64 v28, v8, v9, s[2:3]
	v_mul_lo_u32 v12, v14, s11
	v_mul_lo_u32 v10, v14, s20
	;; [unrolled: 1-line block ×3, first 2 shown]
	v_mov_b32_e32 v15, 0
	s_and_saveexec_b64 s[4:5], s[0:1]
	s_cbranch_execz .LBB44_9
; %bb.8:
	v_sub_f32_e32 v9, v17, v17
	v_mul_f32_e32 v11, 0x3fb8aa3b, v9
	s_mov_b32 s2, 0x3fb8aa3b
	v_rndne_f32_e32 v13, v11
	v_sub_f32_e32 v15, v11, v13
	v_fma_f32 v11, v9, s2, -v11
	v_fmac_f32_e32 v11, 0x32a5705f, v9
	v_add_f32_e32 v11, v15, v11
	v_exp_f32_e32 v11, v11
	v_cvt_i32_f32_e32 v13, v13
	v_cmp_le_i32_e32 vcc, s9, v28
	v_cmp_gt_i32_e64 s[2:3], s10, v28
	s_mov_b32 s20, 0xc2ce8ed0
	s_and_b64 s[2:3], vcc, s[2:3]
	v_ldexp_f32 v11, v11, v13
	v_cmp_ngt_f32_e32 vcc, s20, v9
	s_mov_b32 s20, 0x42b17218
	v_cndmask_b32_e32 v11, 0, v11, vcc
	v_mov_b32_e32 v13, 0x7f800000
	v_cmp_nlt_f32_e32 vcc, s20, v9
	v_cndmask_b32_e32 v15, v13, v11, vcc
	v_ashrrev_i32_e32 v13, 31, v12
	v_lshlrev_b64 v[30:31], 2, v[12:13]
	v_mov_b32_e32 v9, s17
	v_add_co_u32_e32 v30, vcc, s16, v30
	v_addc_co_u32_e32 v31, vcc, v9, v31, vcc
	v_ashrrev_i32_e32 v11, 31, v10
	global_store_dword v[30:31], v15, off
	v_subrev_u32_e32 v9, s9, v28
	s_and_b64 vcc, s[18:19], s[2:3]
	v_lshlrev_b64 v[30:31], 2, v[10:11]
	v_cndmask_b32_e32 v9, 16, v9, vcc
	s_waitcnt lgkmcnt(0)
	v_mov_b32_e32 v11, s13
	v_add_co_u32_e32 v30, vcc, s12, v30
	v_addc_co_u32_e32 v31, vcc, v11, v31, vcc
	global_store_dword v[30:31], v9, off
	v_ashrrev_i32_e32 v9, 31, v8
	v_lshlrev_b64 v[30:31], 2, v[8:9]
	v_mov_b32_e32 v9, s15
	v_add_co_u32_e32 v30, vcc, s14, v30
	v_addc_co_u32_e32 v31, vcc, v9, v31, vcc
	global_store_dword v[30:31], v14, off
.LBB44_9:
	s_or_b64 exec, exec, s[4:5]
	v_ashrrev_i32_e32 v11, 31, v28
	v_lshrrev_b32_e32 v9, 29, v11
	v_add_u32_e32 v13, v28, v9
	v_ashrrev_i32_e32 v9, 3, v13
	v_lshrrev_b32_e32 v13, 31, v13
	v_add_u32_e32 v13, v9, v13
	v_and_b32_e32 v13, -2, v13
	v_sub_u32_e32 v13, v9, v13
	v_cmp_eq_u32_e32 vcc, v16, v13
	s_and_saveexec_b64 s[2:3], vcc
	s_cbranch_execz .LBB44_11
; %bb.10:
	v_lshrrev_b32_e32 v11, 28, v11
	v_add_u32_e32 v11, v28, v11
	v_lshlrev_b32_e32 v9, 3, v9
	v_ashrrev_i32_e32 v11, 4, v11
	v_sub_u32_e32 v9, v28, v9
	v_lshl_add_u32 v9, v11, 3, v9
	v_mov_b32_e32 v11, 0xff800000
	v_cmp_ne_u32_e32 vcc, 7, v9
	v_cndmask_b32_e32 v3, v11, v3, vcc
	v_cmp_ne_u32_e32 vcc, 6, v9
	v_cndmask_b32_e32 v2, v11, v2, vcc
	;; [unrolled: 2-line block ×8, first 2 shown]
.LBB44_11:
	s_or_b64 exec, exec, s[2:3]
	s_cmp_eq_u32 s8, 1
	s_cbranch_scc1 .LBB44_18
; %bb.12:
	s_add_i32 s23, s23, s22
	s_add_i32 s20, s8, -1
	v_add3_u32 v23, s23, v24, v23
	v_add_u32_e32 v8, 1, v8
	v_add_u32_e32 v10, 1, v10
	;; [unrolled: 1-line block ×3, first 2 shown]
	s_mov_b32 s21, 0x3fb8aa3b
	s_mov_b32 s23, 0xc2ce8ed0
	;; [unrolled: 1-line block ×3, first 2 shown]
	v_mov_b32_e32 v24, 0x7f800000
	v_mov_b32_e32 v28, 0xff800000
	s_branch .LBB44_14
.LBB44_13:                              ;   in Loop: Header=BB44_14 Depth=1
	s_or_b64 exec, exec, s[2:3]
	s_add_i32 s20, s20, -1
	v_add_u32_e32 v23, s22, v23
	v_add_u32_e32 v8, 1, v8
	;; [unrolled: 1-line block ×3, first 2 shown]
	s_cmp_eq_u32 s20, 0
	v_add_u32_e32 v12, 1, v12
	s_cbranch_scc1 .LBB44_18
.LBB44_14:                              ; =>This Inner Loop Header: Depth=1
	v_cmp_gt_f32_e32 vcc, v5, v4
	v_cndmask_b32_e32 v11, v4, v5, vcc
	v_cndmask_b32_e32 v9, v18, v19, vcc
	v_cmp_gt_f32_e32 vcc, v6, v11
	v_cndmask_b32_e32 v11, v11, v6, vcc
	v_cndmask_b32_e32 v9, v9, v20, vcc
	;; [unrolled: 3-line block ×7, first 2 shown]
	s_nop 0
	v_mov_b32_dpp v29, v13 quad_perm:[1,0,3,2] row_mask:0xf bank_mask:0xf
	v_mov_b32_dpp v11, v9 quad_perm:[1,0,3,2] row_mask:0xf bank_mask:0xf
	v_cmp_eq_f32_e64 s[2:3], v9, v11
	v_cmp_lt_i32_e64 s[4:5], v29, v13
	v_cmp_lt_f32_e32 vcc, v9, v11
	s_and_b64 s[2:3], s[2:3], s[4:5]
	s_or_b64 vcc, vcc, s[2:3]
	v_cndmask_b32_e32 v29, v13, v29, vcc
	s_and_saveexec_b64 s[4:5], s[0:1]
	s_cbranch_execz .LBB44_16
; %bb.15:                               ;   in Loop: Header=BB44_14 Depth=1
	v_cndmask_b32_e32 v9, v9, v11, vcc
	v_sub_f32_e32 v9, v9, v17
	v_mul_f32_e32 v11, 0x3fb8aa3b, v9
	v_fma_f32 v13, v9, s21, -v11
	v_rndne_f32_e32 v30, v11
	v_fmac_f32_e32 v13, 0x32a5705f, v9
	v_sub_f32_e32 v11, v11, v30
	v_add_f32_e32 v11, v11, v13
	v_exp_f32_e32 v11, v11
	v_cvt_i32_f32_e32 v13, v30
	v_cmp_le_i32_e32 vcc, s9, v29
	v_cmp_gt_i32_e64 s[2:3], s10, v29
	s_and_b64 s[2:3], vcc, s[2:3]
	v_ldexp_f32 v11, v11, v13
	v_cmp_ngt_f32_e32 vcc, s23, v9
	v_ashrrev_i32_e32 v13, 31, v12
	v_cndmask_b32_e32 v11, 0, v11, vcc
	v_cmp_nlt_f32_e32 vcc, s24, v9
	v_lshlrev_b64 v[30:31], 2, v[12:13]
	v_cndmask_b32_e32 v32, v24, v11, vcc
	v_mov_b32_e32 v9, s17
	v_add_co_u32_e32 v30, vcc, s16, v30
	v_addc_co_u32_e32 v31, vcc, v9, v31, vcc
	v_ashrrev_i32_e32 v11, 31, v10
	global_store_dword v[30:31], v32, off
	v_subrev_u32_e32 v9, s9, v29
	s_and_b64 vcc, s[18:19], s[2:3]
	v_lshlrev_b64 v[30:31], 2, v[10:11]
	v_cndmask_b32_e32 v9, 16, v9, vcc
	s_waitcnt lgkmcnt(0)
	v_mov_b32_e32 v11, s13
	v_add_co_u32_e32 v30, vcc, s12, v30
	v_addc_co_u32_e32 v31, vcc, v11, v31, vcc
	global_store_dword v[30:31], v9, off
	v_ashrrev_i32_e32 v9, 31, v8
	v_lshlrev_b64 v[30:31], 2, v[8:9]
	v_mov_b32_e32 v9, s15
	v_add_co_u32_e32 v30, vcc, s14, v30
	v_addc_co_u32_e32 v31, vcc, v9, v31, vcc
	v_add_f32_e32 v15, v15, v32
	global_store_dword v[30:31], v23, off
.LBB44_16:                              ;   in Loop: Header=BB44_14 Depth=1
	s_or_b64 exec, exec, s[4:5]
	v_ashrrev_i32_e32 v11, 31, v29
	v_lshrrev_b32_e32 v9, 29, v11
	v_add_u32_e32 v13, v29, v9
	v_ashrrev_i32_e32 v9, 3, v13
	v_lshrrev_b32_e32 v13, 31, v13
	v_add_u32_e32 v13, v9, v13
	v_and_b32_e32 v13, -2, v13
	v_sub_u32_e32 v13, v9, v13
	v_cmp_eq_u32_e32 vcc, v16, v13
	s_and_saveexec_b64 s[2:3], vcc
	s_cbranch_execz .LBB44_13
; %bb.17:                               ;   in Loop: Header=BB44_14 Depth=1
	v_lshrrev_b32_e32 v11, 28, v11
	v_add_u32_e32 v11, v29, v11
	v_lshlrev_b32_e32 v9, 3, v9
	v_ashrrev_i32_e32 v11, 4, v11
	v_sub_u32_e32 v9, v29, v9
	v_lshl_add_u32 v9, v11, 3, v9
	v_cmp_ne_u32_e32 vcc, 7, v9
	v_cndmask_b32_e32 v3, v28, v3, vcc
	v_cmp_ne_u32_e32 vcc, 6, v9
	v_cndmask_b32_e32 v2, v28, v2, vcc
	v_cmp_ne_u32_e32 vcc, 5, v9
	v_cndmask_b32_e32 v1, v28, v1, vcc
	v_cmp_ne_u32_e32 vcc, 4, v9
	v_cndmask_b32_e32 v0, v28, v0, vcc
	v_cmp_ne_u32_e32 vcc, 3, v9
	v_cndmask_b32_e32 v7, v28, v7, vcc
	v_cmp_ne_u32_e32 vcc, 2, v9
	v_cndmask_b32_e32 v6, v28, v6, vcc
	v_cmp_ne_u32_e32 vcc, 1, v9
	v_cndmask_b32_e32 v5, v28, v5, vcc
	v_cmp_ne_u32_e32 vcc, 0, v9
	v_cndmask_b32_e32 v4, v28, v4, vcc
	s_branch .LBB44_13
.LBB44_18:
	v_sub_f32_e32 v4, v4, v17
	s_mov_b32 s2, 0x3fb8aa3b
	v_mul_f32_e32 v8, 0x3fb8aa3b, v4
	v_fma_f32 v9, v4, s2, -v8
	v_rndne_f32_e32 v10, v8
	v_fmac_f32_e32 v9, 0x32a5705f, v4
	v_sub_f32_e32 v8, v8, v10
	v_add_f32_e32 v8, v8, v9
	v_exp_f32_e32 v8, v8
	v_cvt_i32_f32_e32 v9, v10
	v_sub_f32_e32 v5, v5, v17
	s_mov_b32 s3, 0xc2ce8ed0
	v_cmp_ngt_f32_e32 vcc, s3, v4
	v_ldexp_f32 v8, v8, v9
	v_mul_f32_e32 v9, 0x3fb8aa3b, v5
	v_fma_f32 v10, v5, s2, -v9
	v_rndne_f32_e32 v11, v9
	v_fmac_f32_e32 v10, 0x32a5705f, v5
	v_sub_f32_e32 v9, v9, v11
	v_add_f32_e32 v9, v9, v10
	v_exp_f32_e32 v9, v9
	v_cvt_i32_f32_e32 v10, v11
	s_mov_b32 s4, 0x42b17218
	v_cndmask_b32_e32 v8, 0, v8, vcc
	v_mov_b32_e32 v11, 0x7f800000
	v_cmp_nlt_f32_e32 vcc, s4, v4
	v_sub_f32_e32 v6, v6, v17
	v_cndmask_b32_e32 v4, v11, v8, vcc
	v_ldexp_f32 v8, v9, v10
	v_mul_f32_e32 v9, 0x3fb8aa3b, v6
	v_fma_f32 v10, v6, s2, -v9
	v_rndne_f32_e32 v12, v9
	v_fmac_f32_e32 v10, 0x32a5705f, v6
	v_sub_f32_e32 v9, v9, v12
	v_add_f32_e32 v9, v9, v10
	v_exp_f32_e32 v9, v9
	v_cvt_i32_f32_e32 v10, v12
	v_cmp_ngt_f32_e32 vcc, s3, v5
	v_cndmask_b32_e32 v8, 0, v8, vcc
	v_cmp_nlt_f32_e32 vcc, s4, v5
	v_sub_f32_e32 v7, v7, v17
	v_cndmask_b32_e32 v5, v11, v8, vcc
	v_mul_f32_e32 v8, 0x3fb8aa3b, v7
	v_add_f32_e32 v4, v4, v5
	v_ldexp_f32 v5, v9, v10
	v_fma_f32 v9, v7, s2, -v8
	v_rndne_f32_e32 v10, v8
	v_fmac_f32_e32 v9, 0x32a5705f, v7
	v_sub_f32_e32 v8, v8, v10
	v_add_f32_e32 v8, v8, v9
	v_exp_f32_e32 v8, v8
	v_cvt_i32_f32_e32 v9, v10
	v_cmp_ngt_f32_e32 vcc, s3, v6
	v_cndmask_b32_e32 v5, 0, v5, vcc
	v_cmp_nlt_f32_e32 vcc, s4, v6
	v_sub_f32_e32 v0, v0, v17
	v_cndmask_b32_e32 v5, v11, v5, vcc
	v_mul_f32_e32 v6, 0x3fb8aa3b, v0
	v_add_f32_e32 v4, v4, v5
	v_ldexp_f32 v5, v8, v9
	v_fma_f32 v8, v0, s2, -v6
	v_rndne_f32_e32 v9, v6
	v_fmac_f32_e32 v8, 0x32a5705f, v0
	v_sub_f32_e32 v6, v6, v9
	v_add_f32_e32 v6, v6, v8
	v_exp_f32_e32 v6, v6
	v_cvt_i32_f32_e32 v8, v9
	v_cmp_ngt_f32_e32 vcc, s3, v7
	v_cndmask_b32_e32 v5, 0, v5, vcc
	v_cmp_nlt_f32_e32 vcc, s4, v7
	v_cndmask_b32_e32 v5, v11, v5, vcc
	v_sub_f32_e32 v1, v1, v17
	v_add_f32_e32 v4, v4, v5
	v_ldexp_f32 v5, v6, v8
	v_mul_f32_e32 v6, 0x3fb8aa3b, v1
	v_fma_f32 v7, v1, s2, -v6
	v_rndne_f32_e32 v8, v6
	v_fmac_f32_e32 v7, 0x32a5705f, v1
	v_sub_f32_e32 v6, v6, v8
	v_add_f32_e32 v6, v6, v7
	v_exp_f32_e32 v6, v6
	v_cvt_i32_f32_e32 v7, v8
	v_cmp_ngt_f32_e32 vcc, s3, v0
	v_cndmask_b32_e32 v5, 0, v5, vcc
	v_cmp_nlt_f32_e32 vcc, s4, v0
	v_sub_f32_e32 v2, v2, v17
	v_cndmask_b32_e32 v0, v11, v5, vcc
	v_mul_f32_e32 v5, 0x3fb8aa3b, v2
	v_add_f32_e32 v0, v4, v0
	v_ldexp_f32 v4, v6, v7
	v_fma_f32 v6, v2, s2, -v5
	v_rndne_f32_e32 v7, v5
	v_fmac_f32_e32 v6, 0x32a5705f, v2
	v_sub_f32_e32 v5, v5, v7
	v_add_f32_e32 v5, v5, v6
	v_exp_f32_e32 v5, v5
	v_cvt_i32_f32_e32 v6, v7
	v_cmp_ngt_f32_e32 vcc, s3, v1
	v_cndmask_b32_e32 v4, 0, v4, vcc
	v_cmp_nlt_f32_e32 vcc, s4, v1
	v_sub_f32_e32 v3, v3, v17
	v_cndmask_b32_e32 v1, v11, v4, vcc
	v_mul_f32_e32 v4, 0x3fb8aa3b, v3
	v_add_f32_e32 v0, v0, v1
	v_ldexp_f32 v1, v5, v6
	v_fma_f32 v5, v3, s2, -v4
	v_rndne_f32_e32 v6, v4
	v_fmac_f32_e32 v5, 0x32a5705f, v3
	v_sub_f32_e32 v4, v4, v6
	v_add_f32_e32 v4, v4, v5
	v_exp_f32_e32 v4, v4
	v_cvt_i32_f32_e32 v5, v6
	v_cmp_ngt_f32_e32 vcc, s3, v2
	v_cndmask_b32_e32 v1, 0, v1, vcc
	v_cmp_nlt_f32_e32 vcc, s4, v2
	v_cndmask_b32_e32 v1, v11, v1, vcc
	v_add_f32_e32 v0, v0, v1
	v_ldexp_f32 v1, v4, v5
	v_cmp_ngt_f32_e32 vcc, s3, v3
	v_cndmask_b32_e32 v1, 0, v1, vcc
	v_cmp_nlt_f32_e32 vcc, s4, v3
	v_cndmask_b32_e32 v1, v11, v1, vcc
	v_add_f32_e32 v0, v0, v1
	s_nop 1
	v_mov_b32_dpp v1, v0 quad_perm:[1,0,3,2] row_mask:0xf bank_mask:0xf
	s_and_b64 exec, exec, s[0:1]
	s_cbranch_execz .LBB44_31
; %bb.19:
	v_add_f32_e32 v0, v0, v1
	v_add_f32_e32 v0, v15, v0
	v_cmp_neq_f32_e32 vcc, 0, v0
	s_and_b64 exec, exec, vcc
	s_cbranch_execz .LBB44_31
; %bb.20:
	s_andn2_b64 vcc, exec, s[6:7]
	s_cbranch_vccnz .LBB44_31
; %bb.21:
	v_div_scale_f32 v1, s[0:1], v0, v0, 1.0
	v_rcp_f32_e32 v2, v1
	v_div_scale_f32 v3, vcc, 1.0, v0, 1.0
	s_cmp_gt_u32 s8, 3
	v_fma_f32 v4, -v1, v2, 1.0
	v_fmac_f32_e32 v2, v4, v2
	v_mul_f32_e32 v4, v3, v2
	v_fma_f32 v5, -v1, v4, v3
	v_fmac_f32_e32 v4, v5, v2
	v_fma_f32 v1, -v1, v4, v3
	v_div_fmas_f32 v1, v1, v2, v4
	v_mul_lo_u32 v2, v14, s11
	v_div_fixup_f32 v0, v1, v0, 1.0
	v_ashrrev_i32_e32 v3, 31, v2
	s_cbranch_scc0 .LBB44_25
; %bb.22:
	v_lshlrev_b64 v[4:5], 2, v[2:3]
	v_mov_b32_e32 v6, s17
	v_add_co_u32_e32 v4, vcc, s16, v4
	v_addc_co_u32_e32 v5, vcc, v5, v6, vcc
	s_and_b32 s4, s8, 0x7ffffffc
	v_add_co_u32_e32 v4, vcc, 8, v4
	v_mov_b32_e32 v1, v0
	v_addc_co_u32_e32 v5, vcc, 0, v5, vcc
	s_mov_b32 s0, s4
.LBB44_23:                              ; =>This Inner Loop Header: Depth=1
	global_load_dwordx4 v[6:9], v[4:5], off offset:-8
	s_add_i32 s0, s0, -4
	s_cmp_lg_u32 s0, 0
	s_waitcnt vmcnt(0)
	v_pk_mul_f32 v[6:7], v[0:1], v[6:7]
	v_pk_mul_f32 v[8:9], v[0:1], v[8:9]
	global_store_dwordx4 v[4:5], v[6:9], off offset:-8
	v_add_co_u32_e32 v4, vcc, 16, v4
	v_addc_co_u32_e32 v5, vcc, 0, v5, vcc
	s_cbranch_scc1 .LBB44_23
; %bb.24:
	s_cmp_lg_u32 s4, s8
	s_mov_b64 s[2:3], 0
	s_cselect_b64 s[0:1], -1, 0
	s_branch .LBB44_26
.LBB44_25:
	s_mov_b64 s[2:3], -1
	s_mov_b64 s[0:1], 0
                                        ; implicit-def: $sgpr4
.LBB44_26:
	s_and_b64 vcc, exec, s[2:3]
	s_cbranch_vccz .LBB44_28
; %bb.27:
	s_mov_b64 s[0:1], -1
	s_mov_b32 s4, 0
.LBB44_28:
	s_andn2_b64 vcc, exec, s[0:1]
	s_cbranch_vccnz .LBB44_31
; %bb.29:
	v_add_co_u32_e32 v2, vcc, s4, v2
	v_addc_co_u32_e32 v3, vcc, 0, v3, vcc
	v_lshlrev_b64 v[2:3], 2, v[2:3]
	v_mov_b32_e32 v1, s17
	v_add_co_u32_e32 v2, vcc, s16, v2
	s_sub_i32 s0, s8, s4
	v_addc_co_u32_e32 v3, vcc, v1, v3, vcc
.LBB44_30:                              ; =>This Inner Loop Header: Depth=1
	global_load_dword v1, v[2:3], off
	s_add_i32 s0, s0, -1
	s_cmp_lg_u32 s0, 0
	s_waitcnt vmcnt(0)
	v_mul_f32_e32 v1, v0, v1
	global_store_dword v[2:3], v1, off
	v_add_co_u32_e32 v2, vcc, 4, v2
	v_addc_co_u32_e32 v3, vcc, 0, v3, vcc
	s_cbranch_scc1 .LBB44_30
.LBB44_31:
	s_endpgm
	.section	.rodata,"a",@progbits
	.p2align	6, 0x0
	.amdhsa_kernel _ZN4vllm3moe17topkGatingSoftmaxIfLi8ELi16ELi8ELi32ELb0ELi1ELNS0_23SharedExpertScoringFuncE1EEEvPKT_PKbPfiPiS9_iiiiii
		.amdhsa_group_segment_fixed_size 0
		.amdhsa_private_segment_fixed_size 0
		.amdhsa_kernarg_size 72
		.amdhsa_user_sgpr_count 6
		.amdhsa_user_sgpr_private_segment_buffer 1
		.amdhsa_user_sgpr_dispatch_ptr 0
		.amdhsa_user_sgpr_queue_ptr 0
		.amdhsa_user_sgpr_kernarg_segment_ptr 1
		.amdhsa_user_sgpr_dispatch_id 0
		.amdhsa_user_sgpr_flat_scratch_init 0
		.amdhsa_user_sgpr_kernarg_preload_length 0
		.amdhsa_user_sgpr_kernarg_preload_offset 0
		.amdhsa_user_sgpr_private_segment_size 0
		.amdhsa_uses_dynamic_stack 0
		.amdhsa_system_sgpr_private_segment_wavefront_offset 0
		.amdhsa_system_sgpr_workgroup_id_x 1
		.amdhsa_system_sgpr_workgroup_id_y 0
		.amdhsa_system_sgpr_workgroup_id_z 0
		.amdhsa_system_sgpr_workgroup_info 0
		.amdhsa_system_vgpr_workitem_id 1
		.amdhsa_next_free_vgpr 33
		.amdhsa_next_free_sgpr 25
		.amdhsa_accum_offset 36
		.amdhsa_reserve_vcc 1
		.amdhsa_reserve_flat_scratch 0
		.amdhsa_float_round_mode_32 0
		.amdhsa_float_round_mode_16_64 0
		.amdhsa_float_denorm_mode_32 3
		.amdhsa_float_denorm_mode_16_64 3
		.amdhsa_dx10_clamp 1
		.amdhsa_ieee_mode 1
		.amdhsa_fp16_overflow 0
		.amdhsa_tg_split 0
		.amdhsa_exception_fp_ieee_invalid_op 0
		.amdhsa_exception_fp_denorm_src 0
		.amdhsa_exception_fp_ieee_div_zero 0
		.amdhsa_exception_fp_ieee_overflow 0
		.amdhsa_exception_fp_ieee_underflow 0
		.amdhsa_exception_fp_ieee_inexact 0
		.amdhsa_exception_int_div_zero 0
	.end_amdhsa_kernel
	.section	.text._ZN4vllm3moe17topkGatingSoftmaxIfLi8ELi16ELi8ELi32ELb0ELi1ELNS0_23SharedExpertScoringFuncE1EEEvPKT_PKbPfiPiS9_iiiiii,"axG",@progbits,_ZN4vllm3moe17topkGatingSoftmaxIfLi8ELi16ELi8ELi32ELb0ELi1ELNS0_23SharedExpertScoringFuncE1EEEvPKT_PKbPfiPiS9_iiiiii,comdat
.Lfunc_end44:
	.size	_ZN4vllm3moe17topkGatingSoftmaxIfLi8ELi16ELi8ELi32ELb0ELi1ELNS0_23SharedExpertScoringFuncE1EEEvPKT_PKbPfiPiS9_iiiiii, .Lfunc_end44-_ZN4vllm3moe17topkGatingSoftmaxIfLi8ELi16ELi8ELi32ELb0ELi1ELNS0_23SharedExpertScoringFuncE1EEEvPKT_PKbPfiPiS9_iiiiii
                                        ; -- End function
	.section	.AMDGPU.csdata,"",@progbits
; Kernel info:
; codeLenInByte = 2720
; NumSgprs: 29
; NumVgprs: 33
; NumAgprs: 0
; TotalNumVgprs: 33
; ScratchSize: 0
; MemoryBound: 0
; FloatMode: 240
; IeeeMode: 1
; LDSByteSize: 0 bytes/workgroup (compile time only)
; SGPRBlocks: 3
; VGPRBlocks: 4
; NumSGPRsForWavesPerEU: 29
; NumVGPRsForWavesPerEU: 33
; AccumOffset: 36
; Occupancy: 8
; WaveLimiterHint : 0
; COMPUTE_PGM_RSRC2:SCRATCH_EN: 0
; COMPUTE_PGM_RSRC2:USER_SGPR: 6
; COMPUTE_PGM_RSRC2:TRAP_HANDLER: 0
; COMPUTE_PGM_RSRC2:TGID_X_EN: 1
; COMPUTE_PGM_RSRC2:TGID_Y_EN: 0
; COMPUTE_PGM_RSRC2:TGID_Z_EN: 0
; COMPUTE_PGM_RSRC2:TIDIG_COMP_CNT: 1
; COMPUTE_PGM_RSRC3_GFX90A:ACCUM_OFFSET: 8
; COMPUTE_PGM_RSRC3_GFX90A:TG_SPLIT: 0
	.section	.text._ZN4vllm3moe17topkGatingSoftmaxIfLi8ELi16ELi8ELi32ELb1ELi2ELNS0_23SharedExpertScoringFuncE1EEEvPKT_PKbPfiPiS9_iiiiii,"axG",@progbits,_ZN4vllm3moe17topkGatingSoftmaxIfLi8ELi16ELi8ELi32ELb1ELi2ELNS0_23SharedExpertScoringFuncE1EEEvPKT_PKbPfiPiS9_iiiiii,comdat
	.protected	_ZN4vllm3moe17topkGatingSoftmaxIfLi8ELi16ELi8ELi32ELb1ELi2ELNS0_23SharedExpertScoringFuncE1EEEvPKT_PKbPfiPiS9_iiiiii ; -- Begin function _ZN4vllm3moe17topkGatingSoftmaxIfLi8ELi16ELi8ELi32ELb1ELi2ELNS0_23SharedExpertScoringFuncE1EEEvPKT_PKbPfiPiS9_iiiiii
	.globl	_ZN4vllm3moe17topkGatingSoftmaxIfLi8ELi16ELi8ELi32ELb1ELi2ELNS0_23SharedExpertScoringFuncE1EEEvPKT_PKbPfiPiS9_iiiiii
	.p2align	8
	.type	_ZN4vllm3moe17topkGatingSoftmaxIfLi8ELi16ELi8ELi32ELb1ELi2ELNS0_23SharedExpertScoringFuncE1EEEvPKT_PKbPfiPiS9_iiiiii,@function
_ZN4vllm3moe17topkGatingSoftmaxIfLi8ELi16ELi8ELi32ELb1ELi2ELNS0_23SharedExpertScoringFuncE1EEEvPKT_PKbPfiPiS9_iiiiii: ; @_ZN4vllm3moe17topkGatingSoftmaxIfLi8ELi16ELi8ELi32ELb1ELi2ELNS0_23SharedExpertScoringFuncE1EEEvPKT_PKbPfiPiS9_iiiiii
; %bb.0:
	s_load_dword s24, s[4:5], 0x18
	v_bfe_u32 v1, v0, 10, 10
	v_and_b32_e32 v0, 0x3ff, v0
	s_lshl_b32 s25, s6, 8
	v_lshlrev_b32_e32 v14, 5, v1
	v_lshrrev_b32_e32 v15, 1, v0
	v_add3_u32 v27, s25, v14, v15
	s_waitcnt lgkmcnt(0)
	v_cmp_gt_i32_e32 vcc, s24, v27
	s_and_saveexec_b64 s[0:1], vcc
	s_cbranch_execz .LBB45_27
; %bb.1:
	s_load_dwordx4 s[0:3], s[4:5], 0x0
	s_load_dwordx2 s[16:17], s[4:5], 0x10
	s_waitcnt lgkmcnt(0)
	s_cmp_eq_u64 s[2:3], 0
	s_cbranch_scc1 .LBB45_3
; %bb.2:
	v_ashrrev_i32_e32 v1, 31, v27
	v_mov_b32_e32 v3, s3
	v_add_co_u32_e32 v2, vcc, s2, v27
	v_addc_co_u32_e32 v3, vcc, v3, v1, vcc
	global_load_ubyte v1, v[2:3], off
	s_waitcnt vmcnt(0)
	v_and_b32_e32 v1, 1, v1
	v_cmp_eq_u32_e32 vcc, 1, v1
	s_xor_b64 s[2:3], vcc, -1
	s_orn2_b64 s[18:19], s[2:3], exec
	s_branch .LBB45_4
.LBB45_3:
	s_mov_b64 s[18:19], -1
.LBB45_4:
	s_load_dwordx2 s[22:23], s[4:5], 0x40
	s_load_dwordx4 s[8:11], s[4:5], 0x30
	v_mov_b32_e32 v1, s1
	v_and_b32_e32 v16, 1, v0
	v_lshlrev_b32_e32 v0, 5, v16
	s_waitcnt lgkmcnt(0)
	v_mul_lo_u32 v2, v27, s23
	v_ashrrev_i32_e32 v3, 31, v2
	v_lshlrev_b64 v[2:3], 2, v[2:3]
	v_add_co_u32_e32 v2, vcc, s0, v2
	v_addc_co_u32_e32 v1, vcc, v1, v3, vcc
	v_add_co_u32_e32 v8, vcc, v2, v0
	v_addc_co_u32_e32 v9, vcc, 0, v1, vcc
	v_lshlrev_b32_e32 v0, 2, v16
	v_add_co_u32_e32 v10, vcc, v2, v0
	v_addc_co_u32_e32 v11, vcc, 0, v1, vcc
	global_load_dword v12, v[10:11], off offset:64
	global_load_dwordx4 v[0:3], v[8:9], off
	global_load_dwordx4 v[4:7], v[8:9], off offset:16
	v_mul_lo_u32 v8, v27, s11
	v_add3_u32 v10, v8, s8, v16
	v_ashrrev_i32_e32 v11, 31, v10
	v_lshlrev_b64 v[10:11], 2, v[10:11]
	v_mov_b32_e32 v13, s17
	v_add_co_u32_e32 v28, vcc, s16, v10
	v_addc_co_u32_e32 v29, vcc, v13, v11, vcc
	s_mov_b32 s0, 0xbfb8aa3b
	v_lshlrev_b32_e32 v18, 3, v16
	v_or_b32_e32 v19, 1, v18
	v_or_b32_e32 v20, 2, v18
	;; [unrolled: 1-line block ×3, first 2 shown]
	s_mov_b32 s1, 0x42ce8ed0
	v_or_b32_e32 v22, 4, v18
	s_mov_b32 s2, 0xc2b17218
	v_or_b32_e32 v23, 5, v18
	v_mov_b32_e32 v9, 0x7f800000
	v_or_b32_e32 v24, 6, v18
	v_or_b32_e32 v25, 7, v18
	s_cmp_gt_i32 s8, 0
	v_mov_b32_e32 v17, 0
	s_cselect_b64 s[20:21], -1, 0
	s_cmp_lt_i32 s8, 1
	s_waitcnt vmcnt(2)
	v_mul_f32_e32 v10, 0xbfb8aa3b, v12
	s_waitcnt vmcnt(1)
	v_cmp_lt_f32_e32 vcc, v0, v1
	v_fma_f32 v13, v12, s0, -v10
	v_rndne_f32_e32 v26, v10
	v_cndmask_b32_e32 v30, v0, v1, vcc
	v_cndmask_b32_e32 v11, v18, v19, vcc
	v_fmac_f32_e32 v13, 0xb2a5705f, v12
	v_sub_f32_e32 v10, v10, v26
	v_cmp_lt_f32_e32 vcc, v30, v2
	v_add_f32_e32 v10, v10, v13
	v_cndmask_b32_e32 v13, v30, v2, vcc
	v_cvt_i32_f32_e32 v26, v26
	v_cndmask_b32_e32 v11, v11, v20, vcc
	v_exp_f32_e32 v10, v10
	v_cmp_lt_f32_e32 vcc, v13, v3
	v_cndmask_b32_e32 v13, v13, v3, vcc
	v_cndmask_b32_e32 v11, v11, v21, vcc
	s_waitcnt vmcnt(0)
	v_cmp_lt_f32_e32 vcc, v13, v4
	v_cndmask_b32_e32 v13, v13, v4, vcc
	v_cndmask_b32_e32 v11, v11, v22, vcc
	v_ldexp_f32 v10, v10, v26
	v_cmp_lt_f32_e32 vcc, v13, v5
	v_cmp_nlt_f32_e64 s[0:1], s1, v12
	v_cndmask_b32_e32 v11, v11, v23, vcc
	v_cndmask_b32_e64 v10, 0, v10, s[0:1]
	v_cndmask_b32_e32 v13, v13, v5, vcc
	v_cmp_ngt_f32_e32 vcc, s2, v12
	v_cndmask_b32_e32 v9, v9, v10, vcc
	v_cmp_lt_f32_e32 vcc, v13, v6
	v_add_f32_e32 v26, 1.0, v9
	v_cndmask_b32_e32 v9, v13, v6, vcc
	v_div_scale_f32 v13, s[0:1], v26, v26, 1.0
	v_rcp_f32_e32 v31, v13
	v_cndmask_b32_e32 v10, v11, v24, vcc
	v_div_scale_f32 v30, vcc, 1.0, v26, 1.0
	v_fma_f32 v32, -v13, v31, 1.0
	v_fmac_f32_e32 v31, v32, v31
	v_mul_f32_e32 v32, v30, v31
	v_fma_f32 v33, -v13, v32, v30
	v_fmac_f32_e32 v32, v33, v31
	v_cmp_lt_f32_e64 s[0:1], v9, v7
	v_fma_f32 v13, -v13, v32, v30
	v_cndmask_b32_e64 v10, v10, v25, s[0:1]
	v_cndmask_b32_e64 v9, v9, v7, s[0:1]
	v_div_fmas_f32 v13, v13, v31, v32
	v_mov_b32_dpp v12, v10 quad_perm:[1,0,3,2] row_mask:0xf bank_mask:0xf
	v_mov_b32_dpp v11, v9 quad_perm:[1,0,3,2] row_mask:0xf bank_mask:0xf
	v_div_fixup_f32 v13, v13, v26, 1.0
	v_cmp_eq_u32_e32 vcc, 0, v16
	global_store_dword v[28:29], v13, off
	s_cbranch_scc1 .LBB45_16
; %bb.5:
	s_load_dwordx4 s[12:15], s[4:5], 0x20
	v_cmp_eq_f32_e64 s[2:3], v9, v11
	v_cmp_lt_i32_e64 s[6:7], v12, v10
	v_cmp_lt_f32_e64 s[0:1], v9, v11
	s_and_b64 s[2:3], s[2:3], s[6:7]
	s_or_b64 s[0:1], s[0:1], s[2:3]
	v_cndmask_b32_e64 v28, v10, v12, s[0:1]
	v_cndmask_b32_e64 v26, v9, v11, s[0:1]
	v_mul_lo_u32 v12, v27, s22
	v_mul_lo_u32 v10, v27, s8
	v_mov_b32_e32 v17, 0
	s_and_saveexec_b64 s[4:5], vcc
	s_cbranch_execz .LBB45_7
; %bb.6:
	v_sub_f32_e32 v9, v26, v26
	v_mul_f32_e32 v11, 0x3fb8aa3b, v9
	s_mov_b32 s0, 0x3fb8aa3b
	v_rndne_f32_e32 v13, v11
	v_sub_f32_e32 v17, v11, v13
	v_fma_f32 v11, v9, s0, -v11
	v_fmac_f32_e32 v11, 0x32a5705f, v9
	v_add_f32_e32 v11, v17, v11
	v_exp_f32_e32 v11, v11
	v_cvt_i32_f32_e32 v13, v13
	v_cmp_le_i32_e64 s[0:1], s9, v28
	v_cmp_gt_i32_e64 s[2:3], s10, v28
	s_and_b64 s[2:3], s[0:1], s[2:3]
	s_mov_b32 s0, 0xc2ce8ed0
	v_ldexp_f32 v11, v11, v13
	v_cmp_ngt_f32_e64 s[0:1], s0, v9
	v_cndmask_b32_e64 v11, 0, v11, s[0:1]
	s_mov_b32 s0, 0x42b17218
	v_cmp_nlt_f32_e64 s[0:1], s0, v9
	v_ashrrev_i32_e32 v9, 31, v8
	v_mov_b32_e32 v13, 0x7f800000
	v_lshlrev_b64 v[30:31], 2, v[8:9]
	v_cndmask_b32_e64 v17, v13, v11, s[0:1]
	v_mov_b32_e32 v9, s17
	v_add_co_u32_e64 v30, s[0:1], s16, v30
	v_addc_co_u32_e64 v31, s[0:1], v9, v31, s[0:1]
	v_ashrrev_i32_e32 v13, 31, v12
	global_store_dword v[30:31], v17, off
	v_subrev_u32_e32 v9, s9, v28
	s_and_b64 s[0:1], s[18:19], s[2:3]
	v_lshlrev_b64 v[30:31], 2, v[12:13]
	v_cndmask_b32_e64 v9, 16, v9, s[0:1]
	s_waitcnt lgkmcnt(0)
	v_mov_b32_e32 v11, s13
	v_add_co_u32_e64 v30, s[0:1], s12, v30
	v_addc_co_u32_e64 v31, s[0:1], v11, v31, s[0:1]
	v_ashrrev_i32_e32 v11, 31, v10
	global_store_dword v[30:31], v9, off
	v_lshlrev_b64 v[30:31], 2, v[10:11]
	v_mov_b32_e32 v9, s15
	v_add_co_u32_e64 v30, s[0:1], s14, v30
	v_addc_co_u32_e64 v31, s[0:1], v9, v31, s[0:1]
	global_store_dword v[30:31], v27, off
.LBB45_7:
	s_or_b64 exec, exec, s[4:5]
	v_ashrrev_i32_e32 v11, 31, v28
	v_lshrrev_b32_e32 v9, 29, v11
	v_add_u32_e32 v13, v28, v9
	v_ashrrev_i32_e32 v9, 3, v13
	v_lshrrev_b32_e32 v13, 31, v13
	v_add_u32_e32 v13, v9, v13
	v_and_b32_e32 v13, -2, v13
	v_sub_u32_e32 v13, v9, v13
	v_cmp_eq_u32_e64 s[0:1], v16, v13
	s_and_saveexec_b64 s[2:3], s[0:1]
	s_cbranch_execz .LBB45_9
; %bb.8:
	v_lshrrev_b32_e32 v11, 28, v11
	v_add_u32_e32 v11, v28, v11
	v_lshlrev_b32_e32 v9, 3, v9
	v_ashrrev_i32_e32 v11, 4, v11
	v_sub_u32_e32 v9, v28, v9
	v_lshl_add_u32 v9, v11, 3, v9
	v_mov_b32_e32 v11, 0xff800000
	v_cmp_ne_u32_e64 s[0:1], 7, v9
	v_cndmask_b32_e64 v7, v11, v7, s[0:1]
	v_cmp_ne_u32_e64 s[0:1], 6, v9
	v_cndmask_b32_e64 v6, v11, v6, s[0:1]
	;; [unrolled: 2-line block ×8, first 2 shown]
.LBB45_9:
	s_or_b64 exec, exec, s[2:3]
	s_cmp_eq_u32 s8, 1
	s_cbranch_scc1 .LBB45_16
; %bb.10:
	s_add_i32 s25, s25, s24
	s_add_i32 s6, s8, -1
	v_add3_u32 v9, s25, v15, v14
	v_add_u32_e32 v10, 1, v10
	v_add_u32_e32 v12, 1, v12
	;; [unrolled: 1-line block ×3, first 2 shown]
	s_mov_b32 s7, 0x3fb8aa3b
	s_mov_b32 s11, 0xc2ce8ed0
	;; [unrolled: 1-line block ×3, first 2 shown]
	v_mov_b32_e32 v27, 0x7f800000
	v_mov_b32_e32 v28, 0xff800000
	s_branch .LBB45_12
.LBB45_11:                              ;   in Loop: Header=BB45_12 Depth=1
	s_or_b64 exec, exec, s[2:3]
	s_add_i32 s6, s6, -1
	v_add_u32_e32 v9, s24, v9
	v_add_u32_e32 v10, 1, v10
	;; [unrolled: 1-line block ×3, first 2 shown]
	s_cmp_eq_u32 s6, 0
	v_add_u32_e32 v14, 1, v14
	s_cbranch_scc1 .LBB45_16
.LBB45_12:                              ; =>This Inner Loop Header: Depth=1
	v_cmp_gt_f32_e64 s[0:1], v1, v0
	v_cndmask_b32_e64 v13, v0, v1, s[0:1]
	v_cndmask_b32_e64 v11, v18, v19, s[0:1]
	v_cmp_gt_f32_e64 s[0:1], v2, v13
	v_cndmask_b32_e64 v13, v13, v2, s[0:1]
	v_cndmask_b32_e64 v11, v11, v20, s[0:1]
	;; [unrolled: 3-line block ×7, first 2 shown]
	s_nop 0
	v_mov_b32_dpp v29, v15 quad_perm:[1,0,3,2] row_mask:0xf bank_mask:0xf
	v_mov_b32_dpp v13, v11 quad_perm:[1,0,3,2] row_mask:0xf bank_mask:0xf
	v_cmp_eq_f32_e64 s[2:3], v11, v13
	v_cmp_lt_i32_e64 s[4:5], v29, v15
	v_cmp_lt_f32_e64 s[0:1], v11, v13
	s_and_b64 s[2:3], s[2:3], s[4:5]
	s_or_b64 s[0:1], s[0:1], s[2:3]
	v_cndmask_b32_e64 v29, v15, v29, s[0:1]
	s_and_saveexec_b64 s[4:5], vcc
	s_cbranch_execz .LBB45_14
; %bb.13:                               ;   in Loop: Header=BB45_12 Depth=1
	v_cndmask_b32_e64 v11, v11, v13, s[0:1]
	v_sub_f32_e32 v11, v11, v26
	v_mul_f32_e32 v13, 0x3fb8aa3b, v11
	v_fma_f32 v15, v11, s7, -v13
	v_rndne_f32_e32 v30, v13
	v_fmac_f32_e32 v15, 0x32a5705f, v11
	v_sub_f32_e32 v13, v13, v30
	v_add_f32_e32 v13, v13, v15
	v_exp_f32_e32 v13, v13
	v_cvt_i32_f32_e32 v15, v30
	v_cmp_le_i32_e64 s[0:1], s9, v29
	v_cmp_gt_i32_e64 s[2:3], s10, v29
	s_and_b64 s[2:3], s[0:1], s[2:3]
	v_ldexp_f32 v13, v13, v15
	v_cmp_ngt_f32_e64 s[0:1], s11, v11
	v_ashrrev_i32_e32 v15, 31, v14
	v_cndmask_b32_e64 v13, 0, v13, s[0:1]
	v_cmp_nlt_f32_e64 s[0:1], s22, v11
	v_lshlrev_b64 v[30:31], 2, v[14:15]
	v_cndmask_b32_e64 v32, v27, v13, s[0:1]
	v_mov_b32_e32 v11, s17
	v_add_co_u32_e64 v30, s[0:1], s16, v30
	v_addc_co_u32_e64 v31, s[0:1], v11, v31, s[0:1]
	v_ashrrev_i32_e32 v13, 31, v12
	global_store_dword v[30:31], v32, off
	v_subrev_u32_e32 v11, s9, v29
	s_and_b64 s[0:1], s[18:19], s[2:3]
	v_lshlrev_b64 v[30:31], 2, v[12:13]
	v_cndmask_b32_e64 v11, 16, v11, s[0:1]
	s_waitcnt lgkmcnt(0)
	v_mov_b32_e32 v13, s13
	v_add_co_u32_e64 v30, s[0:1], s12, v30
	v_addc_co_u32_e64 v31, s[0:1], v13, v31, s[0:1]
	global_store_dword v[30:31], v11, off
	v_ashrrev_i32_e32 v11, 31, v10
	v_lshlrev_b64 v[30:31], 2, v[10:11]
	v_mov_b32_e32 v11, s15
	v_add_co_u32_e64 v30, s[0:1], s14, v30
	v_addc_co_u32_e64 v31, s[0:1], v11, v31, s[0:1]
	v_add_f32_e32 v17, v17, v32
	global_store_dword v[30:31], v9, off
.LBB45_14:                              ;   in Loop: Header=BB45_12 Depth=1
	s_or_b64 exec, exec, s[4:5]
	v_ashrrev_i32_e32 v13, 31, v29
	v_lshrrev_b32_e32 v11, 29, v13
	v_add_u32_e32 v15, v29, v11
	v_ashrrev_i32_e32 v11, 3, v15
	v_lshrrev_b32_e32 v15, 31, v15
	v_add_u32_e32 v15, v11, v15
	v_and_b32_e32 v15, -2, v15
	v_sub_u32_e32 v15, v11, v15
	v_cmp_eq_u32_e64 s[0:1], v16, v15
	s_and_saveexec_b64 s[2:3], s[0:1]
	s_cbranch_execz .LBB45_11
; %bb.15:                               ;   in Loop: Header=BB45_12 Depth=1
	v_lshrrev_b32_e32 v13, 28, v13
	v_add_u32_e32 v13, v29, v13
	v_lshlrev_b32_e32 v11, 3, v11
	v_ashrrev_i32_e32 v13, 4, v13
	v_sub_u32_e32 v11, v29, v11
	v_lshl_add_u32 v11, v13, 3, v11
	v_cmp_ne_u32_e64 s[0:1], 7, v11
	v_cndmask_b32_e64 v7, v28, v7, s[0:1]
	v_cmp_ne_u32_e64 s[0:1], 6, v11
	v_cndmask_b32_e64 v6, v28, v6, s[0:1]
	;; [unrolled: 2-line block ×8, first 2 shown]
	s_branch .LBB45_11
.LBB45_16:
	v_cmp_eq_u32_e32 vcc, 0, v16
	v_cmp_neq_f32_e64 s[0:1], 0, v17
	s_and_b64 s[0:1], vcc, s[0:1]
	s_and_b64 exec, exec, s[0:1]
	s_cbranch_execz .LBB45_27
; %bb.17:
	s_andn2_b64 vcc, exec, s[20:21]
	s_cbranch_vccnz .LBB45_27
; %bb.18:
	v_div_scale_f32 v0, s[0:1], v17, v17, 1.0
	v_rcp_f32_e32 v1, v0
	v_div_scale_f32 v2, vcc, 1.0, v17, 1.0
	s_cmp_gt_u32 s8, 3
	v_fma_f32 v3, -v0, v1, 1.0
	v_fmac_f32_e32 v1, v3, v1
	v_mul_f32_e32 v3, v2, v1
	v_fma_f32 v4, -v0, v3, v2
	v_fmac_f32_e32 v3, v4, v1
	v_fma_f32 v0, -v0, v3, v2
	v_div_fmas_f32 v0, v0, v1, v3
	v_div_fixup_f32 v0, v0, v17, 1.0
	v_ashrrev_i32_e32 v9, 31, v8
	s_cbranch_scc0 .LBB45_22
; %bb.19:
	v_lshlrev_b64 v[2:3], 2, v[8:9]
	v_mov_b32_e32 v4, s17
	v_add_co_u32_e32 v2, vcc, s16, v2
	v_addc_co_u32_e32 v3, vcc, v3, v4, vcc
	s_and_b32 s4, s8, 0x7ffffffc
	v_add_co_u32_e32 v2, vcc, 8, v2
	v_mov_b32_e32 v1, v0
	v_addc_co_u32_e32 v3, vcc, 0, v3, vcc
	s_mov_b32 s0, s4
.LBB45_20:                              ; =>This Inner Loop Header: Depth=1
	global_load_dwordx4 v[4:7], v[2:3], off offset:-8
	s_add_i32 s0, s0, -4
	s_cmp_lg_u32 s0, 0
	s_waitcnt vmcnt(0)
	v_pk_mul_f32 v[4:5], v[0:1], v[4:5]
	v_pk_mul_f32 v[6:7], v[0:1], v[6:7]
	global_store_dwordx4 v[2:3], v[4:7], off offset:-8
	v_add_co_u32_e32 v2, vcc, 16, v2
	v_addc_co_u32_e32 v3, vcc, 0, v3, vcc
	s_cbranch_scc1 .LBB45_20
; %bb.21:
	s_cmp_lg_u32 s4, s8
	s_cselect_b64 s[0:1], -1, 0
	s_branch .LBB45_24
.LBB45_22:
	s_mov_b64 s[0:1], 0
                                        ; implicit-def: $sgpr4
	s_cbranch_execz .LBB45_24
; %bb.23:
	s_mov_b64 s[0:1], -1
	s_mov_b32 s4, 0
.LBB45_24:
	s_andn2_b64 vcc, exec, s[0:1]
	s_cbranch_vccnz .LBB45_27
; %bb.25:
	v_add_co_u32_e32 v2, vcc, s4, v8
	v_addc_co_u32_e32 v3, vcc, 0, v9, vcc
	v_lshlrev_b64 v[2:3], 2, v[2:3]
	v_mov_b32_e32 v1, s17
	v_add_co_u32_e32 v2, vcc, s16, v2
	s_sub_i32 s0, s8, s4
	v_addc_co_u32_e32 v3, vcc, v1, v3, vcc
.LBB45_26:                              ; =>This Inner Loop Header: Depth=1
	global_load_dword v1, v[2:3], off
	s_add_i32 s0, s0, -1
	s_cmp_lg_u32 s0, 0
	s_waitcnt vmcnt(0)
	v_mul_f32_e32 v1, v0, v1
	global_store_dword v[2:3], v1, off
	v_add_co_u32_e32 v2, vcc, 4, v2
	v_addc_co_u32_e32 v3, vcc, 0, v3, vcc
	s_cbranch_scc1 .LBB45_26
.LBB45_27:
	s_endpgm
	.section	.rodata,"a",@progbits
	.p2align	6, 0x0
	.amdhsa_kernel _ZN4vllm3moe17topkGatingSoftmaxIfLi8ELi16ELi8ELi32ELb1ELi2ELNS0_23SharedExpertScoringFuncE1EEEvPKT_PKbPfiPiS9_iiiiii
		.amdhsa_group_segment_fixed_size 0
		.amdhsa_private_segment_fixed_size 0
		.amdhsa_kernarg_size 72
		.amdhsa_user_sgpr_count 6
		.amdhsa_user_sgpr_private_segment_buffer 1
		.amdhsa_user_sgpr_dispatch_ptr 0
		.amdhsa_user_sgpr_queue_ptr 0
		.amdhsa_user_sgpr_kernarg_segment_ptr 1
		.amdhsa_user_sgpr_dispatch_id 0
		.amdhsa_user_sgpr_flat_scratch_init 0
		.amdhsa_user_sgpr_kernarg_preload_length 0
		.amdhsa_user_sgpr_kernarg_preload_offset 0
		.amdhsa_user_sgpr_private_segment_size 0
		.amdhsa_uses_dynamic_stack 0
		.amdhsa_system_sgpr_private_segment_wavefront_offset 0
		.amdhsa_system_sgpr_workgroup_id_x 1
		.amdhsa_system_sgpr_workgroup_id_y 0
		.amdhsa_system_sgpr_workgroup_id_z 0
		.amdhsa_system_sgpr_workgroup_info 0
		.amdhsa_system_vgpr_workitem_id 1
		.amdhsa_next_free_vgpr 34
		.amdhsa_next_free_sgpr 26
		.amdhsa_accum_offset 36
		.amdhsa_reserve_vcc 1
		.amdhsa_reserve_flat_scratch 0
		.amdhsa_float_round_mode_32 0
		.amdhsa_float_round_mode_16_64 0
		.amdhsa_float_denorm_mode_32 3
		.amdhsa_float_denorm_mode_16_64 3
		.amdhsa_dx10_clamp 1
		.amdhsa_ieee_mode 1
		.amdhsa_fp16_overflow 0
		.amdhsa_tg_split 0
		.amdhsa_exception_fp_ieee_invalid_op 0
		.amdhsa_exception_fp_denorm_src 0
		.amdhsa_exception_fp_ieee_div_zero 0
		.amdhsa_exception_fp_ieee_overflow 0
		.amdhsa_exception_fp_ieee_underflow 0
		.amdhsa_exception_fp_ieee_inexact 0
		.amdhsa_exception_int_div_zero 0
	.end_amdhsa_kernel
	.section	.text._ZN4vllm3moe17topkGatingSoftmaxIfLi8ELi16ELi8ELi32ELb1ELi2ELNS0_23SharedExpertScoringFuncE1EEEvPKT_PKbPfiPiS9_iiiiii,"axG",@progbits,_ZN4vllm3moe17topkGatingSoftmaxIfLi8ELi16ELi8ELi32ELb1ELi2ELNS0_23SharedExpertScoringFuncE1EEEvPKT_PKbPfiPiS9_iiiiii,comdat
.Lfunc_end45:
	.size	_ZN4vllm3moe17topkGatingSoftmaxIfLi8ELi16ELi8ELi32ELb1ELi2ELNS0_23SharedExpertScoringFuncE1EEEvPKT_PKbPfiPiS9_iiiiii, .Lfunc_end45-_ZN4vllm3moe17topkGatingSoftmaxIfLi8ELi16ELi8ELi32ELb1ELi2ELNS0_23SharedExpertScoringFuncE1EEEvPKT_PKbPfiPiS9_iiiiii
                                        ; -- End function
	.section	.AMDGPU.csdata,"",@progbits
; Kernel info:
; codeLenInByte = 2392
; NumSgprs: 30
; NumVgprs: 34
; NumAgprs: 0
; TotalNumVgprs: 34
; ScratchSize: 0
; MemoryBound: 0
; FloatMode: 240
; IeeeMode: 1
; LDSByteSize: 0 bytes/workgroup (compile time only)
; SGPRBlocks: 3
; VGPRBlocks: 4
; NumSGPRsForWavesPerEU: 30
; NumVGPRsForWavesPerEU: 34
; AccumOffset: 36
; Occupancy: 8
; WaveLimiterHint : 0
; COMPUTE_PGM_RSRC2:SCRATCH_EN: 0
; COMPUTE_PGM_RSRC2:USER_SGPR: 6
; COMPUTE_PGM_RSRC2:TRAP_HANDLER: 0
; COMPUTE_PGM_RSRC2:TGID_X_EN: 1
; COMPUTE_PGM_RSRC2:TGID_Y_EN: 0
; COMPUTE_PGM_RSRC2:TGID_Z_EN: 0
; COMPUTE_PGM_RSRC2:TIDIG_COMP_CNT: 1
; COMPUTE_PGM_RSRC3_GFX90A:ACCUM_OFFSET: 8
; COMPUTE_PGM_RSRC3_GFX90A:TG_SPLIT: 0
	.section	.text._ZN4vllm3moe17topkGatingSoftmaxIfLi8ELi16ELi8ELi32ELb0ELi2ELNS0_23SharedExpertScoringFuncE1EEEvPKT_PKbPfiPiS9_iiiiii,"axG",@progbits,_ZN4vllm3moe17topkGatingSoftmaxIfLi8ELi16ELi8ELi32ELb0ELi2ELNS0_23SharedExpertScoringFuncE1EEEvPKT_PKbPfiPiS9_iiiiii,comdat
	.protected	_ZN4vllm3moe17topkGatingSoftmaxIfLi8ELi16ELi8ELi32ELb0ELi2ELNS0_23SharedExpertScoringFuncE1EEEvPKT_PKbPfiPiS9_iiiiii ; -- Begin function _ZN4vllm3moe17topkGatingSoftmaxIfLi8ELi16ELi8ELi32ELb0ELi2ELNS0_23SharedExpertScoringFuncE1EEEvPKT_PKbPfiPiS9_iiiiii
	.globl	_ZN4vllm3moe17topkGatingSoftmaxIfLi8ELi16ELi8ELi32ELb0ELi2ELNS0_23SharedExpertScoringFuncE1EEEvPKT_PKbPfiPiS9_iiiiii
	.p2align	8
	.type	_ZN4vllm3moe17topkGatingSoftmaxIfLi8ELi16ELi8ELi32ELb0ELi2ELNS0_23SharedExpertScoringFuncE1EEEvPKT_PKbPfiPiS9_iiiiii,@function
_ZN4vllm3moe17topkGatingSoftmaxIfLi8ELi16ELi8ELi32ELb0ELi2ELNS0_23SharedExpertScoringFuncE1EEEvPKT_PKbPfiPiS9_iiiiii: ; @_ZN4vllm3moe17topkGatingSoftmaxIfLi8ELi16ELi8ELi32ELb0ELi2ELNS0_23SharedExpertScoringFuncE1EEEvPKT_PKbPfiPiS9_iiiiii
; %bb.0:
	s_load_dword s22, s[4:5], 0x18
	v_bfe_u32 v1, v0, 10, 10
	v_and_b32_e32 v0, 0x3ff, v0
	s_lshl_b32 s23, s6, 8
	v_lshlrev_b32_e32 v14, 5, v1
	v_lshrrev_b32_e32 v15, 1, v0
	v_add3_u32 v27, s23, v14, v15
	s_waitcnt lgkmcnt(0)
	v_cmp_gt_i32_e32 vcc, s22, v27
	s_and_saveexec_b64 s[0:1], vcc
	s_cbranch_execz .LBB46_29
; %bb.1:
	s_load_dwordx4 s[0:3], s[4:5], 0x0
	s_load_dwordx2 s[16:17], s[4:5], 0x10
	s_waitcnt lgkmcnt(0)
	s_cmp_eq_u64 s[2:3], 0
	s_cbranch_scc1 .LBB46_3
; %bb.2:
	v_ashrrev_i32_e32 v1, 31, v27
	v_mov_b32_e32 v3, s3
	v_add_co_u32_e32 v2, vcc, s2, v27
	v_addc_co_u32_e32 v3, vcc, v3, v1, vcc
	global_load_ubyte v1, v[2:3], off
	s_waitcnt vmcnt(0)
	v_and_b32_e32 v1, 1, v1
	v_cmp_eq_u32_e32 vcc, 1, v1
	s_xor_b64 s[2:3], vcc, -1
	s_orn2_b64 s[18:19], s[2:3], exec
	s_branch .LBB46_4
.LBB46_3:
	s_mov_b64 s[18:19], -1
.LBB46_4:
	s_load_dwordx2 s[20:21], s[4:5], 0x40
	s_load_dwordx4 s[8:11], s[4:5], 0x30
	v_mov_b32_e32 v1, s1
	v_and_b32_e32 v16, 1, v0
	v_lshlrev_b32_e32 v0, 5, v16
	s_waitcnt lgkmcnt(0)
	v_mul_lo_u32 v2, v27, s21
	v_ashrrev_i32_e32 v3, 31, v2
	v_lshlrev_b64 v[2:3], 2, v[2:3]
	v_add_co_u32_e32 v2, vcc, s0, v2
	v_addc_co_u32_e32 v1, vcc, v1, v3, vcc
	v_add_co_u32_e32 v8, vcc, v2, v0
	v_addc_co_u32_e32 v9, vcc, 0, v1, vcc
	v_lshlrev_b32_e32 v0, 2, v16
	v_add_co_u32_e32 v10, vcc, v2, v0
	v_addc_co_u32_e32 v11, vcc, 0, v1, vcc
	global_load_dword v18, v[10:11], off offset:64
	global_load_dwordx4 v[4:7], v[8:9], off
	global_load_dwordx4 v[0:3], v[8:9], off offset:16
	v_mul_lo_u32 v8, v27, s11
	v_add3_u32 v10, v8, s8, v16
	v_ashrrev_i32_e32 v11, 31, v10
	v_lshlrev_b64 v[10:11], 2, v[10:11]
	v_mov_b32_e32 v13, s17
	v_add_co_u32_e32 v12, vcc, s16, v10
	v_addc_co_u32_e32 v13, vcc, v13, v11, vcc
	s_mov_b32 s0, 0xbfb8aa3b
	v_lshlrev_b32_e32 v19, 3, v16
	v_or_b32_e32 v20, 1, v19
	v_or_b32_e32 v21, 2, v19
	;; [unrolled: 1-line block ×3, first 2 shown]
	s_mov_b32 s1, 0x42ce8ed0
	v_or_b32_e32 v23, 4, v19
	s_mov_b32 s2, 0xc2b17218
	v_or_b32_e32 v24, 5, v19
	v_mov_b32_e32 v9, 0x7f800000
	v_or_b32_e32 v25, 6, v19
	v_or_b32_e32 v26, 7, v19
	v_mov_b32_e32 v17, 0
	s_waitcnt vmcnt(2)
	v_mul_f32_e32 v10, 0xbfb8aa3b, v18
	s_waitcnt vmcnt(1)
	v_cmp_lt_f32_e32 vcc, v4, v5
	v_fma_f32 v28, v18, s0, -v10
	v_rndne_f32_e32 v29, v10
	v_cndmask_b32_e32 v30, v4, v5, vcc
	v_cndmask_b32_e32 v11, v19, v20, vcc
	v_fmac_f32_e32 v28, 0xb2a5705f, v18
	v_sub_f32_e32 v10, v10, v29
	v_cmp_lt_f32_e32 vcc, v30, v6
	v_add_f32_e32 v10, v10, v28
	v_cndmask_b32_e32 v28, v30, v6, vcc
	v_cvt_i32_f32_e32 v29, v29
	v_cndmask_b32_e32 v11, v11, v21, vcc
	v_exp_f32_e32 v10, v10
	v_cmp_lt_f32_e32 vcc, v28, v7
	v_cndmask_b32_e32 v28, v28, v7, vcc
	v_cndmask_b32_e32 v11, v11, v22, vcc
	s_waitcnt vmcnt(0)
	v_cmp_lt_f32_e32 vcc, v28, v0
	v_cndmask_b32_e32 v28, v28, v0, vcc
	v_cndmask_b32_e32 v11, v11, v23, vcc
	v_ldexp_f32 v10, v10, v29
	v_cmp_lt_f32_e32 vcc, v28, v1
	v_cmp_nlt_f32_e64 s[0:1], s1, v18
	v_cndmask_b32_e32 v11, v11, v24, vcc
	v_cndmask_b32_e64 v10, 0, v10, s[0:1]
	v_cndmask_b32_e32 v28, v28, v1, vcc
	v_cmp_ngt_f32_e32 vcc, s2, v18
	v_cndmask_b32_e32 v9, v9, v10, vcc
	v_cmp_lt_f32_e32 vcc, v28, v2
	v_cndmask_b32_e32 v10, v11, v25, vcc
	v_add_f32_e32 v11, 1.0, v9
	v_cndmask_b32_e32 v18, v28, v2, vcc
	v_div_scale_f32 v28, s[0:1], v11, v11, 1.0
	v_cmp_lt_f32_e64 s[0:1], v18, v3
	v_rcp_f32_e32 v30, v28
	v_cndmask_b32_e64 v9, v10, v26, s[0:1]
	v_cndmask_b32_e64 v18, v18, v3, s[0:1]
	v_div_scale_f32 v29, vcc, 1.0, v11, 1.0
	v_mov_b32_dpp v10, v9 quad_perm:[1,0,3,2] row_mask:0xf bank_mask:0xf
	v_mov_b32_dpp v31, v18 quad_perm:[1,0,3,2] row_mask:0xf bank_mask:0xf
	v_cmp_lt_i32_e64 s[0:1], v10, v9
	v_cmp_eq_f32_e64 s[6:7], v18, v31
	v_cmp_lt_f32_e64 s[2:3], v18, v31
	s_and_b64 s[0:1], s[6:7], s[0:1]
	v_fma_f32 v32, -v28, v30, 1.0
	s_or_b64 s[0:1], s[2:3], s[0:1]
	v_fmac_f32_e32 v30, v32, v30
	v_cndmask_b32_e64 v18, v18, v31, s[0:1]
	v_mul_f32_e32 v31, v29, v30
	v_fma_f32 v32, -v28, v31, v29
	v_fmac_f32_e32 v31, v32, v30
	v_fma_f32 v28, -v28, v31, v29
	s_cmp_gt_i32 s8, 0
	v_div_fmas_f32 v28, v28, v30, v31
	s_cselect_b64 s[6:7], -1, 0
	s_cmp_lt_i32 s8, 1
	v_div_fixup_f32 v11, v28, v11, 1.0
	v_cmp_eq_u32_e32 vcc, 0, v16
	global_store_dword v[12:13], v11, off
	s_cbranch_scc1 .LBB46_16
; %bb.5:
	s_load_dwordx4 s[12:15], s[4:5], 0x20
	v_cndmask_b32_e64 v28, v9, v10, s[0:1]
	v_mul_lo_u32 v12, v27, s20
	v_mul_lo_u32 v10, v27, s8
	v_mov_b32_e32 v17, 0
	s_and_saveexec_b64 s[4:5], vcc
	s_cbranch_execz .LBB46_7
; %bb.6:
	v_sub_f32_e32 v9, v18, v18
	v_mul_f32_e32 v11, 0x3fb8aa3b, v9
	s_mov_b32 s0, 0x3fb8aa3b
	v_rndne_f32_e32 v13, v11
	v_sub_f32_e32 v17, v11, v13
	v_fma_f32 v11, v9, s0, -v11
	v_fmac_f32_e32 v11, 0x32a5705f, v9
	v_add_f32_e32 v11, v17, v11
	v_exp_f32_e32 v11, v11
	v_cvt_i32_f32_e32 v13, v13
	v_cmp_le_i32_e64 s[0:1], s9, v28
	v_cmp_gt_i32_e64 s[2:3], s10, v28
	s_and_b64 s[2:3], s[0:1], s[2:3]
	s_mov_b32 s0, 0xc2ce8ed0
	v_ldexp_f32 v11, v11, v13
	v_cmp_ngt_f32_e64 s[0:1], s0, v9
	v_cndmask_b32_e64 v11, 0, v11, s[0:1]
	s_mov_b32 s0, 0x42b17218
	v_cmp_nlt_f32_e64 s[0:1], s0, v9
	v_ashrrev_i32_e32 v9, 31, v8
	v_mov_b32_e32 v13, 0x7f800000
	v_lshlrev_b64 v[30:31], 2, v[8:9]
	v_cndmask_b32_e64 v17, v13, v11, s[0:1]
	v_mov_b32_e32 v9, s17
	v_add_co_u32_e64 v30, s[0:1], s16, v30
	v_addc_co_u32_e64 v31, s[0:1], v9, v31, s[0:1]
	v_ashrrev_i32_e32 v13, 31, v12
	global_store_dword v[30:31], v17, off
	v_subrev_u32_e32 v9, s9, v28
	s_and_b64 s[0:1], s[18:19], s[2:3]
	v_lshlrev_b64 v[30:31], 2, v[12:13]
	v_cndmask_b32_e64 v9, 16, v9, s[0:1]
	s_waitcnt lgkmcnt(0)
	v_mov_b32_e32 v11, s13
	v_add_co_u32_e64 v30, s[0:1], s12, v30
	v_addc_co_u32_e64 v31, s[0:1], v11, v31, s[0:1]
	v_ashrrev_i32_e32 v11, 31, v10
	global_store_dword v[30:31], v9, off
	v_lshlrev_b64 v[30:31], 2, v[10:11]
	v_mov_b32_e32 v9, s15
	v_add_co_u32_e64 v30, s[0:1], s14, v30
	v_addc_co_u32_e64 v31, s[0:1], v9, v31, s[0:1]
	global_store_dword v[30:31], v27, off
.LBB46_7:
	s_or_b64 exec, exec, s[4:5]
	v_ashrrev_i32_e32 v11, 31, v28
	v_lshrrev_b32_e32 v9, 29, v11
	v_add_u32_e32 v13, v28, v9
	v_ashrrev_i32_e32 v9, 3, v13
	v_lshrrev_b32_e32 v13, 31, v13
	v_add_u32_e32 v13, v9, v13
	v_and_b32_e32 v13, -2, v13
	v_sub_u32_e32 v13, v9, v13
	v_cmp_eq_u32_e64 s[0:1], v16, v13
	s_and_saveexec_b64 s[2:3], s[0:1]
	s_cbranch_execz .LBB46_9
; %bb.8:
	v_lshrrev_b32_e32 v11, 28, v11
	v_add_u32_e32 v11, v28, v11
	v_lshlrev_b32_e32 v9, 3, v9
	v_ashrrev_i32_e32 v11, 4, v11
	v_sub_u32_e32 v9, v28, v9
	v_lshl_add_u32 v9, v11, 3, v9
	v_mov_b32_e32 v11, 0xff800000
	v_cmp_ne_u32_e64 s[0:1], 7, v9
	v_cndmask_b32_e64 v3, v11, v3, s[0:1]
	v_cmp_ne_u32_e64 s[0:1], 6, v9
	v_cndmask_b32_e64 v2, v11, v2, s[0:1]
	v_cmp_ne_u32_e64 s[0:1], 5, v9
	v_cndmask_b32_e64 v1, v11, v1, s[0:1]
	v_cmp_ne_u32_e64 s[0:1], 4, v9
	v_cndmask_b32_e64 v0, v11, v0, s[0:1]
	v_cmp_ne_u32_e64 s[0:1], 3, v9
	v_cndmask_b32_e64 v7, v11, v7, s[0:1]
	v_cmp_ne_u32_e64 s[0:1], 2, v9
	v_cndmask_b32_e64 v6, v11, v6, s[0:1]
	v_cmp_ne_u32_e64 s[0:1], 1, v9
	v_cndmask_b32_e64 v5, v11, v5, s[0:1]
	v_cmp_ne_u32_e64 s[0:1], 0, v9
	v_cndmask_b32_e64 v4, v11, v4, s[0:1]
.LBB46_9:
	s_or_b64 exec, exec, s[2:3]
	s_cmp_eq_u32 s8, 1
	s_cbranch_scc1 .LBB46_16
; %bb.10:
	s_add_i32 s23, s23, s22
	s_add_i32 s11, s8, -1
	v_add3_u32 v9, s23, v15, v14
	v_add_u32_e32 v10, 1, v10
	v_add_u32_e32 v12, 1, v12
	;; [unrolled: 1-line block ×3, first 2 shown]
	s_mov_b32 s20, 0x3fb8aa3b
	s_mov_b32 s21, 0xc2ce8ed0
	;; [unrolled: 1-line block ×3, first 2 shown]
	v_mov_b32_e32 v27, 0x7f800000
	v_mov_b32_e32 v28, 0xff800000
	s_branch .LBB46_12
.LBB46_11:                              ;   in Loop: Header=BB46_12 Depth=1
	s_or_b64 exec, exec, s[2:3]
	s_add_i32 s11, s11, -1
	v_add_u32_e32 v9, s22, v9
	v_add_u32_e32 v10, 1, v10
	v_add_u32_e32 v12, 1, v12
	s_cmp_eq_u32 s11, 0
	v_add_u32_e32 v14, 1, v14
	s_cbranch_scc1 .LBB46_16
.LBB46_12:                              ; =>This Inner Loop Header: Depth=1
	v_cmp_gt_f32_e64 s[0:1], v5, v4
	v_cndmask_b32_e64 v13, v4, v5, s[0:1]
	v_cndmask_b32_e64 v11, v19, v20, s[0:1]
	v_cmp_gt_f32_e64 s[0:1], v6, v13
	v_cndmask_b32_e64 v13, v13, v6, s[0:1]
	v_cndmask_b32_e64 v11, v11, v21, s[0:1]
	;; [unrolled: 3-line block ×7, first 2 shown]
	s_nop 0
	v_mov_b32_dpp v29, v15 quad_perm:[1,0,3,2] row_mask:0xf bank_mask:0xf
	v_mov_b32_dpp v13, v11 quad_perm:[1,0,3,2] row_mask:0xf bank_mask:0xf
	v_cmp_eq_f32_e64 s[2:3], v11, v13
	v_cmp_lt_i32_e64 s[4:5], v29, v15
	v_cmp_lt_f32_e64 s[0:1], v11, v13
	s_and_b64 s[2:3], s[2:3], s[4:5]
	s_or_b64 s[0:1], s[0:1], s[2:3]
	v_cndmask_b32_e64 v29, v15, v29, s[0:1]
	s_and_saveexec_b64 s[4:5], vcc
	s_cbranch_execz .LBB46_14
; %bb.13:                               ;   in Loop: Header=BB46_12 Depth=1
	v_cndmask_b32_e64 v11, v11, v13, s[0:1]
	v_sub_f32_e32 v11, v11, v18
	v_mul_f32_e32 v13, 0x3fb8aa3b, v11
	v_fma_f32 v15, v11, s20, -v13
	v_rndne_f32_e32 v30, v13
	v_fmac_f32_e32 v15, 0x32a5705f, v11
	v_sub_f32_e32 v13, v13, v30
	v_add_f32_e32 v13, v13, v15
	v_exp_f32_e32 v13, v13
	v_cvt_i32_f32_e32 v15, v30
	v_cmp_le_i32_e64 s[0:1], s9, v29
	v_cmp_gt_i32_e64 s[2:3], s10, v29
	s_and_b64 s[2:3], s[0:1], s[2:3]
	v_ldexp_f32 v13, v13, v15
	v_cmp_ngt_f32_e64 s[0:1], s21, v11
	v_ashrrev_i32_e32 v15, 31, v14
	v_cndmask_b32_e64 v13, 0, v13, s[0:1]
	v_cmp_nlt_f32_e64 s[0:1], s23, v11
	v_lshlrev_b64 v[30:31], 2, v[14:15]
	v_cndmask_b32_e64 v32, v27, v13, s[0:1]
	v_mov_b32_e32 v11, s17
	v_add_co_u32_e64 v30, s[0:1], s16, v30
	v_addc_co_u32_e64 v31, s[0:1], v11, v31, s[0:1]
	v_ashrrev_i32_e32 v13, 31, v12
	global_store_dword v[30:31], v32, off
	v_subrev_u32_e32 v11, s9, v29
	s_and_b64 s[0:1], s[18:19], s[2:3]
	v_lshlrev_b64 v[30:31], 2, v[12:13]
	v_cndmask_b32_e64 v11, 16, v11, s[0:1]
	s_waitcnt lgkmcnt(0)
	v_mov_b32_e32 v13, s13
	v_add_co_u32_e64 v30, s[0:1], s12, v30
	v_addc_co_u32_e64 v31, s[0:1], v13, v31, s[0:1]
	global_store_dword v[30:31], v11, off
	v_ashrrev_i32_e32 v11, 31, v10
	v_lshlrev_b64 v[30:31], 2, v[10:11]
	v_mov_b32_e32 v11, s15
	v_add_co_u32_e64 v30, s[0:1], s14, v30
	v_addc_co_u32_e64 v31, s[0:1], v11, v31, s[0:1]
	v_add_f32_e32 v17, v17, v32
	global_store_dword v[30:31], v9, off
.LBB46_14:                              ;   in Loop: Header=BB46_12 Depth=1
	s_or_b64 exec, exec, s[4:5]
	v_ashrrev_i32_e32 v13, 31, v29
	v_lshrrev_b32_e32 v11, 29, v13
	v_add_u32_e32 v15, v29, v11
	v_ashrrev_i32_e32 v11, 3, v15
	v_lshrrev_b32_e32 v15, 31, v15
	v_add_u32_e32 v15, v11, v15
	v_and_b32_e32 v15, -2, v15
	v_sub_u32_e32 v15, v11, v15
	v_cmp_eq_u32_e64 s[0:1], v16, v15
	s_and_saveexec_b64 s[2:3], s[0:1]
	s_cbranch_execz .LBB46_11
; %bb.15:                               ;   in Loop: Header=BB46_12 Depth=1
	v_lshrrev_b32_e32 v13, 28, v13
	v_add_u32_e32 v13, v29, v13
	v_lshlrev_b32_e32 v11, 3, v11
	v_ashrrev_i32_e32 v13, 4, v13
	v_sub_u32_e32 v11, v29, v11
	v_lshl_add_u32 v11, v13, 3, v11
	v_cmp_ne_u32_e64 s[0:1], 7, v11
	v_cndmask_b32_e64 v3, v28, v3, s[0:1]
	v_cmp_ne_u32_e64 s[0:1], 6, v11
	v_cndmask_b32_e64 v2, v28, v2, s[0:1]
	;; [unrolled: 2-line block ×8, first 2 shown]
	s_branch .LBB46_11
.LBB46_16:
	v_sub_f32_e32 v4, v4, v18
	s_mov_b32 s0, 0x3fb8aa3b
	v_mul_f32_e32 v9, 0x3fb8aa3b, v4
	v_fma_f32 v10, v4, s0, -v9
	v_rndne_f32_e32 v11, v9
	v_fmac_f32_e32 v10, 0x32a5705f, v4
	v_sub_f32_e32 v9, v9, v11
	v_add_f32_e32 v9, v9, v10
	v_exp_f32_e32 v9, v9
	v_cvt_i32_f32_e32 v10, v11
	v_sub_f32_e32 v5, v5, v18
	s_mov_b32 s1, 0xc2ce8ed0
	v_cmp_ngt_f32_e32 vcc, s1, v4
	v_ldexp_f32 v9, v9, v10
	v_mul_f32_e32 v10, 0x3fb8aa3b, v5
	v_fma_f32 v11, v5, s0, -v10
	v_rndne_f32_e32 v12, v10
	v_fmac_f32_e32 v11, 0x32a5705f, v5
	v_sub_f32_e32 v10, v10, v12
	v_add_f32_e32 v10, v10, v11
	v_exp_f32_e32 v10, v10
	v_cvt_i32_f32_e32 v11, v12
	s_mov_b32 s2, 0x42b17218
	v_cndmask_b32_e32 v9, 0, v9, vcc
	v_mov_b32_e32 v12, 0x7f800000
	v_cmp_nlt_f32_e32 vcc, s2, v4
	v_sub_f32_e32 v6, v6, v18
	v_cndmask_b32_e32 v4, v12, v9, vcc
	v_ldexp_f32 v9, v10, v11
	v_mul_f32_e32 v10, 0x3fb8aa3b, v6
	v_fma_f32 v11, v6, s0, -v10
	v_rndne_f32_e32 v13, v10
	v_fmac_f32_e32 v11, 0x32a5705f, v6
	v_sub_f32_e32 v10, v10, v13
	v_add_f32_e32 v10, v10, v11
	v_exp_f32_e32 v10, v10
	v_cvt_i32_f32_e32 v11, v13
	v_cmp_ngt_f32_e32 vcc, s1, v5
	v_cndmask_b32_e32 v9, 0, v9, vcc
	v_cmp_nlt_f32_e32 vcc, s2, v5
	v_sub_f32_e32 v7, v7, v18
	v_cndmask_b32_e32 v5, v12, v9, vcc
	v_mul_f32_e32 v9, 0x3fb8aa3b, v7
	v_add_f32_e32 v4, v4, v5
	v_ldexp_f32 v5, v10, v11
	v_fma_f32 v10, v7, s0, -v9
	v_rndne_f32_e32 v11, v9
	v_fmac_f32_e32 v10, 0x32a5705f, v7
	v_sub_f32_e32 v9, v9, v11
	v_add_f32_e32 v9, v9, v10
	v_exp_f32_e32 v9, v9
	v_cvt_i32_f32_e32 v10, v11
	v_cmp_ngt_f32_e32 vcc, s1, v6
	v_cndmask_b32_e32 v5, 0, v5, vcc
	v_cmp_nlt_f32_e32 vcc, s2, v6
	v_sub_f32_e32 v0, v0, v18
	v_cndmask_b32_e32 v5, v12, v5, vcc
	v_mul_f32_e32 v6, 0x3fb8aa3b, v0
	v_add_f32_e32 v4, v4, v5
	v_ldexp_f32 v5, v9, v10
	v_fma_f32 v9, v0, s0, -v6
	v_rndne_f32_e32 v10, v6
	v_fmac_f32_e32 v9, 0x32a5705f, v0
	v_sub_f32_e32 v6, v6, v10
	v_add_f32_e32 v6, v6, v9
	v_exp_f32_e32 v6, v6
	v_cvt_i32_f32_e32 v9, v10
	v_cmp_ngt_f32_e32 vcc, s1, v7
	v_cndmask_b32_e32 v5, 0, v5, vcc
	v_cmp_nlt_f32_e32 vcc, s2, v7
	v_cndmask_b32_e32 v5, v12, v5, vcc
	v_sub_f32_e32 v1, v1, v18
	v_add_f32_e32 v4, v4, v5
	v_ldexp_f32 v5, v6, v9
	v_mul_f32_e32 v6, 0x3fb8aa3b, v1
	v_fma_f32 v7, v1, s0, -v6
	v_rndne_f32_e32 v9, v6
	v_fmac_f32_e32 v7, 0x32a5705f, v1
	v_sub_f32_e32 v6, v6, v9
	v_add_f32_e32 v6, v6, v7
	v_exp_f32_e32 v6, v6
	v_cvt_i32_f32_e32 v7, v9
	v_cmp_ngt_f32_e32 vcc, s1, v0
	v_cndmask_b32_e32 v5, 0, v5, vcc
	v_cmp_nlt_f32_e32 vcc, s2, v0
	v_sub_f32_e32 v2, v2, v18
	v_cndmask_b32_e32 v0, v12, v5, vcc
	v_mul_f32_e32 v5, 0x3fb8aa3b, v2
	v_add_f32_e32 v0, v4, v0
	v_ldexp_f32 v4, v6, v7
	v_fma_f32 v6, v2, s0, -v5
	v_rndne_f32_e32 v7, v5
	v_fmac_f32_e32 v6, 0x32a5705f, v2
	v_sub_f32_e32 v5, v5, v7
	v_add_f32_e32 v5, v5, v6
	v_exp_f32_e32 v5, v5
	v_cvt_i32_f32_e32 v6, v7
	v_cmp_ngt_f32_e32 vcc, s1, v1
	v_cndmask_b32_e32 v4, 0, v4, vcc
	v_cmp_nlt_f32_e32 vcc, s2, v1
	v_sub_f32_e32 v3, v3, v18
	v_cndmask_b32_e32 v1, v12, v4, vcc
	v_mul_f32_e32 v4, 0x3fb8aa3b, v3
	v_add_f32_e32 v0, v0, v1
	v_ldexp_f32 v1, v5, v6
	v_fma_f32 v5, v3, s0, -v4
	v_rndne_f32_e32 v6, v4
	v_fmac_f32_e32 v5, 0x32a5705f, v3
	v_sub_f32_e32 v4, v4, v6
	v_add_f32_e32 v4, v4, v5
	v_exp_f32_e32 v4, v4
	v_cvt_i32_f32_e32 v5, v6
	v_cmp_ngt_f32_e32 vcc, s1, v2
	v_cndmask_b32_e32 v1, 0, v1, vcc
	v_cmp_nlt_f32_e32 vcc, s2, v2
	v_cndmask_b32_e32 v1, v12, v1, vcc
	v_add_f32_e32 v0, v0, v1
	v_ldexp_f32 v1, v4, v5
	v_cmp_ngt_f32_e32 vcc, s1, v3
	v_cndmask_b32_e32 v1, 0, v1, vcc
	v_cmp_nlt_f32_e32 vcc, s2, v3
	v_cndmask_b32_e32 v1, v12, v1, vcc
	v_add_f32_e32 v0, v0, v1
	v_cmp_eq_u32_e32 vcc, 0, v16
	s_nop 0
	v_mov_b32_dpp v1, v0 quad_perm:[1,0,3,2] row_mask:0xf bank_mask:0xf
	s_and_b64 exec, exec, vcc
	s_cbranch_execz .LBB46_29
; %bb.17:
	v_add_f32_e32 v0, v0, v1
	v_add_f32_e32 v0, v17, v0
	v_cmp_neq_f32_e32 vcc, 0, v0
	s_and_b64 exec, exec, vcc
	s_cbranch_execz .LBB46_29
; %bb.18:
	s_andn2_b64 vcc, exec, s[6:7]
	s_cbranch_vccnz .LBB46_29
; %bb.19:
	v_div_scale_f32 v1, s[0:1], v0, v0, 1.0
	v_rcp_f32_e32 v2, v1
	v_div_scale_f32 v3, vcc, 1.0, v0, 1.0
	s_cmp_gt_u32 s8, 3
	v_fma_f32 v4, -v1, v2, 1.0
	v_fmac_f32_e32 v2, v4, v2
	v_mul_f32_e32 v4, v3, v2
	v_fma_f32 v5, -v1, v4, v3
	v_fmac_f32_e32 v4, v5, v2
	v_fma_f32 v1, -v1, v4, v3
	v_div_fmas_f32 v1, v1, v2, v4
	v_div_fixup_f32 v0, v1, v0, 1.0
	v_ashrrev_i32_e32 v9, 31, v8
	s_cbranch_scc0 .LBB46_23
; %bb.20:
	v_lshlrev_b64 v[2:3], 2, v[8:9]
	v_mov_b32_e32 v4, s17
	v_add_co_u32_e32 v2, vcc, s16, v2
	v_addc_co_u32_e32 v3, vcc, v3, v4, vcc
	s_and_b32 s4, s8, 0x7ffffffc
	v_add_co_u32_e32 v2, vcc, 8, v2
	v_mov_b32_e32 v1, v0
	v_addc_co_u32_e32 v3, vcc, 0, v3, vcc
	s_mov_b32 s0, s4
.LBB46_21:                              ; =>This Inner Loop Header: Depth=1
	global_load_dwordx4 v[4:7], v[2:3], off offset:-8
	s_add_i32 s0, s0, -4
	s_cmp_lg_u32 s0, 0
	s_waitcnt vmcnt(0)
	v_pk_mul_f32 v[4:5], v[0:1], v[4:5]
	v_pk_mul_f32 v[6:7], v[0:1], v[6:7]
	global_store_dwordx4 v[2:3], v[4:7], off offset:-8
	v_add_co_u32_e32 v2, vcc, 16, v2
	v_addc_co_u32_e32 v3, vcc, 0, v3, vcc
	s_cbranch_scc1 .LBB46_21
; %bb.22:
	s_cmp_lg_u32 s4, s8
	s_mov_b64 s[2:3], 0
	s_cselect_b64 s[0:1], -1, 0
	s_branch .LBB46_24
.LBB46_23:
	s_mov_b64 s[2:3], -1
	s_mov_b64 s[0:1], 0
                                        ; implicit-def: $sgpr4
.LBB46_24:
	s_and_b64 vcc, exec, s[2:3]
	s_cbranch_vccz .LBB46_26
; %bb.25:
	s_mov_b64 s[0:1], -1
	s_mov_b32 s4, 0
.LBB46_26:
	s_andn2_b64 vcc, exec, s[0:1]
	s_cbranch_vccnz .LBB46_29
; %bb.27:
	v_add_co_u32_e32 v2, vcc, s4, v8
	v_addc_co_u32_e32 v3, vcc, 0, v9, vcc
	v_lshlrev_b64 v[2:3], 2, v[2:3]
	v_mov_b32_e32 v1, s17
	v_add_co_u32_e32 v2, vcc, s16, v2
	s_sub_i32 s0, s8, s4
	v_addc_co_u32_e32 v3, vcc, v1, v3, vcc
.LBB46_28:                              ; =>This Inner Loop Header: Depth=1
	global_load_dword v1, v[2:3], off
	s_add_i32 s0, s0, -1
	s_cmp_lg_u32 s0, 0
	s_waitcnt vmcnt(0)
	v_mul_f32_e32 v1, v0, v1
	global_store_dword v[2:3], v1, off
	v_add_co_u32_e32 v2, vcc, 4, v2
	v_addc_co_u32_e32 v3, vcc, 0, v3, vcc
	s_cbranch_scc1 .LBB46_28
.LBB46_29:
	s_endpgm
	.section	.rodata,"a",@progbits
	.p2align	6, 0x0
	.amdhsa_kernel _ZN4vllm3moe17topkGatingSoftmaxIfLi8ELi16ELi8ELi32ELb0ELi2ELNS0_23SharedExpertScoringFuncE1EEEvPKT_PKbPfiPiS9_iiiiii
		.amdhsa_group_segment_fixed_size 0
		.amdhsa_private_segment_fixed_size 0
		.amdhsa_kernarg_size 72
		.amdhsa_user_sgpr_count 6
		.amdhsa_user_sgpr_private_segment_buffer 1
		.amdhsa_user_sgpr_dispatch_ptr 0
		.amdhsa_user_sgpr_queue_ptr 0
		.amdhsa_user_sgpr_kernarg_segment_ptr 1
		.amdhsa_user_sgpr_dispatch_id 0
		.amdhsa_user_sgpr_flat_scratch_init 0
		.amdhsa_user_sgpr_kernarg_preload_length 0
		.amdhsa_user_sgpr_kernarg_preload_offset 0
		.amdhsa_user_sgpr_private_segment_size 0
		.amdhsa_uses_dynamic_stack 0
		.amdhsa_system_sgpr_private_segment_wavefront_offset 0
		.amdhsa_system_sgpr_workgroup_id_x 1
		.amdhsa_system_sgpr_workgroup_id_y 0
		.amdhsa_system_sgpr_workgroup_id_z 0
		.amdhsa_system_sgpr_workgroup_info 0
		.amdhsa_system_vgpr_workitem_id 1
		.amdhsa_next_free_vgpr 33
		.amdhsa_next_free_sgpr 24
		.amdhsa_accum_offset 36
		.amdhsa_reserve_vcc 1
		.amdhsa_reserve_flat_scratch 0
		.amdhsa_float_round_mode_32 0
		.amdhsa_float_round_mode_16_64 0
		.amdhsa_float_denorm_mode_32 3
		.amdhsa_float_denorm_mode_16_64 3
		.amdhsa_dx10_clamp 1
		.amdhsa_ieee_mode 1
		.amdhsa_fp16_overflow 0
		.amdhsa_tg_split 0
		.amdhsa_exception_fp_ieee_invalid_op 0
		.amdhsa_exception_fp_denorm_src 0
		.amdhsa_exception_fp_ieee_div_zero 0
		.amdhsa_exception_fp_ieee_overflow 0
		.amdhsa_exception_fp_ieee_underflow 0
		.amdhsa_exception_fp_ieee_inexact 0
		.amdhsa_exception_int_div_zero 0
	.end_amdhsa_kernel
	.section	.text._ZN4vllm3moe17topkGatingSoftmaxIfLi8ELi16ELi8ELi32ELb0ELi2ELNS0_23SharedExpertScoringFuncE1EEEvPKT_PKbPfiPiS9_iiiiii,"axG",@progbits,_ZN4vllm3moe17topkGatingSoftmaxIfLi8ELi16ELi8ELi32ELb0ELi2ELNS0_23SharedExpertScoringFuncE1EEEvPKT_PKbPfiPiS9_iiiiii,comdat
.Lfunc_end46:
	.size	_ZN4vllm3moe17topkGatingSoftmaxIfLi8ELi16ELi8ELi32ELb0ELi2ELNS0_23SharedExpertScoringFuncE1EEEvPKT_PKbPfiPiS9_iiiiii, .Lfunc_end46-_ZN4vllm3moe17topkGatingSoftmaxIfLi8ELi16ELi8ELi32ELb0ELi2ELNS0_23SharedExpertScoringFuncE1EEEvPKT_PKbPfiPiS9_iiiiii
                                        ; -- End function
	.section	.AMDGPU.csdata,"",@progbits
; Kernel info:
; codeLenInByte = 3060
; NumSgprs: 28
; NumVgprs: 33
; NumAgprs: 0
; TotalNumVgprs: 33
; ScratchSize: 0
; MemoryBound: 0
; FloatMode: 240
; IeeeMode: 1
; LDSByteSize: 0 bytes/workgroup (compile time only)
; SGPRBlocks: 3
; VGPRBlocks: 4
; NumSGPRsForWavesPerEU: 28
; NumVGPRsForWavesPerEU: 33
; AccumOffset: 36
; Occupancy: 8
; WaveLimiterHint : 0
; COMPUTE_PGM_RSRC2:SCRATCH_EN: 0
; COMPUTE_PGM_RSRC2:USER_SGPR: 6
; COMPUTE_PGM_RSRC2:TRAP_HANDLER: 0
; COMPUTE_PGM_RSRC2:TGID_X_EN: 1
; COMPUTE_PGM_RSRC2:TGID_Y_EN: 0
; COMPUTE_PGM_RSRC2:TGID_Z_EN: 0
; COMPUTE_PGM_RSRC2:TIDIG_COMP_CNT: 1
; COMPUTE_PGM_RSRC3_GFX90A:ACCUM_OFFSET: 8
; COMPUTE_PGM_RSRC3_GFX90A:TG_SPLIT: 0
	.section	.text._ZN4vllm3moe17topkGatingSoftmaxIfLi8ELi16ELi8ELi32ELb1ELi4ELNS0_23SharedExpertScoringFuncE1EEEvPKT_PKbPfiPiS9_iiiiii,"axG",@progbits,_ZN4vllm3moe17topkGatingSoftmaxIfLi8ELi16ELi8ELi32ELb1ELi4ELNS0_23SharedExpertScoringFuncE1EEEvPKT_PKbPfiPiS9_iiiiii,comdat
	.protected	_ZN4vllm3moe17topkGatingSoftmaxIfLi8ELi16ELi8ELi32ELb1ELi4ELNS0_23SharedExpertScoringFuncE1EEEvPKT_PKbPfiPiS9_iiiiii ; -- Begin function _ZN4vllm3moe17topkGatingSoftmaxIfLi8ELi16ELi8ELi32ELb1ELi4ELNS0_23SharedExpertScoringFuncE1EEEvPKT_PKbPfiPiS9_iiiiii
	.globl	_ZN4vllm3moe17topkGatingSoftmaxIfLi8ELi16ELi8ELi32ELb1ELi4ELNS0_23SharedExpertScoringFuncE1EEEvPKT_PKbPfiPiS9_iiiiii
	.p2align	8
	.type	_ZN4vllm3moe17topkGatingSoftmaxIfLi8ELi16ELi8ELi32ELb1ELi4ELNS0_23SharedExpertScoringFuncE1EEEvPKT_PKbPfiPiS9_iiiiii,@function
_ZN4vllm3moe17topkGatingSoftmaxIfLi8ELi16ELi8ELi32ELb1ELi4ELNS0_23SharedExpertScoringFuncE1EEEvPKT_PKbPfiPiS9_iiiiii: ; @_ZN4vllm3moe17topkGatingSoftmaxIfLi8ELi16ELi8ELi32ELb1ELi4ELNS0_23SharedExpertScoringFuncE1EEEvPKT_PKbPfiPiS9_iiiiii
; %bb.0:
	s_load_dword s24, s[4:5], 0x18
	v_bfe_u32 v1, v0, 10, 10
	v_and_b32_e32 v0, 0x3ff, v0
	s_lshl_b32 s25, s6, 8
	v_lshlrev_b32_e32 v14, 5, v1
	v_lshrrev_b32_e32 v15, 1, v0
	v_add3_u32 v26, s25, v14, v15
	s_waitcnt lgkmcnt(0)
	v_cmp_gt_i32_e32 vcc, s24, v26
	s_and_saveexec_b64 s[0:1], vcc
	s_cbranch_execz .LBB47_30
; %bb.1:
	s_load_dwordx4 s[0:3], s[4:5], 0x0
	s_load_dwordx2 s[16:17], s[4:5], 0x10
	s_mov_b64 s[6:7], 0
	s_waitcnt lgkmcnt(0)
	s_cmp_eq_u64 s[2:3], 0
	s_cbranch_scc1 .LBB47_3
; %bb.2:
	v_ashrrev_i32_e32 v1, 31, v26
	v_mov_b32_e32 v3, s3
	v_add_co_u32_e32 v2, vcc, s2, v26
	v_addc_co_u32_e32 v3, vcc, v3, v1, vcc
	global_load_ubyte v1, v[2:3], off
	s_waitcnt vmcnt(0)
	v_and_b32_e32 v1, 1, v1
	v_cmp_eq_u32_e32 vcc, 1, v1
	s_xor_b64 s[2:3], vcc, -1
	s_orn2_b64 s[18:19], s[2:3], exec
	s_branch .LBB47_4
.LBB47_3:
	s_mov_b64 s[18:19], -1
.LBB47_4:
	s_load_dwordx2 s[22:23], s[4:5], 0x40
	s_load_dwordx4 s[8:11], s[4:5], 0x30
	v_mov_b32_e32 v1, s1
	v_and_b32_e32 v16, 1, v0
	v_lshlrev_b32_e32 v0, 5, v16
	s_waitcnt lgkmcnt(0)
	v_mul_lo_u32 v2, v26, s23
	v_ashrrev_i32_e32 v3, 31, v2
	v_lshlrev_b64 v[10:11], 2, v[2:3]
	v_add_co_u32_e32 v2, vcc, s0, v10
	v_addc_co_u32_e32 v1, vcc, v1, v11, vcc
	v_add_co_u32_e32 v8, vcc, v2, v0
	v_addc_co_u32_e32 v9, vcc, 0, v1, vcc
	global_load_dwordx4 v[0:3], v[8:9], off offset:16
	global_load_dwordx4 v[4:7], v[8:9], off
	v_lshlrev_b32_e32 v12, 2, v16
	v_add_co_u32_e32 v10, vcc, v10, v12
	v_addc_co_u32_e32 v11, vcc, 0, v11, vcc
	v_mov_b32_e32 v12, s1
	v_add_co_u32_e32 v10, vcc, s0, v10
	v_addc_co_u32_e32 v11, vcc, v11, v12, vcc
	v_mul_lo_u32 v8, v26, s11
	v_add_co_u32_e32 v10, vcc, 64, v10
	v_lshlrev_b32_e32 v17, 3, v16
	v_add_u32_e32 v9, s8, v8
	v_addc_co_u32_e32 v11, vcc, 0, v11, vcc
	s_mov_b32 s0, 0xbfb8aa3b
	s_mov_b32 s1, 0x42ce8ed0
	s_mov_b32 s2, 0xc2b17218
	v_mov_b32_e32 v12, 0x7f800000
	v_mov_b32_e32 v13, s17
	;; [unrolled: 1-line block ×3, first 2 shown]
.LBB47_5:                               ; =>This Inner Loop Header: Depth=1
	global_load_dword v19, v[10:11], off
	v_add_co_u32_e32 v10, vcc, 8, v10
	v_add_u32_e32 v22, 2, v18
	v_addc_co_u32_e32 v11, vcc, 0, v11, vcc
	v_add_u32_e32 v20, v9, v18
	v_cmp_lt_u32_e32 vcc, 1, v18
	v_mov_b32_e32 v18, v22
	v_ashrrev_i32_e32 v21, 31, v20
	v_lshlrev_b64 v[20:21], 2, v[20:21]
	s_or_b64 s[6:7], vcc, s[6:7]
	v_add_co_u32_e32 v20, vcc, s16, v20
	v_addc_co_u32_e32 v21, vcc, v13, v21, vcc
	s_waitcnt vmcnt(0)
	v_mul_f32_e32 v22, 0xbfb8aa3b, v19
	v_rndne_f32_e32 v23, v22
	v_fma_f32 v24, v19, s0, -v22
	v_sub_f32_e32 v22, v22, v23
	v_fmac_f32_e32 v24, 0xb2a5705f, v19
	v_add_f32_e32 v22, v22, v24
	v_cvt_i32_f32_e32 v23, v23
	v_exp_f32_e32 v22, v22
	v_cmp_nlt_f32_e32 vcc, s1, v19
	v_ldexp_f32 v22, v22, v23
	v_cndmask_b32_e32 v22, 0, v22, vcc
	v_cmp_ngt_f32_e32 vcc, s2, v19
	v_cndmask_b32_e32 v19, v12, v22, vcc
	v_add_f32_e32 v19, 1.0, v19
	v_div_scale_f32 v22, s[12:13], v19, v19, 1.0
	v_rcp_f32_e32 v23, v22
	v_div_scale_f32 v24, vcc, 1.0, v19, 1.0
	v_fma_f32 v25, -v22, v23, 1.0
	v_fmac_f32_e32 v23, v25, v23
	v_mul_f32_e32 v25, v24, v23
	v_fma_f32 v27, -v22, v25, v24
	v_fmac_f32_e32 v25, v27, v23
	v_fma_f32 v22, -v22, v25, v24
	v_div_fmas_f32 v22, v22, v23, v25
	v_div_fixup_f32 v19, v22, v19, 1.0
	global_store_dword v[20:21], v19, off
	s_andn2_b64 exec, exec, s[6:7]
	s_cbranch_execnz .LBB47_5
; %bb.6:
	s_or_b64 exec, exec, s[6:7]
	v_cmp_lt_f32_e32 vcc, v4, v5
	v_or_b32_e32 v18, 1, v17
	v_cndmask_b32_e32 v10, v4, v5, vcc
	v_cndmask_b32_e32 v9, v17, v18, vcc
	v_cmp_lt_f32_e32 vcc, v10, v6
	v_or_b32_e32 v19, 2, v17
	v_cndmask_b32_e32 v10, v10, v6, vcc
	v_cndmask_b32_e32 v9, v9, v19, vcc
	v_cmp_lt_f32_e32 vcc, v10, v7
	v_or_b32_e32 v20, 3, v17
	v_cndmask_b32_e32 v10, v10, v7, vcc
	v_cndmask_b32_e32 v9, v9, v20, vcc
	v_cmp_lt_f32_e32 vcc, v10, v0
	v_or_b32_e32 v21, 4, v17
	v_cndmask_b32_e32 v10, v10, v0, vcc
	v_cndmask_b32_e32 v9, v9, v21, vcc
	v_cmp_lt_f32_e32 vcc, v10, v1
	v_or_b32_e32 v22, 5, v17
	v_cndmask_b32_e32 v10, v10, v1, vcc
	v_cndmask_b32_e32 v9, v9, v22, vcc
	v_cmp_lt_f32_e32 vcc, v10, v2
	v_or_b32_e32 v23, 6, v17
	v_cndmask_b32_e32 v11, v10, v2, vcc
	v_cndmask_b32_e32 v9, v9, v23, vcc
	v_or_b32_e32 v24, 7, v17
	v_cmp_lt_f32_e32 vcc, v11, v3
	s_cmp_gt_i32 s8, 0
	v_cndmask_b32_e32 v10, v9, v24, vcc
	v_cndmask_b32_e32 v9, v11, v3, vcc
	s_cselect_b64 s[20:21], -1, 0
	v_mov_b32_dpp v12, v10 quad_perm:[1,0,3,2] row_mask:0xf bank_mask:0xf
	v_mov_b32_dpp v11, v9 quad_perm:[1,0,3,2] row_mask:0xf bank_mask:0xf
	s_and_b64 vcc, exec, s[20:21]
	v_cmp_eq_u32_e64 s[0:1], 0, v16
	s_cbranch_vccz .LBB47_18
; %bb.7:
	s_load_dwordx4 s[12:15], s[4:5], 0x20
	v_cmp_eq_f32_e64 s[2:3], v9, v11
	v_cmp_lt_i32_e64 s[6:7], v12, v10
	v_cmp_lt_f32_e32 vcc, v9, v11
	s_and_b64 s[2:3], s[2:3], s[6:7]
	s_or_b64 vcc, vcc, s[2:3]
	v_cndmask_b32_e32 v28, v10, v12, vcc
	v_cndmask_b32_e32 v27, v9, v11, vcc
	v_mul_lo_u32 v12, v26, s22
	v_mul_lo_u32 v10, v26, s8
	v_mov_b32_e32 v25, 0
	s_and_saveexec_b64 s[4:5], s[0:1]
	s_cbranch_execz .LBB47_9
; %bb.8:
	v_sub_f32_e32 v9, v27, v27
	v_mul_f32_e32 v11, 0x3fb8aa3b, v9
	s_mov_b32 s2, 0x3fb8aa3b
	v_rndne_f32_e32 v13, v11
	v_sub_f32_e32 v25, v11, v13
	v_fma_f32 v11, v9, s2, -v11
	v_fmac_f32_e32 v11, 0x32a5705f, v9
	v_add_f32_e32 v11, v25, v11
	v_exp_f32_e32 v11, v11
	v_cvt_i32_f32_e32 v13, v13
	v_cmp_le_i32_e32 vcc, s9, v28
	v_cmp_gt_i32_e64 s[2:3], s10, v28
	s_mov_b32 s6, 0xc2ce8ed0
	s_and_b64 s[2:3], vcc, s[2:3]
	v_ldexp_f32 v11, v11, v13
	v_cmp_ngt_f32_e32 vcc, s6, v9
	s_mov_b32 s6, 0x42b17218
	v_cndmask_b32_e32 v11, 0, v11, vcc
	v_cmp_nlt_f32_e32 vcc, s6, v9
	v_ashrrev_i32_e32 v9, 31, v8
	v_mov_b32_e32 v13, 0x7f800000
	v_lshlrev_b64 v[30:31], 2, v[8:9]
	v_cndmask_b32_e32 v25, v13, v11, vcc
	v_mov_b32_e32 v9, s17
	v_add_co_u32_e32 v30, vcc, s16, v30
	v_addc_co_u32_e32 v31, vcc, v9, v31, vcc
	v_ashrrev_i32_e32 v13, 31, v12
	global_store_dword v[30:31], v25, off
	v_subrev_u32_e32 v9, s9, v28
	s_and_b64 vcc, s[18:19], s[2:3]
	v_lshlrev_b64 v[30:31], 2, v[12:13]
	v_cndmask_b32_e32 v9, 16, v9, vcc
	s_waitcnt lgkmcnt(0)
	v_mov_b32_e32 v11, s13
	v_add_co_u32_e32 v30, vcc, s12, v30
	v_addc_co_u32_e32 v31, vcc, v11, v31, vcc
	v_ashrrev_i32_e32 v11, 31, v10
	global_store_dword v[30:31], v9, off
	v_lshlrev_b64 v[30:31], 2, v[10:11]
	v_mov_b32_e32 v9, s15
	v_add_co_u32_e32 v30, vcc, s14, v30
	v_addc_co_u32_e32 v31, vcc, v9, v31, vcc
	global_store_dword v[30:31], v26, off
.LBB47_9:
	s_or_b64 exec, exec, s[4:5]
	v_ashrrev_i32_e32 v11, 31, v28
	v_lshrrev_b32_e32 v9, 29, v11
	v_add_u32_e32 v13, v28, v9
	v_ashrrev_i32_e32 v9, 3, v13
	v_lshrrev_b32_e32 v13, 31, v13
	v_add_u32_e32 v13, v9, v13
	v_and_b32_e32 v13, -2, v13
	v_sub_u32_e32 v13, v9, v13
	v_cmp_eq_u32_e32 vcc, v16, v13
	s_and_saveexec_b64 s[2:3], vcc
	s_cbranch_execz .LBB47_11
; %bb.10:
	v_lshrrev_b32_e32 v11, 28, v11
	v_add_u32_e32 v11, v28, v11
	v_lshlrev_b32_e32 v9, 3, v9
	v_ashrrev_i32_e32 v11, 4, v11
	v_sub_u32_e32 v9, v28, v9
	v_lshl_add_u32 v9, v11, 3, v9
	v_mov_b32_e32 v11, 0xff800000
	v_cmp_ne_u32_e32 vcc, 7, v9
	v_cndmask_b32_e32 v3, v11, v3, vcc
	v_cmp_ne_u32_e32 vcc, 6, v9
	v_cndmask_b32_e32 v2, v11, v2, vcc
	;; [unrolled: 2-line block ×8, first 2 shown]
.LBB47_11:
	s_or_b64 exec, exec, s[2:3]
	s_cmp_eq_u32 s8, 1
	s_cbranch_scc1 .LBB47_19
; %bb.12:
	s_add_i32 s25, s25, s24
	s_add_i32 s6, s8, -1
	v_add3_u32 v9, s25, v15, v14
	v_add_u32_e32 v10, 1, v10
	v_add_u32_e32 v12, 1, v12
	v_add_u32_e32 v14, 1, v8
	s_mov_b32 s7, 0x3fb8aa3b
	s_mov_b32 s11, 0xc2ce8ed0
	;; [unrolled: 1-line block ×3, first 2 shown]
	v_mov_b32_e32 v26, 0x7f800000
	v_mov_b32_e32 v28, 0xff800000
	s_branch .LBB47_14
.LBB47_13:                              ;   in Loop: Header=BB47_14 Depth=1
	s_or_b64 exec, exec, s[2:3]
	s_add_i32 s6, s6, -1
	v_add_u32_e32 v9, s24, v9
	v_add_u32_e32 v10, 1, v10
	;; [unrolled: 1-line block ×3, first 2 shown]
	s_cmp_eq_u32 s6, 0
	v_add_u32_e32 v14, 1, v14
	s_cbranch_scc1 .LBB47_19
.LBB47_14:                              ; =>This Inner Loop Header: Depth=1
	v_cmp_gt_f32_e32 vcc, v5, v4
	v_cndmask_b32_e32 v13, v4, v5, vcc
	v_cndmask_b32_e32 v11, v17, v18, vcc
	v_cmp_gt_f32_e32 vcc, v6, v13
	v_cndmask_b32_e32 v13, v13, v6, vcc
	v_cndmask_b32_e32 v11, v11, v19, vcc
	;; [unrolled: 3-line block ×7, first 2 shown]
	s_nop 0
	v_mov_b32_dpp v29, v15 quad_perm:[1,0,3,2] row_mask:0xf bank_mask:0xf
	v_mov_b32_dpp v13, v11 quad_perm:[1,0,3,2] row_mask:0xf bank_mask:0xf
	v_cmp_eq_f32_e64 s[2:3], v11, v13
	v_cmp_lt_i32_e64 s[4:5], v29, v15
	v_cmp_lt_f32_e32 vcc, v11, v13
	s_and_b64 s[2:3], s[2:3], s[4:5]
	s_or_b64 vcc, vcc, s[2:3]
	v_cndmask_b32_e32 v29, v15, v29, vcc
	s_and_saveexec_b64 s[4:5], s[0:1]
	s_cbranch_execz .LBB47_16
; %bb.15:                               ;   in Loop: Header=BB47_14 Depth=1
	v_cndmask_b32_e32 v11, v11, v13, vcc
	v_sub_f32_e32 v11, v11, v27
	v_mul_f32_e32 v13, 0x3fb8aa3b, v11
	v_fma_f32 v15, v11, s7, -v13
	v_rndne_f32_e32 v30, v13
	v_fmac_f32_e32 v15, 0x32a5705f, v11
	v_sub_f32_e32 v13, v13, v30
	v_add_f32_e32 v13, v13, v15
	v_exp_f32_e32 v13, v13
	v_cvt_i32_f32_e32 v15, v30
	v_cmp_le_i32_e32 vcc, s9, v29
	v_cmp_gt_i32_e64 s[2:3], s10, v29
	s_and_b64 s[2:3], vcc, s[2:3]
	v_ldexp_f32 v13, v13, v15
	v_cmp_ngt_f32_e32 vcc, s11, v11
	v_ashrrev_i32_e32 v15, 31, v14
	v_cndmask_b32_e32 v13, 0, v13, vcc
	v_cmp_nlt_f32_e32 vcc, s22, v11
	v_lshlrev_b64 v[30:31], 2, v[14:15]
	v_cndmask_b32_e32 v32, v26, v13, vcc
	v_mov_b32_e32 v11, s17
	v_add_co_u32_e32 v30, vcc, s16, v30
	v_addc_co_u32_e32 v31, vcc, v11, v31, vcc
	v_ashrrev_i32_e32 v13, 31, v12
	global_store_dword v[30:31], v32, off
	v_subrev_u32_e32 v11, s9, v29
	s_and_b64 vcc, s[18:19], s[2:3]
	v_lshlrev_b64 v[30:31], 2, v[12:13]
	v_cndmask_b32_e32 v11, 16, v11, vcc
	s_waitcnt lgkmcnt(0)
	v_mov_b32_e32 v13, s13
	v_add_co_u32_e32 v30, vcc, s12, v30
	v_addc_co_u32_e32 v31, vcc, v13, v31, vcc
	global_store_dword v[30:31], v11, off
	v_ashrrev_i32_e32 v11, 31, v10
	v_lshlrev_b64 v[30:31], 2, v[10:11]
	v_mov_b32_e32 v11, s15
	v_add_co_u32_e32 v30, vcc, s14, v30
	v_addc_co_u32_e32 v31, vcc, v11, v31, vcc
	v_add_f32_e32 v25, v25, v32
	global_store_dword v[30:31], v9, off
.LBB47_16:                              ;   in Loop: Header=BB47_14 Depth=1
	s_or_b64 exec, exec, s[4:5]
	v_ashrrev_i32_e32 v13, 31, v29
	v_lshrrev_b32_e32 v11, 29, v13
	v_add_u32_e32 v15, v29, v11
	v_ashrrev_i32_e32 v11, 3, v15
	v_lshrrev_b32_e32 v15, 31, v15
	v_add_u32_e32 v15, v11, v15
	v_and_b32_e32 v15, -2, v15
	v_sub_u32_e32 v15, v11, v15
	v_cmp_eq_u32_e32 vcc, v16, v15
	s_and_saveexec_b64 s[2:3], vcc
	s_cbranch_execz .LBB47_13
; %bb.17:                               ;   in Loop: Header=BB47_14 Depth=1
	v_lshrrev_b32_e32 v13, 28, v13
	v_add_u32_e32 v13, v29, v13
	v_lshlrev_b32_e32 v11, 3, v11
	v_ashrrev_i32_e32 v13, 4, v13
	v_sub_u32_e32 v11, v29, v11
	v_lshl_add_u32 v11, v13, 3, v11
	v_cmp_ne_u32_e32 vcc, 7, v11
	v_cndmask_b32_e32 v3, v28, v3, vcc
	v_cmp_ne_u32_e32 vcc, 6, v11
	v_cndmask_b32_e32 v2, v28, v2, vcc
	;; [unrolled: 2-line block ×8, first 2 shown]
	s_branch .LBB47_13
.LBB47_18:
	v_mov_b32_e32 v25, 0
.LBB47_19:
	v_cmp_eq_u32_e32 vcc, 0, v16
	v_cmp_neq_f32_e64 s[0:1], 0, v25
	s_and_b64 s[0:1], vcc, s[0:1]
	s_and_b64 exec, exec, s[0:1]
	s_cbranch_execz .LBB47_30
; %bb.20:
	s_andn2_b64 vcc, exec, s[20:21]
	s_cbranch_vccnz .LBB47_30
; %bb.21:
	v_div_scale_f32 v0, s[0:1], v25, v25, 1.0
	v_rcp_f32_e32 v1, v0
	v_div_scale_f32 v2, vcc, 1.0, v25, 1.0
	s_cmp_gt_u32 s8, 3
	v_fma_f32 v3, -v0, v1, 1.0
	v_fmac_f32_e32 v1, v3, v1
	v_mul_f32_e32 v3, v2, v1
	v_fma_f32 v4, -v0, v3, v2
	v_fmac_f32_e32 v3, v4, v1
	v_fma_f32 v0, -v0, v3, v2
	v_div_fmas_f32 v0, v0, v1, v3
	v_div_fixup_f32 v0, v0, v25, 1.0
	v_ashrrev_i32_e32 v9, 31, v8
	s_cbranch_scc0 .LBB47_25
; %bb.22:
	v_lshlrev_b64 v[2:3], 2, v[8:9]
	v_mov_b32_e32 v4, s17
	v_add_co_u32_e32 v2, vcc, s16, v2
	v_addc_co_u32_e32 v3, vcc, v3, v4, vcc
	s_and_b32 s4, s8, 0x7ffffffc
	v_add_co_u32_e32 v2, vcc, 8, v2
	v_mov_b32_e32 v1, v0
	v_addc_co_u32_e32 v3, vcc, 0, v3, vcc
	s_mov_b32 s0, s4
.LBB47_23:                              ; =>This Inner Loop Header: Depth=1
	global_load_dwordx4 v[4:7], v[2:3], off offset:-8
	s_add_i32 s0, s0, -4
	s_cmp_lg_u32 s0, 0
	s_waitcnt vmcnt(0)
	v_pk_mul_f32 v[4:5], v[0:1], v[4:5]
	v_pk_mul_f32 v[6:7], v[0:1], v[6:7]
	global_store_dwordx4 v[2:3], v[4:7], off offset:-8
	v_add_co_u32_e32 v2, vcc, 16, v2
	v_addc_co_u32_e32 v3, vcc, 0, v3, vcc
	s_cbranch_scc1 .LBB47_23
; %bb.24:
	s_cmp_lg_u32 s4, s8
	s_cselect_b64 s[0:1], -1, 0
	s_branch .LBB47_27
.LBB47_25:
	s_mov_b64 s[0:1], 0
                                        ; implicit-def: $sgpr4
	s_cbranch_execz .LBB47_27
; %bb.26:
	s_mov_b64 s[0:1], -1
	s_mov_b32 s4, 0
.LBB47_27:
	s_andn2_b64 vcc, exec, s[0:1]
	s_cbranch_vccnz .LBB47_30
; %bb.28:
	v_add_co_u32_e32 v2, vcc, s4, v8
	v_addc_co_u32_e32 v3, vcc, 0, v9, vcc
	v_lshlrev_b64 v[2:3], 2, v[2:3]
	v_mov_b32_e32 v1, s17
	v_add_co_u32_e32 v2, vcc, s16, v2
	s_sub_i32 s0, s8, s4
	v_addc_co_u32_e32 v3, vcc, v1, v3, vcc
.LBB47_29:                              ; =>This Inner Loop Header: Depth=1
	global_load_dword v1, v[2:3], off
	s_add_i32 s0, s0, -1
	s_cmp_lg_u32 s0, 0
	s_waitcnt vmcnt(0)
	v_mul_f32_e32 v1, v0, v1
	global_store_dword v[2:3], v1, off
	v_add_co_u32_e32 v2, vcc, 4, v2
	v_addc_co_u32_e32 v3, vcc, 0, v3, vcc
	s_cbranch_scc1 .LBB47_29
.LBB47_30:
	s_endpgm
	.section	.rodata,"a",@progbits
	.p2align	6, 0x0
	.amdhsa_kernel _ZN4vllm3moe17topkGatingSoftmaxIfLi8ELi16ELi8ELi32ELb1ELi4ELNS0_23SharedExpertScoringFuncE1EEEvPKT_PKbPfiPiS9_iiiiii
		.amdhsa_group_segment_fixed_size 0
		.amdhsa_private_segment_fixed_size 0
		.amdhsa_kernarg_size 72
		.amdhsa_user_sgpr_count 6
		.amdhsa_user_sgpr_private_segment_buffer 1
		.amdhsa_user_sgpr_dispatch_ptr 0
		.amdhsa_user_sgpr_queue_ptr 0
		.amdhsa_user_sgpr_kernarg_segment_ptr 1
		.amdhsa_user_sgpr_dispatch_id 0
		.amdhsa_user_sgpr_flat_scratch_init 0
		.amdhsa_user_sgpr_kernarg_preload_length 0
		.amdhsa_user_sgpr_kernarg_preload_offset 0
		.amdhsa_user_sgpr_private_segment_size 0
		.amdhsa_uses_dynamic_stack 0
		.amdhsa_system_sgpr_private_segment_wavefront_offset 0
		.amdhsa_system_sgpr_workgroup_id_x 1
		.amdhsa_system_sgpr_workgroup_id_y 0
		.amdhsa_system_sgpr_workgroup_id_z 0
		.amdhsa_system_sgpr_workgroup_info 0
		.amdhsa_system_vgpr_workitem_id 1
		.amdhsa_next_free_vgpr 33
		.amdhsa_next_free_sgpr 26
		.amdhsa_accum_offset 36
		.amdhsa_reserve_vcc 1
		.amdhsa_reserve_flat_scratch 0
		.amdhsa_float_round_mode_32 0
		.amdhsa_float_round_mode_16_64 0
		.amdhsa_float_denorm_mode_32 3
		.amdhsa_float_denorm_mode_16_64 3
		.amdhsa_dx10_clamp 1
		.amdhsa_ieee_mode 1
		.amdhsa_fp16_overflow 0
		.amdhsa_tg_split 0
		.amdhsa_exception_fp_ieee_invalid_op 0
		.amdhsa_exception_fp_denorm_src 0
		.amdhsa_exception_fp_ieee_div_zero 0
		.amdhsa_exception_fp_ieee_overflow 0
		.amdhsa_exception_fp_ieee_underflow 0
		.amdhsa_exception_fp_ieee_inexact 0
		.amdhsa_exception_int_div_zero 0
	.end_amdhsa_kernel
	.section	.text._ZN4vllm3moe17topkGatingSoftmaxIfLi8ELi16ELi8ELi32ELb1ELi4ELNS0_23SharedExpertScoringFuncE1EEEvPKT_PKbPfiPiS9_iiiiii,"axG",@progbits,_ZN4vllm3moe17topkGatingSoftmaxIfLi8ELi16ELi8ELi32ELb1ELi4ELNS0_23SharedExpertScoringFuncE1EEEvPKT_PKbPfiPiS9_iiiiii,comdat
.Lfunc_end47:
	.size	_ZN4vllm3moe17topkGatingSoftmaxIfLi8ELi16ELi8ELi32ELb1ELi4ELNS0_23SharedExpertScoringFuncE1EEEvPKT_PKbPfiPiS9_iiiiii, .Lfunc_end47-_ZN4vllm3moe17topkGatingSoftmaxIfLi8ELi16ELi8ELi32ELb1ELi4ELNS0_23SharedExpertScoringFuncE1EEEvPKT_PKbPfiPiS9_iiiiii
                                        ; -- End function
	.section	.AMDGPU.csdata,"",@progbits
; Kernel info:
; codeLenInByte = 2092
; NumSgprs: 30
; NumVgprs: 33
; NumAgprs: 0
; TotalNumVgprs: 33
; ScratchSize: 0
; MemoryBound: 0
; FloatMode: 240
; IeeeMode: 1
; LDSByteSize: 0 bytes/workgroup (compile time only)
; SGPRBlocks: 3
; VGPRBlocks: 4
; NumSGPRsForWavesPerEU: 30
; NumVGPRsForWavesPerEU: 33
; AccumOffset: 36
; Occupancy: 8
; WaveLimiterHint : 0
; COMPUTE_PGM_RSRC2:SCRATCH_EN: 0
; COMPUTE_PGM_RSRC2:USER_SGPR: 6
; COMPUTE_PGM_RSRC2:TRAP_HANDLER: 0
; COMPUTE_PGM_RSRC2:TGID_X_EN: 1
; COMPUTE_PGM_RSRC2:TGID_Y_EN: 0
; COMPUTE_PGM_RSRC2:TGID_Z_EN: 0
; COMPUTE_PGM_RSRC2:TIDIG_COMP_CNT: 1
; COMPUTE_PGM_RSRC3_GFX90A:ACCUM_OFFSET: 8
; COMPUTE_PGM_RSRC3_GFX90A:TG_SPLIT: 0
	.section	.text._ZN4vllm3moe17topkGatingSoftmaxIfLi8ELi16ELi8ELi32ELb0ELi4ELNS0_23SharedExpertScoringFuncE1EEEvPKT_PKbPfiPiS9_iiiiii,"axG",@progbits,_ZN4vllm3moe17topkGatingSoftmaxIfLi8ELi16ELi8ELi32ELb0ELi4ELNS0_23SharedExpertScoringFuncE1EEEvPKT_PKbPfiPiS9_iiiiii,comdat
	.protected	_ZN4vllm3moe17topkGatingSoftmaxIfLi8ELi16ELi8ELi32ELb0ELi4ELNS0_23SharedExpertScoringFuncE1EEEvPKT_PKbPfiPiS9_iiiiii ; -- Begin function _ZN4vllm3moe17topkGatingSoftmaxIfLi8ELi16ELi8ELi32ELb0ELi4ELNS0_23SharedExpertScoringFuncE1EEEvPKT_PKbPfiPiS9_iiiiii
	.globl	_ZN4vllm3moe17topkGatingSoftmaxIfLi8ELi16ELi8ELi32ELb0ELi4ELNS0_23SharedExpertScoringFuncE1EEEvPKT_PKbPfiPiS9_iiiiii
	.p2align	8
	.type	_ZN4vllm3moe17topkGatingSoftmaxIfLi8ELi16ELi8ELi32ELb0ELi4ELNS0_23SharedExpertScoringFuncE1EEEvPKT_PKbPfiPiS9_iiiiii,@function
_ZN4vllm3moe17topkGatingSoftmaxIfLi8ELi16ELi8ELi32ELb0ELi4ELNS0_23SharedExpertScoringFuncE1EEEvPKT_PKbPfiPiS9_iiiiii: ; @_ZN4vllm3moe17topkGatingSoftmaxIfLi8ELi16ELi8ELi32ELb0ELi4ELNS0_23SharedExpertScoringFuncE1EEEvPKT_PKbPfiPiS9_iiiiii
; %bb.0:
	s_load_dword s22, s[4:5], 0x18
	v_bfe_u32 v1, v0, 10, 10
	v_and_b32_e32 v0, 0x3ff, v0
	s_lshl_b32 s23, s6, 8
	v_lshlrev_b32_e32 v14, 5, v1
	v_lshrrev_b32_e32 v15, 1, v0
	v_add3_u32 v27, s23, v14, v15
	s_waitcnt lgkmcnt(0)
	v_cmp_gt_i32_e32 vcc, s22, v27
	s_and_saveexec_b64 s[0:1], vcc
	s_cbranch_execz .LBB48_32
; %bb.1:
	s_load_dwordx4 s[0:3], s[4:5], 0x0
	s_load_dwordx2 s[6:7], s[4:5], 0x10
	s_mov_b64 s[12:13], 0
	s_waitcnt lgkmcnt(0)
	s_cmp_eq_u64 s[2:3], 0
	s_cbranch_scc1 .LBB48_3
; %bb.2:
	v_ashrrev_i32_e32 v1, 31, v27
	v_mov_b32_e32 v3, s3
	v_add_co_u32_e32 v2, vcc, s2, v27
	v_addc_co_u32_e32 v3, vcc, v3, v1, vcc
	global_load_ubyte v1, v[2:3], off
	s_waitcnt vmcnt(0)
	v_and_b32_e32 v1, 1, v1
	v_cmp_eq_u32_e32 vcc, 1, v1
	s_xor_b64 s[2:3], vcc, -1
	s_orn2_b64 s[16:17], s[2:3], exec
	s_branch .LBB48_4
.LBB48_3:
	s_mov_b64 s[16:17], -1
.LBB48_4:
	s_load_dwordx2 s[20:21], s[4:5], 0x40
	s_load_dwordx4 s[8:11], s[4:5], 0x30
	v_mov_b32_e32 v1, s1
	v_and_b32_e32 v16, 1, v0
	v_lshlrev_b32_e32 v0, 5, v16
	s_waitcnt lgkmcnt(0)
	v_mul_lo_u32 v2, v27, s21
	v_ashrrev_i32_e32 v3, 31, v2
	v_lshlrev_b64 v[10:11], 2, v[2:3]
	v_add_co_u32_e32 v2, vcc, s0, v10
	v_addc_co_u32_e32 v1, vcc, v1, v11, vcc
	v_add_co_u32_e32 v8, vcc, v2, v0
	v_addc_co_u32_e32 v9, vcc, 0, v1, vcc
	global_load_dwordx4 v[0:3], v[8:9], off offset:16
	global_load_dwordx4 v[4:7], v[8:9], off
	v_lshlrev_b32_e32 v12, 2, v16
	v_add_co_u32_e32 v10, vcc, v10, v12
	v_addc_co_u32_e32 v11, vcc, 0, v11, vcc
	v_mov_b32_e32 v12, s1
	v_add_co_u32_e32 v10, vcc, s0, v10
	v_addc_co_u32_e32 v11, vcc, v11, v12, vcc
	v_mul_lo_u32 v8, v27, s11
	v_add_co_u32_e32 v10, vcc, 64, v10
	v_lshlrev_b32_e32 v17, 3, v16
	v_add_u32_e32 v9, s8, v8
	v_addc_co_u32_e32 v11, vcc, 0, v11, vcc
	s_mov_b32 s0, 0xbfb8aa3b
	s_mov_b32 s1, 0x42ce8ed0
	;; [unrolled: 1-line block ×3, first 2 shown]
	v_mov_b32_e32 v12, 0x7f800000
	v_mov_b32_e32 v13, s7
	;; [unrolled: 1-line block ×3, first 2 shown]
.LBB48_5:                               ; =>This Inner Loop Header: Depth=1
	global_load_dword v19, v[10:11], off
	v_add_co_u32_e32 v10, vcc, 8, v10
	v_add_u32_e32 v22, 2, v18
	v_addc_co_u32_e32 v11, vcc, 0, v11, vcc
	v_add_u32_e32 v20, v9, v18
	v_cmp_lt_u32_e32 vcc, 1, v18
	v_mov_b32_e32 v18, v22
	v_ashrrev_i32_e32 v21, 31, v20
	v_lshlrev_b64 v[20:21], 2, v[20:21]
	s_or_b64 s[12:13], vcc, s[12:13]
	v_add_co_u32_e32 v20, vcc, s6, v20
	v_addc_co_u32_e32 v21, vcc, v13, v21, vcc
	s_waitcnt vmcnt(0)
	v_mul_f32_e32 v22, 0xbfb8aa3b, v19
	v_rndne_f32_e32 v23, v22
	v_fma_f32 v24, v19, s0, -v22
	v_sub_f32_e32 v22, v22, v23
	v_fmac_f32_e32 v24, 0xb2a5705f, v19
	v_add_f32_e32 v22, v22, v24
	v_cvt_i32_f32_e32 v23, v23
	v_exp_f32_e32 v22, v22
	v_cmp_nlt_f32_e32 vcc, s1, v19
	v_ldexp_f32 v22, v22, v23
	v_cndmask_b32_e32 v22, 0, v22, vcc
	v_cmp_ngt_f32_e32 vcc, s2, v19
	v_cndmask_b32_e32 v19, v12, v22, vcc
	v_add_f32_e32 v19, 1.0, v19
	v_div_scale_f32 v22, s[14:15], v19, v19, 1.0
	v_rcp_f32_e32 v23, v22
	v_div_scale_f32 v24, vcc, 1.0, v19, 1.0
	v_fma_f32 v25, -v22, v23, 1.0
	v_fmac_f32_e32 v23, v25, v23
	v_mul_f32_e32 v25, v24, v23
	v_fma_f32 v26, -v22, v25, v24
	v_fmac_f32_e32 v25, v26, v23
	v_fma_f32 v22, -v22, v25, v24
	v_div_fmas_f32 v22, v22, v23, v25
	v_div_fixup_f32 v19, v22, v19, 1.0
	global_store_dword v[20:21], v19, off
	s_andn2_b64 exec, exec, s[12:13]
	s_cbranch_execnz .LBB48_5
; %bb.6:
	s_or_b64 exec, exec, s[12:13]
	v_cmp_lt_f32_e32 vcc, v4, v5
	v_or_b32_e32 v20, 1, v17
	v_cndmask_b32_e32 v10, v4, v5, vcc
	v_cndmask_b32_e32 v9, v17, v20, vcc
	v_cmp_lt_f32_e32 vcc, v10, v6
	v_or_b32_e32 v21, 2, v17
	v_cndmask_b32_e32 v10, v10, v6, vcc
	v_cndmask_b32_e32 v9, v9, v21, vcc
	;; [unrolled: 4-line block ×6, first 2 shown]
	v_or_b32_e32 v26, 7, v17
	v_cmp_lt_f32_e32 vcc, v10, v3
	v_cndmask_b32_e32 v9, v9, v26, vcc
	v_cndmask_b32_e32 v11, v10, v3, vcc
	s_nop 0
	v_mov_b32_dpp v10, v9 quad_perm:[1,0,3,2] row_mask:0xf bank_mask:0xf
	v_mov_b32_dpp v12, v11 quad_perm:[1,0,3,2] row_mask:0xf bank_mask:0xf
	v_cmp_eq_f32_e64 s[0:1], v11, v12
	v_cmp_lt_i32_e64 s[2:3], v10, v9
	v_cmp_lt_f32_e32 vcc, v11, v12
	s_and_b64 s[0:1], s[0:1], s[2:3]
	s_or_b64 s[2:3], vcc, s[0:1]
	s_cmp_gt_i32 s8, 0
	s_cselect_b64 s[18:19], -1, 0
	v_cndmask_b32_e64 v18, v11, v12, s[2:3]
	s_and_b64 vcc, exec, s[18:19]
	v_cmp_eq_u32_e64 s[0:1], 0, v16
	s_cbranch_vccz .LBB48_18
; %bb.7:
	s_load_dwordx4 s[12:15], s[4:5], 0x20
	v_cndmask_b32_e64 v28, v9, v10, s[2:3]
	v_mul_lo_u32 v12, v27, s20
	v_mul_lo_u32 v10, v27, s8
	v_mov_b32_e32 v19, 0
	s_and_saveexec_b64 s[4:5], s[0:1]
	s_cbranch_execz .LBB48_9
; %bb.8:
	v_sub_f32_e32 v9, v18, v18
	v_mul_f32_e32 v11, 0x3fb8aa3b, v9
	s_mov_b32 s2, 0x3fb8aa3b
	v_rndne_f32_e32 v13, v11
	v_sub_f32_e32 v19, v11, v13
	v_fma_f32 v11, v9, s2, -v11
	v_fmac_f32_e32 v11, 0x32a5705f, v9
	v_add_f32_e32 v11, v19, v11
	v_exp_f32_e32 v11, v11
	v_cvt_i32_f32_e32 v13, v13
	v_cmp_le_i32_e32 vcc, s9, v28
	v_cmp_gt_i32_e64 s[2:3], s10, v28
	s_mov_b32 s11, 0xc2ce8ed0
	s_and_b64 s[2:3], vcc, s[2:3]
	v_ldexp_f32 v11, v11, v13
	v_cmp_ngt_f32_e32 vcc, s11, v9
	s_mov_b32 s11, 0x42b17218
	v_cndmask_b32_e32 v11, 0, v11, vcc
	v_cmp_nlt_f32_e32 vcc, s11, v9
	v_ashrrev_i32_e32 v9, 31, v8
	v_mov_b32_e32 v13, 0x7f800000
	v_lshlrev_b64 v[30:31], 2, v[8:9]
	v_cndmask_b32_e32 v19, v13, v11, vcc
	v_mov_b32_e32 v9, s7
	v_add_co_u32_e32 v30, vcc, s6, v30
	v_addc_co_u32_e32 v31, vcc, v9, v31, vcc
	v_ashrrev_i32_e32 v13, 31, v12
	global_store_dword v[30:31], v19, off
	v_subrev_u32_e32 v9, s9, v28
	s_and_b64 vcc, s[16:17], s[2:3]
	v_lshlrev_b64 v[30:31], 2, v[12:13]
	v_cndmask_b32_e32 v9, 16, v9, vcc
	s_waitcnt lgkmcnt(0)
	v_mov_b32_e32 v11, s13
	v_add_co_u32_e32 v30, vcc, s12, v30
	v_addc_co_u32_e32 v31, vcc, v11, v31, vcc
	v_ashrrev_i32_e32 v11, 31, v10
	global_store_dword v[30:31], v9, off
	v_lshlrev_b64 v[30:31], 2, v[10:11]
	v_mov_b32_e32 v9, s15
	v_add_co_u32_e32 v30, vcc, s14, v30
	v_addc_co_u32_e32 v31, vcc, v9, v31, vcc
	global_store_dword v[30:31], v27, off
.LBB48_9:
	s_or_b64 exec, exec, s[4:5]
	v_ashrrev_i32_e32 v11, 31, v28
	v_lshrrev_b32_e32 v9, 29, v11
	v_add_u32_e32 v13, v28, v9
	v_ashrrev_i32_e32 v9, 3, v13
	v_lshrrev_b32_e32 v13, 31, v13
	v_add_u32_e32 v13, v9, v13
	v_and_b32_e32 v13, -2, v13
	v_sub_u32_e32 v13, v9, v13
	v_cmp_eq_u32_e32 vcc, v16, v13
	s_and_saveexec_b64 s[2:3], vcc
	s_cbranch_execz .LBB48_11
; %bb.10:
	v_lshrrev_b32_e32 v11, 28, v11
	v_add_u32_e32 v11, v28, v11
	v_lshlrev_b32_e32 v9, 3, v9
	v_ashrrev_i32_e32 v11, 4, v11
	v_sub_u32_e32 v9, v28, v9
	v_lshl_add_u32 v9, v11, 3, v9
	v_mov_b32_e32 v11, 0xff800000
	v_cmp_ne_u32_e32 vcc, 7, v9
	v_cndmask_b32_e32 v3, v11, v3, vcc
	v_cmp_ne_u32_e32 vcc, 6, v9
	v_cndmask_b32_e32 v2, v11, v2, vcc
	;; [unrolled: 2-line block ×8, first 2 shown]
.LBB48_11:
	s_or_b64 exec, exec, s[2:3]
	s_cmp_eq_u32 s8, 1
	s_cbranch_scc1 .LBB48_19
; %bb.12:
	s_add_i32 s23, s23, s22
	s_add_i32 s11, s8, -1
	v_add3_u32 v9, s23, v15, v14
	v_add_u32_e32 v10, 1, v10
	v_add_u32_e32 v12, 1, v12
	;; [unrolled: 1-line block ×3, first 2 shown]
	s_mov_b32 s20, 0x3fb8aa3b
	s_mov_b32 s21, 0xc2ce8ed0
	;; [unrolled: 1-line block ×3, first 2 shown]
	v_mov_b32_e32 v27, 0x7f800000
	v_mov_b32_e32 v28, 0xff800000
	s_branch .LBB48_14
.LBB48_13:                              ;   in Loop: Header=BB48_14 Depth=1
	s_or_b64 exec, exec, s[2:3]
	s_add_i32 s11, s11, -1
	v_add_u32_e32 v9, s22, v9
	v_add_u32_e32 v10, 1, v10
	;; [unrolled: 1-line block ×3, first 2 shown]
	s_cmp_eq_u32 s11, 0
	v_add_u32_e32 v14, 1, v14
	s_cbranch_scc1 .LBB48_19
.LBB48_14:                              ; =>This Inner Loop Header: Depth=1
	v_cmp_gt_f32_e32 vcc, v5, v4
	v_cndmask_b32_e32 v13, v4, v5, vcc
	v_cndmask_b32_e32 v11, v17, v20, vcc
	v_cmp_gt_f32_e32 vcc, v6, v13
	v_cndmask_b32_e32 v13, v13, v6, vcc
	v_cndmask_b32_e32 v11, v11, v21, vcc
	;; [unrolled: 3-line block ×7, first 2 shown]
	s_nop 0
	v_mov_b32_dpp v29, v15 quad_perm:[1,0,3,2] row_mask:0xf bank_mask:0xf
	v_mov_b32_dpp v13, v11 quad_perm:[1,0,3,2] row_mask:0xf bank_mask:0xf
	v_cmp_eq_f32_e64 s[2:3], v11, v13
	v_cmp_lt_i32_e64 s[4:5], v29, v15
	v_cmp_lt_f32_e32 vcc, v11, v13
	s_and_b64 s[2:3], s[2:3], s[4:5]
	s_or_b64 vcc, vcc, s[2:3]
	v_cndmask_b32_e32 v29, v15, v29, vcc
	s_and_saveexec_b64 s[4:5], s[0:1]
	s_cbranch_execz .LBB48_16
; %bb.15:                               ;   in Loop: Header=BB48_14 Depth=1
	v_cndmask_b32_e32 v11, v11, v13, vcc
	v_sub_f32_e32 v11, v11, v18
	v_mul_f32_e32 v13, 0x3fb8aa3b, v11
	v_fma_f32 v15, v11, s20, -v13
	v_rndne_f32_e32 v30, v13
	v_fmac_f32_e32 v15, 0x32a5705f, v11
	v_sub_f32_e32 v13, v13, v30
	v_add_f32_e32 v13, v13, v15
	v_exp_f32_e32 v13, v13
	v_cvt_i32_f32_e32 v15, v30
	v_cmp_le_i32_e32 vcc, s9, v29
	v_cmp_gt_i32_e64 s[2:3], s10, v29
	s_and_b64 s[2:3], vcc, s[2:3]
	v_ldexp_f32 v13, v13, v15
	v_cmp_ngt_f32_e32 vcc, s21, v11
	v_ashrrev_i32_e32 v15, 31, v14
	v_cndmask_b32_e32 v13, 0, v13, vcc
	v_cmp_nlt_f32_e32 vcc, s23, v11
	v_lshlrev_b64 v[30:31], 2, v[14:15]
	v_cndmask_b32_e32 v32, v27, v13, vcc
	v_mov_b32_e32 v11, s7
	v_add_co_u32_e32 v30, vcc, s6, v30
	v_addc_co_u32_e32 v31, vcc, v11, v31, vcc
	v_ashrrev_i32_e32 v13, 31, v12
	global_store_dword v[30:31], v32, off
	v_subrev_u32_e32 v11, s9, v29
	s_and_b64 vcc, s[16:17], s[2:3]
	v_lshlrev_b64 v[30:31], 2, v[12:13]
	v_cndmask_b32_e32 v11, 16, v11, vcc
	s_waitcnt lgkmcnt(0)
	v_mov_b32_e32 v13, s13
	v_add_co_u32_e32 v30, vcc, s12, v30
	v_addc_co_u32_e32 v31, vcc, v13, v31, vcc
	global_store_dword v[30:31], v11, off
	v_ashrrev_i32_e32 v11, 31, v10
	v_lshlrev_b64 v[30:31], 2, v[10:11]
	v_mov_b32_e32 v11, s15
	v_add_co_u32_e32 v30, vcc, s14, v30
	v_addc_co_u32_e32 v31, vcc, v11, v31, vcc
	v_add_f32_e32 v19, v19, v32
	global_store_dword v[30:31], v9, off
.LBB48_16:                              ;   in Loop: Header=BB48_14 Depth=1
	s_or_b64 exec, exec, s[4:5]
	v_ashrrev_i32_e32 v13, 31, v29
	v_lshrrev_b32_e32 v11, 29, v13
	v_add_u32_e32 v15, v29, v11
	v_ashrrev_i32_e32 v11, 3, v15
	v_lshrrev_b32_e32 v15, 31, v15
	v_add_u32_e32 v15, v11, v15
	v_and_b32_e32 v15, -2, v15
	v_sub_u32_e32 v15, v11, v15
	v_cmp_eq_u32_e32 vcc, v16, v15
	s_and_saveexec_b64 s[2:3], vcc
	s_cbranch_execz .LBB48_13
; %bb.17:                               ;   in Loop: Header=BB48_14 Depth=1
	v_lshrrev_b32_e32 v13, 28, v13
	v_add_u32_e32 v13, v29, v13
	v_lshlrev_b32_e32 v11, 3, v11
	v_ashrrev_i32_e32 v13, 4, v13
	v_sub_u32_e32 v11, v29, v11
	v_lshl_add_u32 v11, v13, 3, v11
	v_cmp_ne_u32_e32 vcc, 7, v11
	v_cndmask_b32_e32 v3, v28, v3, vcc
	v_cmp_ne_u32_e32 vcc, 6, v11
	v_cndmask_b32_e32 v2, v28, v2, vcc
	v_cmp_ne_u32_e32 vcc, 5, v11
	v_cndmask_b32_e32 v1, v28, v1, vcc
	v_cmp_ne_u32_e32 vcc, 4, v11
	v_cndmask_b32_e32 v0, v28, v0, vcc
	v_cmp_ne_u32_e32 vcc, 3, v11
	v_cndmask_b32_e32 v7, v28, v7, vcc
	v_cmp_ne_u32_e32 vcc, 2, v11
	v_cndmask_b32_e32 v6, v28, v6, vcc
	v_cmp_ne_u32_e32 vcc, 1, v11
	v_cndmask_b32_e32 v5, v28, v5, vcc
	v_cmp_ne_u32_e32 vcc, 0, v11
	v_cndmask_b32_e32 v4, v28, v4, vcc
	s_branch .LBB48_13
.LBB48_18:
	v_mov_b32_e32 v19, 0
.LBB48_19:
	v_sub_f32_e32 v4, v4, v18
	s_mov_b32 s0, 0x3fb8aa3b
	v_mul_f32_e32 v9, 0x3fb8aa3b, v4
	v_fma_f32 v10, v4, s0, -v9
	v_rndne_f32_e32 v11, v9
	v_fmac_f32_e32 v10, 0x32a5705f, v4
	v_sub_f32_e32 v9, v9, v11
	v_add_f32_e32 v9, v9, v10
	v_exp_f32_e32 v9, v9
	v_cvt_i32_f32_e32 v10, v11
	v_sub_f32_e32 v5, v5, v18
	s_mov_b32 s1, 0xc2ce8ed0
	v_cmp_ngt_f32_e32 vcc, s1, v4
	v_ldexp_f32 v9, v9, v10
	v_mul_f32_e32 v10, 0x3fb8aa3b, v5
	v_fma_f32 v11, v5, s0, -v10
	v_rndne_f32_e32 v12, v10
	v_fmac_f32_e32 v11, 0x32a5705f, v5
	v_sub_f32_e32 v10, v10, v12
	v_add_f32_e32 v10, v10, v11
	v_exp_f32_e32 v10, v10
	v_cvt_i32_f32_e32 v11, v12
	s_mov_b32 s2, 0x42b17218
	v_cndmask_b32_e32 v9, 0, v9, vcc
	v_mov_b32_e32 v12, 0x7f800000
	v_cmp_nlt_f32_e32 vcc, s2, v4
	v_sub_f32_e32 v6, v6, v18
	v_cndmask_b32_e32 v4, v12, v9, vcc
	v_ldexp_f32 v9, v10, v11
	v_mul_f32_e32 v10, 0x3fb8aa3b, v6
	v_fma_f32 v11, v6, s0, -v10
	v_rndne_f32_e32 v13, v10
	v_fmac_f32_e32 v11, 0x32a5705f, v6
	v_sub_f32_e32 v10, v10, v13
	v_add_f32_e32 v10, v10, v11
	v_exp_f32_e32 v10, v10
	v_cvt_i32_f32_e32 v11, v13
	v_cmp_ngt_f32_e32 vcc, s1, v5
	v_cndmask_b32_e32 v9, 0, v9, vcc
	v_cmp_nlt_f32_e32 vcc, s2, v5
	v_sub_f32_e32 v7, v7, v18
	v_cndmask_b32_e32 v5, v12, v9, vcc
	v_mul_f32_e32 v9, 0x3fb8aa3b, v7
	v_add_f32_e32 v4, v4, v5
	v_ldexp_f32 v5, v10, v11
	v_fma_f32 v10, v7, s0, -v9
	v_rndne_f32_e32 v11, v9
	v_fmac_f32_e32 v10, 0x32a5705f, v7
	v_sub_f32_e32 v9, v9, v11
	v_add_f32_e32 v9, v9, v10
	v_exp_f32_e32 v9, v9
	v_cvt_i32_f32_e32 v10, v11
	v_cmp_ngt_f32_e32 vcc, s1, v6
	v_cndmask_b32_e32 v5, 0, v5, vcc
	v_cmp_nlt_f32_e32 vcc, s2, v6
	v_sub_f32_e32 v0, v0, v18
	v_cndmask_b32_e32 v5, v12, v5, vcc
	v_mul_f32_e32 v6, 0x3fb8aa3b, v0
	v_add_f32_e32 v4, v4, v5
	v_ldexp_f32 v5, v9, v10
	v_fma_f32 v9, v0, s0, -v6
	v_rndne_f32_e32 v10, v6
	v_fmac_f32_e32 v9, 0x32a5705f, v0
	v_sub_f32_e32 v6, v6, v10
	v_add_f32_e32 v6, v6, v9
	v_exp_f32_e32 v6, v6
	v_cvt_i32_f32_e32 v9, v10
	v_cmp_ngt_f32_e32 vcc, s1, v7
	v_cndmask_b32_e32 v5, 0, v5, vcc
	v_cmp_nlt_f32_e32 vcc, s2, v7
	v_cndmask_b32_e32 v5, v12, v5, vcc
	v_sub_f32_e32 v1, v1, v18
	v_add_f32_e32 v4, v4, v5
	v_ldexp_f32 v5, v6, v9
	v_mul_f32_e32 v6, 0x3fb8aa3b, v1
	v_fma_f32 v7, v1, s0, -v6
	v_rndne_f32_e32 v9, v6
	v_fmac_f32_e32 v7, 0x32a5705f, v1
	v_sub_f32_e32 v6, v6, v9
	v_add_f32_e32 v6, v6, v7
	v_exp_f32_e32 v6, v6
	v_cvt_i32_f32_e32 v7, v9
	v_cmp_ngt_f32_e32 vcc, s1, v0
	v_cndmask_b32_e32 v5, 0, v5, vcc
	v_cmp_nlt_f32_e32 vcc, s2, v0
	v_sub_f32_e32 v2, v2, v18
	v_cndmask_b32_e32 v0, v12, v5, vcc
	v_mul_f32_e32 v5, 0x3fb8aa3b, v2
	v_add_f32_e32 v0, v4, v0
	v_ldexp_f32 v4, v6, v7
	v_fma_f32 v6, v2, s0, -v5
	v_rndne_f32_e32 v7, v5
	v_fmac_f32_e32 v6, 0x32a5705f, v2
	v_sub_f32_e32 v5, v5, v7
	v_add_f32_e32 v5, v5, v6
	v_exp_f32_e32 v5, v5
	v_cvt_i32_f32_e32 v6, v7
	v_cmp_ngt_f32_e32 vcc, s1, v1
	v_cndmask_b32_e32 v4, 0, v4, vcc
	v_cmp_nlt_f32_e32 vcc, s2, v1
	v_sub_f32_e32 v3, v3, v18
	v_cndmask_b32_e32 v1, v12, v4, vcc
	v_mul_f32_e32 v4, 0x3fb8aa3b, v3
	v_add_f32_e32 v0, v0, v1
	v_ldexp_f32 v1, v5, v6
	v_fma_f32 v5, v3, s0, -v4
	v_rndne_f32_e32 v6, v4
	v_fmac_f32_e32 v5, 0x32a5705f, v3
	v_sub_f32_e32 v4, v4, v6
	v_add_f32_e32 v4, v4, v5
	v_exp_f32_e32 v4, v4
	v_cvt_i32_f32_e32 v5, v6
	v_cmp_ngt_f32_e32 vcc, s1, v2
	v_cndmask_b32_e32 v1, 0, v1, vcc
	v_cmp_nlt_f32_e32 vcc, s2, v2
	v_cndmask_b32_e32 v1, v12, v1, vcc
	v_add_f32_e32 v0, v0, v1
	v_ldexp_f32 v1, v4, v5
	v_cmp_ngt_f32_e32 vcc, s1, v3
	v_cndmask_b32_e32 v1, 0, v1, vcc
	v_cmp_nlt_f32_e32 vcc, s2, v3
	v_cndmask_b32_e32 v1, v12, v1, vcc
	v_add_f32_e32 v0, v0, v1
	v_cmp_eq_u32_e32 vcc, 0, v16
	s_nop 0
	v_mov_b32_dpp v1, v0 quad_perm:[1,0,3,2] row_mask:0xf bank_mask:0xf
	s_and_b64 exec, exec, vcc
	s_cbranch_execz .LBB48_32
; %bb.20:
	v_add_f32_e32 v0, v0, v1
	v_add_f32_e32 v0, v19, v0
	v_cmp_neq_f32_e32 vcc, 0, v0
	s_and_b64 exec, exec, vcc
	s_cbranch_execz .LBB48_32
; %bb.21:
	s_andn2_b64 vcc, exec, s[18:19]
	s_cbranch_vccnz .LBB48_32
; %bb.22:
	v_div_scale_f32 v1, s[0:1], v0, v0, 1.0
	v_rcp_f32_e32 v2, v1
	v_div_scale_f32 v3, vcc, 1.0, v0, 1.0
	s_cmp_gt_u32 s8, 3
	v_fma_f32 v4, -v1, v2, 1.0
	v_fmac_f32_e32 v2, v4, v2
	v_mul_f32_e32 v4, v3, v2
	v_fma_f32 v5, -v1, v4, v3
	v_fmac_f32_e32 v4, v5, v2
	v_fma_f32 v1, -v1, v4, v3
	v_div_fmas_f32 v1, v1, v2, v4
	v_div_fixup_f32 v0, v1, v0, 1.0
	v_ashrrev_i32_e32 v9, 31, v8
	s_cbranch_scc0 .LBB48_26
; %bb.23:
	v_lshlrev_b64 v[2:3], 2, v[8:9]
	v_mov_b32_e32 v4, s7
	v_add_co_u32_e32 v2, vcc, s6, v2
	v_addc_co_u32_e32 v3, vcc, v3, v4, vcc
	s_and_b32 s4, s8, 0x7ffffffc
	v_add_co_u32_e32 v2, vcc, 8, v2
	v_mov_b32_e32 v1, v0
	v_addc_co_u32_e32 v3, vcc, 0, v3, vcc
	s_mov_b32 s0, s4
.LBB48_24:                              ; =>This Inner Loop Header: Depth=1
	global_load_dwordx4 v[4:7], v[2:3], off offset:-8
	s_add_i32 s0, s0, -4
	s_cmp_lg_u32 s0, 0
	s_waitcnt vmcnt(0)
	v_pk_mul_f32 v[4:5], v[0:1], v[4:5]
	v_pk_mul_f32 v[6:7], v[0:1], v[6:7]
	global_store_dwordx4 v[2:3], v[4:7], off offset:-8
	v_add_co_u32_e32 v2, vcc, 16, v2
	v_addc_co_u32_e32 v3, vcc, 0, v3, vcc
	s_cbranch_scc1 .LBB48_24
; %bb.25:
	s_cmp_lg_u32 s4, s8
	s_mov_b64 s[2:3], 0
	s_cselect_b64 s[0:1], -1, 0
	s_branch .LBB48_27
.LBB48_26:
	s_mov_b64 s[2:3], -1
	s_mov_b64 s[0:1], 0
                                        ; implicit-def: $sgpr4
.LBB48_27:
	s_and_b64 vcc, exec, s[2:3]
	s_cbranch_vccz .LBB48_29
; %bb.28:
	s_mov_b64 s[0:1], -1
	s_mov_b32 s4, 0
.LBB48_29:
	s_andn2_b64 vcc, exec, s[0:1]
	s_cbranch_vccnz .LBB48_32
; %bb.30:
	v_add_co_u32_e32 v2, vcc, s4, v8
	v_addc_co_u32_e32 v3, vcc, 0, v9, vcc
	v_lshlrev_b64 v[2:3], 2, v[2:3]
	v_mov_b32_e32 v1, s7
	v_add_co_u32_e32 v2, vcc, s6, v2
	s_sub_i32 s0, s8, s4
	v_addc_co_u32_e32 v3, vcc, v1, v3, vcc
.LBB48_31:                              ; =>This Inner Loop Header: Depth=1
	global_load_dword v1, v[2:3], off
	s_add_i32 s0, s0, -1
	s_cmp_lg_u32 s0, 0
	s_waitcnt vmcnt(0)
	v_mul_f32_e32 v1, v0, v1
	global_store_dword v[2:3], v1, off
	v_add_co_u32_e32 v2, vcc, 4, v2
	v_addc_co_u32_e32 v3, vcc, 0, v3, vcc
	s_cbranch_scc1 .LBB48_31
.LBB48_32:
	s_endpgm
	.section	.rodata,"a",@progbits
	.p2align	6, 0x0
	.amdhsa_kernel _ZN4vllm3moe17topkGatingSoftmaxIfLi8ELi16ELi8ELi32ELb0ELi4ELNS0_23SharedExpertScoringFuncE1EEEvPKT_PKbPfiPiS9_iiiiii
		.amdhsa_group_segment_fixed_size 0
		.amdhsa_private_segment_fixed_size 0
		.amdhsa_kernarg_size 72
		.amdhsa_user_sgpr_count 6
		.amdhsa_user_sgpr_private_segment_buffer 1
		.amdhsa_user_sgpr_dispatch_ptr 0
		.amdhsa_user_sgpr_queue_ptr 0
		.amdhsa_user_sgpr_kernarg_segment_ptr 1
		.amdhsa_user_sgpr_dispatch_id 0
		.amdhsa_user_sgpr_flat_scratch_init 0
		.amdhsa_user_sgpr_kernarg_preload_length 0
		.amdhsa_user_sgpr_kernarg_preload_offset 0
		.amdhsa_user_sgpr_private_segment_size 0
		.amdhsa_uses_dynamic_stack 0
		.amdhsa_system_sgpr_private_segment_wavefront_offset 0
		.amdhsa_system_sgpr_workgroup_id_x 1
		.amdhsa_system_sgpr_workgroup_id_y 0
		.amdhsa_system_sgpr_workgroup_id_z 0
		.amdhsa_system_sgpr_workgroup_info 0
		.amdhsa_system_vgpr_workitem_id 1
		.amdhsa_next_free_vgpr 33
		.amdhsa_next_free_sgpr 24
		.amdhsa_accum_offset 36
		.amdhsa_reserve_vcc 1
		.amdhsa_reserve_flat_scratch 0
		.amdhsa_float_round_mode_32 0
		.amdhsa_float_round_mode_16_64 0
		.amdhsa_float_denorm_mode_32 3
		.amdhsa_float_denorm_mode_16_64 3
		.amdhsa_dx10_clamp 1
		.amdhsa_ieee_mode 1
		.amdhsa_fp16_overflow 0
		.amdhsa_tg_split 0
		.amdhsa_exception_fp_ieee_invalid_op 0
		.amdhsa_exception_fp_denorm_src 0
		.amdhsa_exception_fp_ieee_div_zero 0
		.amdhsa_exception_fp_ieee_overflow 0
		.amdhsa_exception_fp_ieee_underflow 0
		.amdhsa_exception_fp_ieee_inexact 0
		.amdhsa_exception_int_div_zero 0
	.end_amdhsa_kernel
	.section	.text._ZN4vllm3moe17topkGatingSoftmaxIfLi8ELi16ELi8ELi32ELb0ELi4ELNS0_23SharedExpertScoringFuncE1EEEvPKT_PKbPfiPiS9_iiiiii,"axG",@progbits,_ZN4vllm3moe17topkGatingSoftmaxIfLi8ELi16ELi8ELi32ELb0ELi4ELNS0_23SharedExpertScoringFuncE1EEEvPKT_PKbPfiPiS9_iiiiii,comdat
.Lfunc_end48:
	.size	_ZN4vllm3moe17topkGatingSoftmaxIfLi8ELi16ELi8ELi32ELb0ELi4ELNS0_23SharedExpertScoringFuncE1EEEvPKT_PKbPfiPiS9_iiiiii, .Lfunc_end48-_ZN4vllm3moe17topkGatingSoftmaxIfLi8ELi16ELi8ELi32ELb0ELi4ELNS0_23SharedExpertScoringFuncE1EEEvPKT_PKbPfiPiS9_iiiiii
                                        ; -- End function
	.section	.AMDGPU.csdata,"",@progbits
; Kernel info:
; codeLenInByte = 2772
; NumSgprs: 28
; NumVgprs: 33
; NumAgprs: 0
; TotalNumVgprs: 33
; ScratchSize: 0
; MemoryBound: 0
; FloatMode: 240
; IeeeMode: 1
; LDSByteSize: 0 bytes/workgroup (compile time only)
; SGPRBlocks: 3
; VGPRBlocks: 4
; NumSGPRsForWavesPerEU: 28
; NumVGPRsForWavesPerEU: 33
; AccumOffset: 36
; Occupancy: 8
; WaveLimiterHint : 0
; COMPUTE_PGM_RSRC2:SCRATCH_EN: 0
; COMPUTE_PGM_RSRC2:USER_SGPR: 6
; COMPUTE_PGM_RSRC2:TRAP_HANDLER: 0
; COMPUTE_PGM_RSRC2:TGID_X_EN: 1
; COMPUTE_PGM_RSRC2:TGID_Y_EN: 0
; COMPUTE_PGM_RSRC2:TGID_Z_EN: 0
; COMPUTE_PGM_RSRC2:TIDIG_COMP_CNT: 1
; COMPUTE_PGM_RSRC3_GFX90A:ACCUM_OFFSET: 8
; COMPUTE_PGM_RSRC3_GFX90A:TG_SPLIT: 0
	.section	.text._ZN4vllm3moe17topkGatingSoftmaxIfLi8ELi16ELi8ELi32ELb1ELi8ELNS0_23SharedExpertScoringFuncE1EEEvPKT_PKbPfiPiS9_iiiiii,"axG",@progbits,_ZN4vllm3moe17topkGatingSoftmaxIfLi8ELi16ELi8ELi32ELb1ELi8ELNS0_23SharedExpertScoringFuncE1EEEvPKT_PKbPfiPiS9_iiiiii,comdat
	.protected	_ZN4vllm3moe17topkGatingSoftmaxIfLi8ELi16ELi8ELi32ELb1ELi8ELNS0_23SharedExpertScoringFuncE1EEEvPKT_PKbPfiPiS9_iiiiii ; -- Begin function _ZN4vllm3moe17topkGatingSoftmaxIfLi8ELi16ELi8ELi32ELb1ELi8ELNS0_23SharedExpertScoringFuncE1EEEvPKT_PKbPfiPiS9_iiiiii
	.globl	_ZN4vllm3moe17topkGatingSoftmaxIfLi8ELi16ELi8ELi32ELb1ELi8ELNS0_23SharedExpertScoringFuncE1EEEvPKT_PKbPfiPiS9_iiiiii
	.p2align	8
	.type	_ZN4vllm3moe17topkGatingSoftmaxIfLi8ELi16ELi8ELi32ELb1ELi8ELNS0_23SharedExpertScoringFuncE1EEEvPKT_PKbPfiPiS9_iiiiii,@function
_ZN4vllm3moe17topkGatingSoftmaxIfLi8ELi16ELi8ELi32ELb1ELi8ELNS0_23SharedExpertScoringFuncE1EEEvPKT_PKbPfiPiS9_iiiiii: ; @_ZN4vllm3moe17topkGatingSoftmaxIfLi8ELi16ELi8ELi32ELb1ELi8ELNS0_23SharedExpertScoringFuncE1EEEvPKT_PKbPfiPiS9_iiiiii
; %bb.0:
	s_load_dword s24, s[4:5], 0x18
	v_bfe_u32 v1, v0, 10, 10
	v_and_b32_e32 v0, 0x3ff, v0
	s_lshl_b32 s25, s6, 8
	v_lshlrev_b32_e32 v14, 5, v1
	v_lshrrev_b32_e32 v15, 1, v0
	v_add3_u32 v26, s25, v14, v15
	s_waitcnt lgkmcnt(0)
	v_cmp_gt_i32_e32 vcc, s24, v26
	s_and_saveexec_b64 s[0:1], vcc
	s_cbranch_execz .LBB49_30
; %bb.1:
	s_load_dwordx4 s[0:3], s[4:5], 0x0
	s_load_dwordx2 s[16:17], s[4:5], 0x10
	s_mov_b64 s[6:7], 0
	s_waitcnt lgkmcnt(0)
	s_cmp_eq_u64 s[2:3], 0
	s_cbranch_scc1 .LBB49_3
; %bb.2:
	v_ashrrev_i32_e32 v1, 31, v26
	v_mov_b32_e32 v3, s3
	v_add_co_u32_e32 v2, vcc, s2, v26
	v_addc_co_u32_e32 v3, vcc, v3, v1, vcc
	global_load_ubyte v1, v[2:3], off
	s_waitcnt vmcnt(0)
	v_and_b32_e32 v1, 1, v1
	v_cmp_eq_u32_e32 vcc, 1, v1
	s_xor_b64 s[2:3], vcc, -1
	s_orn2_b64 s[18:19], s[2:3], exec
	s_branch .LBB49_4
.LBB49_3:
	s_mov_b64 s[18:19], -1
.LBB49_4:
	s_load_dwordx2 s[22:23], s[4:5], 0x40
	s_load_dwordx4 s[8:11], s[4:5], 0x30
	v_mov_b32_e32 v1, s1
	v_and_b32_e32 v16, 1, v0
	v_lshlrev_b32_e32 v0, 5, v16
	s_waitcnt lgkmcnt(0)
	v_mul_lo_u32 v2, v26, s23
	v_ashrrev_i32_e32 v3, 31, v2
	v_lshlrev_b64 v[10:11], 2, v[2:3]
	v_add_co_u32_e32 v2, vcc, s0, v10
	v_addc_co_u32_e32 v1, vcc, v1, v11, vcc
	v_add_co_u32_e32 v8, vcc, v2, v0
	v_addc_co_u32_e32 v9, vcc, 0, v1, vcc
	global_load_dwordx4 v[0:3], v[8:9], off offset:16
	global_load_dwordx4 v[4:7], v[8:9], off
	v_lshlrev_b32_e32 v12, 2, v16
	v_add_co_u32_e32 v10, vcc, v10, v12
	v_addc_co_u32_e32 v11, vcc, 0, v11, vcc
	v_mov_b32_e32 v12, s1
	v_add_co_u32_e32 v10, vcc, s0, v10
	v_addc_co_u32_e32 v11, vcc, v11, v12, vcc
	v_mul_lo_u32 v8, v26, s11
	v_add_co_u32_e32 v10, vcc, 64, v10
	v_lshlrev_b32_e32 v17, 3, v16
	v_add_u32_e32 v9, s8, v8
	v_addc_co_u32_e32 v11, vcc, 0, v11, vcc
	s_mov_b32 s0, 0xbfb8aa3b
	s_mov_b32 s1, 0x42ce8ed0
	;; [unrolled: 1-line block ×3, first 2 shown]
	v_mov_b32_e32 v12, 0x7f800000
	v_mov_b32_e32 v13, s17
	;; [unrolled: 1-line block ×3, first 2 shown]
.LBB49_5:                               ; =>This Inner Loop Header: Depth=1
	global_load_dword v19, v[10:11], off
	v_add_co_u32_e32 v10, vcc, 8, v10
	v_add_u32_e32 v22, 2, v18
	v_addc_co_u32_e32 v11, vcc, 0, v11, vcc
	v_add_u32_e32 v20, v9, v18
	v_cmp_lt_u32_e32 vcc, 5, v18
	v_mov_b32_e32 v18, v22
	v_ashrrev_i32_e32 v21, 31, v20
	v_lshlrev_b64 v[20:21], 2, v[20:21]
	s_or_b64 s[6:7], vcc, s[6:7]
	v_add_co_u32_e32 v20, vcc, s16, v20
	v_addc_co_u32_e32 v21, vcc, v13, v21, vcc
	s_waitcnt vmcnt(0)
	v_mul_f32_e32 v22, 0xbfb8aa3b, v19
	v_rndne_f32_e32 v23, v22
	v_fma_f32 v24, v19, s0, -v22
	v_sub_f32_e32 v22, v22, v23
	v_fmac_f32_e32 v24, 0xb2a5705f, v19
	v_add_f32_e32 v22, v22, v24
	v_cvt_i32_f32_e32 v23, v23
	v_exp_f32_e32 v22, v22
	v_cmp_nlt_f32_e32 vcc, s1, v19
	v_ldexp_f32 v22, v22, v23
	v_cndmask_b32_e32 v22, 0, v22, vcc
	v_cmp_ngt_f32_e32 vcc, s2, v19
	v_cndmask_b32_e32 v19, v12, v22, vcc
	v_add_f32_e32 v19, 1.0, v19
	v_div_scale_f32 v22, s[12:13], v19, v19, 1.0
	v_rcp_f32_e32 v23, v22
	v_div_scale_f32 v24, vcc, 1.0, v19, 1.0
	v_fma_f32 v25, -v22, v23, 1.0
	v_fmac_f32_e32 v23, v25, v23
	v_mul_f32_e32 v25, v24, v23
	v_fma_f32 v27, -v22, v25, v24
	v_fmac_f32_e32 v25, v27, v23
	v_fma_f32 v22, -v22, v25, v24
	v_div_fmas_f32 v22, v22, v23, v25
	v_div_fixup_f32 v19, v22, v19, 1.0
	global_store_dword v[20:21], v19, off
	s_andn2_b64 exec, exec, s[6:7]
	s_cbranch_execnz .LBB49_5
; %bb.6:
	s_or_b64 exec, exec, s[6:7]
	v_cmp_lt_f32_e32 vcc, v4, v5
	v_or_b32_e32 v18, 1, v17
	v_cndmask_b32_e32 v10, v4, v5, vcc
	v_cndmask_b32_e32 v9, v17, v18, vcc
	v_cmp_lt_f32_e32 vcc, v10, v6
	v_or_b32_e32 v19, 2, v17
	v_cndmask_b32_e32 v10, v10, v6, vcc
	v_cndmask_b32_e32 v9, v9, v19, vcc
	;; [unrolled: 4-line block ×6, first 2 shown]
	v_or_b32_e32 v24, 7, v17
	v_cmp_lt_f32_e32 vcc, v11, v3
	s_cmp_gt_i32 s8, 0
	v_cndmask_b32_e32 v10, v9, v24, vcc
	v_cndmask_b32_e32 v9, v11, v3, vcc
	s_cselect_b64 s[20:21], -1, 0
	v_mov_b32_dpp v12, v10 quad_perm:[1,0,3,2] row_mask:0xf bank_mask:0xf
	v_mov_b32_dpp v11, v9 quad_perm:[1,0,3,2] row_mask:0xf bank_mask:0xf
	s_and_b64 vcc, exec, s[20:21]
	v_cmp_eq_u32_e64 s[0:1], 0, v16
	s_cbranch_vccz .LBB49_18
; %bb.7:
	s_load_dwordx4 s[12:15], s[4:5], 0x20
	v_cmp_eq_f32_e64 s[2:3], v9, v11
	v_cmp_lt_i32_e64 s[6:7], v12, v10
	v_cmp_lt_f32_e32 vcc, v9, v11
	s_and_b64 s[2:3], s[2:3], s[6:7]
	s_or_b64 vcc, vcc, s[2:3]
	v_cndmask_b32_e32 v28, v10, v12, vcc
	v_cndmask_b32_e32 v27, v9, v11, vcc
	v_mul_lo_u32 v12, v26, s22
	v_mul_lo_u32 v10, v26, s8
	v_mov_b32_e32 v25, 0
	s_and_saveexec_b64 s[4:5], s[0:1]
	s_cbranch_execz .LBB49_9
; %bb.8:
	v_sub_f32_e32 v9, v27, v27
	v_mul_f32_e32 v11, 0x3fb8aa3b, v9
	s_mov_b32 s2, 0x3fb8aa3b
	v_rndne_f32_e32 v13, v11
	v_sub_f32_e32 v25, v11, v13
	v_fma_f32 v11, v9, s2, -v11
	v_fmac_f32_e32 v11, 0x32a5705f, v9
	v_add_f32_e32 v11, v25, v11
	v_exp_f32_e32 v11, v11
	v_cvt_i32_f32_e32 v13, v13
	v_cmp_le_i32_e32 vcc, s9, v28
	v_cmp_gt_i32_e64 s[2:3], s10, v28
	s_mov_b32 s6, 0xc2ce8ed0
	s_and_b64 s[2:3], vcc, s[2:3]
	v_ldexp_f32 v11, v11, v13
	v_cmp_ngt_f32_e32 vcc, s6, v9
	s_mov_b32 s6, 0x42b17218
	v_cndmask_b32_e32 v11, 0, v11, vcc
	v_cmp_nlt_f32_e32 vcc, s6, v9
	v_ashrrev_i32_e32 v9, 31, v8
	v_mov_b32_e32 v13, 0x7f800000
	v_lshlrev_b64 v[30:31], 2, v[8:9]
	v_cndmask_b32_e32 v25, v13, v11, vcc
	v_mov_b32_e32 v9, s17
	v_add_co_u32_e32 v30, vcc, s16, v30
	v_addc_co_u32_e32 v31, vcc, v9, v31, vcc
	v_ashrrev_i32_e32 v13, 31, v12
	global_store_dword v[30:31], v25, off
	v_subrev_u32_e32 v9, s9, v28
	s_and_b64 vcc, s[18:19], s[2:3]
	v_lshlrev_b64 v[30:31], 2, v[12:13]
	v_cndmask_b32_e32 v9, 16, v9, vcc
	s_waitcnt lgkmcnt(0)
	v_mov_b32_e32 v11, s13
	v_add_co_u32_e32 v30, vcc, s12, v30
	v_addc_co_u32_e32 v31, vcc, v11, v31, vcc
	v_ashrrev_i32_e32 v11, 31, v10
	global_store_dword v[30:31], v9, off
	v_lshlrev_b64 v[30:31], 2, v[10:11]
	v_mov_b32_e32 v9, s15
	v_add_co_u32_e32 v30, vcc, s14, v30
	v_addc_co_u32_e32 v31, vcc, v9, v31, vcc
	global_store_dword v[30:31], v26, off
.LBB49_9:
	s_or_b64 exec, exec, s[4:5]
	v_ashrrev_i32_e32 v11, 31, v28
	v_lshrrev_b32_e32 v9, 29, v11
	v_add_u32_e32 v13, v28, v9
	v_ashrrev_i32_e32 v9, 3, v13
	v_lshrrev_b32_e32 v13, 31, v13
	v_add_u32_e32 v13, v9, v13
	v_and_b32_e32 v13, -2, v13
	v_sub_u32_e32 v13, v9, v13
	v_cmp_eq_u32_e32 vcc, v16, v13
	s_and_saveexec_b64 s[2:3], vcc
	s_cbranch_execz .LBB49_11
; %bb.10:
	v_lshrrev_b32_e32 v11, 28, v11
	v_add_u32_e32 v11, v28, v11
	v_lshlrev_b32_e32 v9, 3, v9
	v_ashrrev_i32_e32 v11, 4, v11
	v_sub_u32_e32 v9, v28, v9
	v_lshl_add_u32 v9, v11, 3, v9
	v_mov_b32_e32 v11, 0xff800000
	v_cmp_ne_u32_e32 vcc, 7, v9
	v_cndmask_b32_e32 v3, v11, v3, vcc
	v_cmp_ne_u32_e32 vcc, 6, v9
	v_cndmask_b32_e32 v2, v11, v2, vcc
	;; [unrolled: 2-line block ×8, first 2 shown]
.LBB49_11:
	s_or_b64 exec, exec, s[2:3]
	s_cmp_eq_u32 s8, 1
	s_cbranch_scc1 .LBB49_19
; %bb.12:
	s_add_i32 s25, s25, s24
	s_add_i32 s6, s8, -1
	v_add3_u32 v9, s25, v15, v14
	v_add_u32_e32 v10, 1, v10
	v_add_u32_e32 v12, 1, v12
	;; [unrolled: 1-line block ×3, first 2 shown]
	s_mov_b32 s7, 0x3fb8aa3b
	s_mov_b32 s11, 0xc2ce8ed0
	;; [unrolled: 1-line block ×3, first 2 shown]
	v_mov_b32_e32 v26, 0x7f800000
	v_mov_b32_e32 v28, 0xff800000
	s_branch .LBB49_14
.LBB49_13:                              ;   in Loop: Header=BB49_14 Depth=1
	s_or_b64 exec, exec, s[2:3]
	s_add_i32 s6, s6, -1
	v_add_u32_e32 v9, s24, v9
	v_add_u32_e32 v10, 1, v10
	;; [unrolled: 1-line block ×3, first 2 shown]
	s_cmp_eq_u32 s6, 0
	v_add_u32_e32 v14, 1, v14
	s_cbranch_scc1 .LBB49_19
.LBB49_14:                              ; =>This Inner Loop Header: Depth=1
	v_cmp_gt_f32_e32 vcc, v5, v4
	v_cndmask_b32_e32 v13, v4, v5, vcc
	v_cndmask_b32_e32 v11, v17, v18, vcc
	v_cmp_gt_f32_e32 vcc, v6, v13
	v_cndmask_b32_e32 v13, v13, v6, vcc
	v_cndmask_b32_e32 v11, v11, v19, vcc
	;; [unrolled: 3-line block ×7, first 2 shown]
	s_nop 0
	v_mov_b32_dpp v29, v15 quad_perm:[1,0,3,2] row_mask:0xf bank_mask:0xf
	v_mov_b32_dpp v13, v11 quad_perm:[1,0,3,2] row_mask:0xf bank_mask:0xf
	v_cmp_eq_f32_e64 s[2:3], v11, v13
	v_cmp_lt_i32_e64 s[4:5], v29, v15
	v_cmp_lt_f32_e32 vcc, v11, v13
	s_and_b64 s[2:3], s[2:3], s[4:5]
	s_or_b64 vcc, vcc, s[2:3]
	v_cndmask_b32_e32 v29, v15, v29, vcc
	s_and_saveexec_b64 s[4:5], s[0:1]
	s_cbranch_execz .LBB49_16
; %bb.15:                               ;   in Loop: Header=BB49_14 Depth=1
	v_cndmask_b32_e32 v11, v11, v13, vcc
	v_sub_f32_e32 v11, v11, v27
	v_mul_f32_e32 v13, 0x3fb8aa3b, v11
	v_fma_f32 v15, v11, s7, -v13
	v_rndne_f32_e32 v30, v13
	v_fmac_f32_e32 v15, 0x32a5705f, v11
	v_sub_f32_e32 v13, v13, v30
	v_add_f32_e32 v13, v13, v15
	v_exp_f32_e32 v13, v13
	v_cvt_i32_f32_e32 v15, v30
	v_cmp_le_i32_e32 vcc, s9, v29
	v_cmp_gt_i32_e64 s[2:3], s10, v29
	s_and_b64 s[2:3], vcc, s[2:3]
	v_ldexp_f32 v13, v13, v15
	v_cmp_ngt_f32_e32 vcc, s11, v11
	v_ashrrev_i32_e32 v15, 31, v14
	v_cndmask_b32_e32 v13, 0, v13, vcc
	v_cmp_nlt_f32_e32 vcc, s22, v11
	v_lshlrev_b64 v[30:31], 2, v[14:15]
	v_cndmask_b32_e32 v32, v26, v13, vcc
	v_mov_b32_e32 v11, s17
	v_add_co_u32_e32 v30, vcc, s16, v30
	v_addc_co_u32_e32 v31, vcc, v11, v31, vcc
	v_ashrrev_i32_e32 v13, 31, v12
	global_store_dword v[30:31], v32, off
	v_subrev_u32_e32 v11, s9, v29
	s_and_b64 vcc, s[18:19], s[2:3]
	v_lshlrev_b64 v[30:31], 2, v[12:13]
	v_cndmask_b32_e32 v11, 16, v11, vcc
	s_waitcnt lgkmcnt(0)
	v_mov_b32_e32 v13, s13
	v_add_co_u32_e32 v30, vcc, s12, v30
	v_addc_co_u32_e32 v31, vcc, v13, v31, vcc
	global_store_dword v[30:31], v11, off
	v_ashrrev_i32_e32 v11, 31, v10
	v_lshlrev_b64 v[30:31], 2, v[10:11]
	v_mov_b32_e32 v11, s15
	v_add_co_u32_e32 v30, vcc, s14, v30
	v_addc_co_u32_e32 v31, vcc, v11, v31, vcc
	v_add_f32_e32 v25, v25, v32
	global_store_dword v[30:31], v9, off
.LBB49_16:                              ;   in Loop: Header=BB49_14 Depth=1
	s_or_b64 exec, exec, s[4:5]
	v_ashrrev_i32_e32 v13, 31, v29
	v_lshrrev_b32_e32 v11, 29, v13
	v_add_u32_e32 v15, v29, v11
	v_ashrrev_i32_e32 v11, 3, v15
	v_lshrrev_b32_e32 v15, 31, v15
	v_add_u32_e32 v15, v11, v15
	v_and_b32_e32 v15, -2, v15
	v_sub_u32_e32 v15, v11, v15
	v_cmp_eq_u32_e32 vcc, v16, v15
	s_and_saveexec_b64 s[2:3], vcc
	s_cbranch_execz .LBB49_13
; %bb.17:                               ;   in Loop: Header=BB49_14 Depth=1
	v_lshrrev_b32_e32 v13, 28, v13
	v_add_u32_e32 v13, v29, v13
	v_lshlrev_b32_e32 v11, 3, v11
	v_ashrrev_i32_e32 v13, 4, v13
	v_sub_u32_e32 v11, v29, v11
	v_lshl_add_u32 v11, v13, 3, v11
	v_cmp_ne_u32_e32 vcc, 7, v11
	v_cndmask_b32_e32 v3, v28, v3, vcc
	v_cmp_ne_u32_e32 vcc, 6, v11
	v_cndmask_b32_e32 v2, v28, v2, vcc
	;; [unrolled: 2-line block ×8, first 2 shown]
	s_branch .LBB49_13
.LBB49_18:
	v_mov_b32_e32 v25, 0
.LBB49_19:
	v_cmp_eq_u32_e32 vcc, 0, v16
	v_cmp_neq_f32_e64 s[0:1], 0, v25
	s_and_b64 s[0:1], vcc, s[0:1]
	s_and_b64 exec, exec, s[0:1]
	s_cbranch_execz .LBB49_30
; %bb.20:
	s_andn2_b64 vcc, exec, s[20:21]
	s_cbranch_vccnz .LBB49_30
; %bb.21:
	v_div_scale_f32 v0, s[0:1], v25, v25, 1.0
	v_rcp_f32_e32 v1, v0
	v_div_scale_f32 v2, vcc, 1.0, v25, 1.0
	s_cmp_gt_u32 s8, 3
	v_fma_f32 v3, -v0, v1, 1.0
	v_fmac_f32_e32 v1, v3, v1
	v_mul_f32_e32 v3, v2, v1
	v_fma_f32 v4, -v0, v3, v2
	v_fmac_f32_e32 v3, v4, v1
	v_fma_f32 v0, -v0, v3, v2
	v_div_fmas_f32 v0, v0, v1, v3
	v_div_fixup_f32 v0, v0, v25, 1.0
	v_ashrrev_i32_e32 v9, 31, v8
	s_cbranch_scc0 .LBB49_25
; %bb.22:
	v_lshlrev_b64 v[2:3], 2, v[8:9]
	v_mov_b32_e32 v4, s17
	v_add_co_u32_e32 v2, vcc, s16, v2
	v_addc_co_u32_e32 v3, vcc, v3, v4, vcc
	s_and_b32 s4, s8, 0x7ffffffc
	v_add_co_u32_e32 v2, vcc, 8, v2
	v_mov_b32_e32 v1, v0
	v_addc_co_u32_e32 v3, vcc, 0, v3, vcc
	s_mov_b32 s0, s4
.LBB49_23:                              ; =>This Inner Loop Header: Depth=1
	global_load_dwordx4 v[4:7], v[2:3], off offset:-8
	s_add_i32 s0, s0, -4
	s_cmp_lg_u32 s0, 0
	s_waitcnt vmcnt(0)
	v_pk_mul_f32 v[4:5], v[0:1], v[4:5]
	v_pk_mul_f32 v[6:7], v[0:1], v[6:7]
	global_store_dwordx4 v[2:3], v[4:7], off offset:-8
	v_add_co_u32_e32 v2, vcc, 16, v2
	v_addc_co_u32_e32 v3, vcc, 0, v3, vcc
	s_cbranch_scc1 .LBB49_23
; %bb.24:
	s_cmp_lg_u32 s4, s8
	s_cselect_b64 s[0:1], -1, 0
	s_branch .LBB49_27
.LBB49_25:
	s_mov_b64 s[0:1], 0
                                        ; implicit-def: $sgpr4
	s_cbranch_execz .LBB49_27
; %bb.26:
	s_mov_b64 s[0:1], -1
	s_mov_b32 s4, 0
.LBB49_27:
	s_andn2_b64 vcc, exec, s[0:1]
	s_cbranch_vccnz .LBB49_30
; %bb.28:
	v_add_co_u32_e32 v2, vcc, s4, v8
	v_addc_co_u32_e32 v3, vcc, 0, v9, vcc
	v_lshlrev_b64 v[2:3], 2, v[2:3]
	v_mov_b32_e32 v1, s17
	v_add_co_u32_e32 v2, vcc, s16, v2
	s_sub_i32 s0, s8, s4
	v_addc_co_u32_e32 v3, vcc, v1, v3, vcc
.LBB49_29:                              ; =>This Inner Loop Header: Depth=1
	global_load_dword v1, v[2:3], off
	s_add_i32 s0, s0, -1
	s_cmp_lg_u32 s0, 0
	s_waitcnt vmcnt(0)
	v_mul_f32_e32 v1, v0, v1
	global_store_dword v[2:3], v1, off
	v_add_co_u32_e32 v2, vcc, 4, v2
	v_addc_co_u32_e32 v3, vcc, 0, v3, vcc
	s_cbranch_scc1 .LBB49_29
.LBB49_30:
	s_endpgm
	.section	.rodata,"a",@progbits
	.p2align	6, 0x0
	.amdhsa_kernel _ZN4vllm3moe17topkGatingSoftmaxIfLi8ELi16ELi8ELi32ELb1ELi8ELNS0_23SharedExpertScoringFuncE1EEEvPKT_PKbPfiPiS9_iiiiii
		.amdhsa_group_segment_fixed_size 0
		.amdhsa_private_segment_fixed_size 0
		.amdhsa_kernarg_size 72
		.amdhsa_user_sgpr_count 6
		.amdhsa_user_sgpr_private_segment_buffer 1
		.amdhsa_user_sgpr_dispatch_ptr 0
		.amdhsa_user_sgpr_queue_ptr 0
		.amdhsa_user_sgpr_kernarg_segment_ptr 1
		.amdhsa_user_sgpr_dispatch_id 0
		.amdhsa_user_sgpr_flat_scratch_init 0
		.amdhsa_user_sgpr_kernarg_preload_length 0
		.amdhsa_user_sgpr_kernarg_preload_offset 0
		.amdhsa_user_sgpr_private_segment_size 0
		.amdhsa_uses_dynamic_stack 0
		.amdhsa_system_sgpr_private_segment_wavefront_offset 0
		.amdhsa_system_sgpr_workgroup_id_x 1
		.amdhsa_system_sgpr_workgroup_id_y 0
		.amdhsa_system_sgpr_workgroup_id_z 0
		.amdhsa_system_sgpr_workgroup_info 0
		.amdhsa_system_vgpr_workitem_id 1
		.amdhsa_next_free_vgpr 33
		.amdhsa_next_free_sgpr 26
		.amdhsa_accum_offset 36
		.amdhsa_reserve_vcc 1
		.amdhsa_reserve_flat_scratch 0
		.amdhsa_float_round_mode_32 0
		.amdhsa_float_round_mode_16_64 0
		.amdhsa_float_denorm_mode_32 3
		.amdhsa_float_denorm_mode_16_64 3
		.amdhsa_dx10_clamp 1
		.amdhsa_ieee_mode 1
		.amdhsa_fp16_overflow 0
		.amdhsa_tg_split 0
		.amdhsa_exception_fp_ieee_invalid_op 0
		.amdhsa_exception_fp_denorm_src 0
		.amdhsa_exception_fp_ieee_div_zero 0
		.amdhsa_exception_fp_ieee_overflow 0
		.amdhsa_exception_fp_ieee_underflow 0
		.amdhsa_exception_fp_ieee_inexact 0
		.amdhsa_exception_int_div_zero 0
	.end_amdhsa_kernel
	.section	.text._ZN4vllm3moe17topkGatingSoftmaxIfLi8ELi16ELi8ELi32ELb1ELi8ELNS0_23SharedExpertScoringFuncE1EEEvPKT_PKbPfiPiS9_iiiiii,"axG",@progbits,_ZN4vllm3moe17topkGatingSoftmaxIfLi8ELi16ELi8ELi32ELb1ELi8ELNS0_23SharedExpertScoringFuncE1EEEvPKT_PKbPfiPiS9_iiiiii,comdat
.Lfunc_end49:
	.size	_ZN4vllm3moe17topkGatingSoftmaxIfLi8ELi16ELi8ELi32ELb1ELi8ELNS0_23SharedExpertScoringFuncE1EEEvPKT_PKbPfiPiS9_iiiiii, .Lfunc_end49-_ZN4vllm3moe17topkGatingSoftmaxIfLi8ELi16ELi8ELi32ELb1ELi8ELNS0_23SharedExpertScoringFuncE1EEEvPKT_PKbPfiPiS9_iiiiii
                                        ; -- End function
	.section	.AMDGPU.csdata,"",@progbits
; Kernel info:
; codeLenInByte = 2092
; NumSgprs: 30
; NumVgprs: 33
; NumAgprs: 0
; TotalNumVgprs: 33
; ScratchSize: 0
; MemoryBound: 0
; FloatMode: 240
; IeeeMode: 1
; LDSByteSize: 0 bytes/workgroup (compile time only)
; SGPRBlocks: 3
; VGPRBlocks: 4
; NumSGPRsForWavesPerEU: 30
; NumVGPRsForWavesPerEU: 33
; AccumOffset: 36
; Occupancy: 8
; WaveLimiterHint : 0
; COMPUTE_PGM_RSRC2:SCRATCH_EN: 0
; COMPUTE_PGM_RSRC2:USER_SGPR: 6
; COMPUTE_PGM_RSRC2:TRAP_HANDLER: 0
; COMPUTE_PGM_RSRC2:TGID_X_EN: 1
; COMPUTE_PGM_RSRC2:TGID_Y_EN: 0
; COMPUTE_PGM_RSRC2:TGID_Z_EN: 0
; COMPUTE_PGM_RSRC2:TIDIG_COMP_CNT: 1
; COMPUTE_PGM_RSRC3_GFX90A:ACCUM_OFFSET: 8
; COMPUTE_PGM_RSRC3_GFX90A:TG_SPLIT: 0
	.section	.text._ZN4vllm3moe17topkGatingSoftmaxIfLi8ELi16ELi8ELi32ELb0ELi8ELNS0_23SharedExpertScoringFuncE1EEEvPKT_PKbPfiPiS9_iiiiii,"axG",@progbits,_ZN4vllm3moe17topkGatingSoftmaxIfLi8ELi16ELi8ELi32ELb0ELi8ELNS0_23SharedExpertScoringFuncE1EEEvPKT_PKbPfiPiS9_iiiiii,comdat
	.protected	_ZN4vllm3moe17topkGatingSoftmaxIfLi8ELi16ELi8ELi32ELb0ELi8ELNS0_23SharedExpertScoringFuncE1EEEvPKT_PKbPfiPiS9_iiiiii ; -- Begin function _ZN4vllm3moe17topkGatingSoftmaxIfLi8ELi16ELi8ELi32ELb0ELi8ELNS0_23SharedExpertScoringFuncE1EEEvPKT_PKbPfiPiS9_iiiiii
	.globl	_ZN4vllm3moe17topkGatingSoftmaxIfLi8ELi16ELi8ELi32ELb0ELi8ELNS0_23SharedExpertScoringFuncE1EEEvPKT_PKbPfiPiS9_iiiiii
	.p2align	8
	.type	_ZN4vllm3moe17topkGatingSoftmaxIfLi8ELi16ELi8ELi32ELb0ELi8ELNS0_23SharedExpertScoringFuncE1EEEvPKT_PKbPfiPiS9_iiiiii,@function
_ZN4vllm3moe17topkGatingSoftmaxIfLi8ELi16ELi8ELi32ELb0ELi8ELNS0_23SharedExpertScoringFuncE1EEEvPKT_PKbPfiPiS9_iiiiii: ; @_ZN4vllm3moe17topkGatingSoftmaxIfLi8ELi16ELi8ELi32ELb0ELi8ELNS0_23SharedExpertScoringFuncE1EEEvPKT_PKbPfiPiS9_iiiiii
; %bb.0:
	s_load_dword s22, s[4:5], 0x18
	v_bfe_u32 v1, v0, 10, 10
	v_and_b32_e32 v0, 0x3ff, v0
	s_lshl_b32 s23, s6, 8
	v_lshlrev_b32_e32 v14, 5, v1
	v_lshrrev_b32_e32 v15, 1, v0
	v_add3_u32 v27, s23, v14, v15
	s_waitcnt lgkmcnt(0)
	v_cmp_gt_i32_e32 vcc, s22, v27
	s_and_saveexec_b64 s[0:1], vcc
	s_cbranch_execz .LBB50_32
; %bb.1:
	s_load_dwordx4 s[0:3], s[4:5], 0x0
	s_load_dwordx2 s[6:7], s[4:5], 0x10
	s_mov_b64 s[12:13], 0
	s_waitcnt lgkmcnt(0)
	s_cmp_eq_u64 s[2:3], 0
	s_cbranch_scc1 .LBB50_3
; %bb.2:
	v_ashrrev_i32_e32 v1, 31, v27
	v_mov_b32_e32 v3, s3
	v_add_co_u32_e32 v2, vcc, s2, v27
	v_addc_co_u32_e32 v3, vcc, v3, v1, vcc
	global_load_ubyte v1, v[2:3], off
	s_waitcnt vmcnt(0)
	v_and_b32_e32 v1, 1, v1
	v_cmp_eq_u32_e32 vcc, 1, v1
	s_xor_b64 s[2:3], vcc, -1
	s_orn2_b64 s[16:17], s[2:3], exec
	s_branch .LBB50_4
.LBB50_3:
	s_mov_b64 s[16:17], -1
.LBB50_4:
	s_load_dwordx2 s[20:21], s[4:5], 0x40
	s_load_dwordx4 s[8:11], s[4:5], 0x30
	v_mov_b32_e32 v1, s1
	v_and_b32_e32 v16, 1, v0
	v_lshlrev_b32_e32 v0, 5, v16
	s_waitcnt lgkmcnt(0)
	v_mul_lo_u32 v2, v27, s21
	v_ashrrev_i32_e32 v3, 31, v2
	v_lshlrev_b64 v[10:11], 2, v[2:3]
	v_add_co_u32_e32 v2, vcc, s0, v10
	v_addc_co_u32_e32 v1, vcc, v1, v11, vcc
	v_add_co_u32_e32 v8, vcc, v2, v0
	v_addc_co_u32_e32 v9, vcc, 0, v1, vcc
	global_load_dwordx4 v[0:3], v[8:9], off offset:16
	global_load_dwordx4 v[4:7], v[8:9], off
	v_lshlrev_b32_e32 v12, 2, v16
	v_add_co_u32_e32 v10, vcc, v10, v12
	v_addc_co_u32_e32 v11, vcc, 0, v11, vcc
	v_mov_b32_e32 v12, s1
	v_add_co_u32_e32 v10, vcc, s0, v10
	v_addc_co_u32_e32 v11, vcc, v11, v12, vcc
	v_mul_lo_u32 v8, v27, s11
	v_add_co_u32_e32 v10, vcc, 64, v10
	v_lshlrev_b32_e32 v17, 3, v16
	v_add_u32_e32 v9, s8, v8
	v_addc_co_u32_e32 v11, vcc, 0, v11, vcc
	s_mov_b32 s0, 0xbfb8aa3b
	s_mov_b32 s1, 0x42ce8ed0
	;; [unrolled: 1-line block ×3, first 2 shown]
	v_mov_b32_e32 v12, 0x7f800000
	v_mov_b32_e32 v13, s7
	;; [unrolled: 1-line block ×3, first 2 shown]
.LBB50_5:                               ; =>This Inner Loop Header: Depth=1
	global_load_dword v19, v[10:11], off
	v_add_co_u32_e32 v10, vcc, 8, v10
	v_add_u32_e32 v22, 2, v18
	v_addc_co_u32_e32 v11, vcc, 0, v11, vcc
	v_add_u32_e32 v20, v9, v18
	v_cmp_lt_u32_e32 vcc, 5, v18
	v_mov_b32_e32 v18, v22
	v_ashrrev_i32_e32 v21, 31, v20
	v_lshlrev_b64 v[20:21], 2, v[20:21]
	s_or_b64 s[12:13], vcc, s[12:13]
	v_add_co_u32_e32 v20, vcc, s6, v20
	v_addc_co_u32_e32 v21, vcc, v13, v21, vcc
	s_waitcnt vmcnt(0)
	v_mul_f32_e32 v22, 0xbfb8aa3b, v19
	v_rndne_f32_e32 v23, v22
	v_fma_f32 v24, v19, s0, -v22
	v_sub_f32_e32 v22, v22, v23
	v_fmac_f32_e32 v24, 0xb2a5705f, v19
	v_add_f32_e32 v22, v22, v24
	v_cvt_i32_f32_e32 v23, v23
	v_exp_f32_e32 v22, v22
	v_cmp_nlt_f32_e32 vcc, s1, v19
	v_ldexp_f32 v22, v22, v23
	v_cndmask_b32_e32 v22, 0, v22, vcc
	v_cmp_ngt_f32_e32 vcc, s2, v19
	v_cndmask_b32_e32 v19, v12, v22, vcc
	v_add_f32_e32 v19, 1.0, v19
	v_div_scale_f32 v22, s[14:15], v19, v19, 1.0
	v_rcp_f32_e32 v23, v22
	v_div_scale_f32 v24, vcc, 1.0, v19, 1.0
	v_fma_f32 v25, -v22, v23, 1.0
	v_fmac_f32_e32 v23, v25, v23
	v_mul_f32_e32 v25, v24, v23
	v_fma_f32 v26, -v22, v25, v24
	v_fmac_f32_e32 v25, v26, v23
	v_fma_f32 v22, -v22, v25, v24
	v_div_fmas_f32 v22, v22, v23, v25
	v_div_fixup_f32 v19, v22, v19, 1.0
	global_store_dword v[20:21], v19, off
	s_andn2_b64 exec, exec, s[12:13]
	s_cbranch_execnz .LBB50_5
; %bb.6:
	s_or_b64 exec, exec, s[12:13]
	v_cmp_lt_f32_e32 vcc, v4, v5
	v_or_b32_e32 v20, 1, v17
	v_cndmask_b32_e32 v10, v4, v5, vcc
	v_cndmask_b32_e32 v9, v17, v20, vcc
	v_cmp_lt_f32_e32 vcc, v10, v6
	v_or_b32_e32 v21, 2, v17
	v_cndmask_b32_e32 v10, v10, v6, vcc
	v_cndmask_b32_e32 v9, v9, v21, vcc
	;; [unrolled: 4-line block ×6, first 2 shown]
	v_or_b32_e32 v26, 7, v17
	v_cmp_lt_f32_e32 vcc, v10, v3
	v_cndmask_b32_e32 v9, v9, v26, vcc
	v_cndmask_b32_e32 v11, v10, v3, vcc
	s_nop 0
	v_mov_b32_dpp v10, v9 quad_perm:[1,0,3,2] row_mask:0xf bank_mask:0xf
	v_mov_b32_dpp v12, v11 quad_perm:[1,0,3,2] row_mask:0xf bank_mask:0xf
	v_cmp_eq_f32_e64 s[0:1], v11, v12
	v_cmp_lt_i32_e64 s[2:3], v10, v9
	v_cmp_lt_f32_e32 vcc, v11, v12
	s_and_b64 s[0:1], s[0:1], s[2:3]
	s_or_b64 s[2:3], vcc, s[0:1]
	s_cmp_gt_i32 s8, 0
	s_cselect_b64 s[18:19], -1, 0
	v_cndmask_b32_e64 v18, v11, v12, s[2:3]
	s_and_b64 vcc, exec, s[18:19]
	v_cmp_eq_u32_e64 s[0:1], 0, v16
	s_cbranch_vccz .LBB50_18
; %bb.7:
	s_load_dwordx4 s[12:15], s[4:5], 0x20
	v_cndmask_b32_e64 v28, v9, v10, s[2:3]
	v_mul_lo_u32 v12, v27, s20
	v_mul_lo_u32 v10, v27, s8
	v_mov_b32_e32 v19, 0
	s_and_saveexec_b64 s[4:5], s[0:1]
	s_cbranch_execz .LBB50_9
; %bb.8:
	v_sub_f32_e32 v9, v18, v18
	v_mul_f32_e32 v11, 0x3fb8aa3b, v9
	s_mov_b32 s2, 0x3fb8aa3b
	v_rndne_f32_e32 v13, v11
	v_sub_f32_e32 v19, v11, v13
	v_fma_f32 v11, v9, s2, -v11
	v_fmac_f32_e32 v11, 0x32a5705f, v9
	v_add_f32_e32 v11, v19, v11
	v_exp_f32_e32 v11, v11
	v_cvt_i32_f32_e32 v13, v13
	v_cmp_le_i32_e32 vcc, s9, v28
	v_cmp_gt_i32_e64 s[2:3], s10, v28
	s_mov_b32 s11, 0xc2ce8ed0
	s_and_b64 s[2:3], vcc, s[2:3]
	v_ldexp_f32 v11, v11, v13
	v_cmp_ngt_f32_e32 vcc, s11, v9
	s_mov_b32 s11, 0x42b17218
	v_cndmask_b32_e32 v11, 0, v11, vcc
	v_cmp_nlt_f32_e32 vcc, s11, v9
	v_ashrrev_i32_e32 v9, 31, v8
	v_mov_b32_e32 v13, 0x7f800000
	v_lshlrev_b64 v[30:31], 2, v[8:9]
	v_cndmask_b32_e32 v19, v13, v11, vcc
	v_mov_b32_e32 v9, s7
	v_add_co_u32_e32 v30, vcc, s6, v30
	v_addc_co_u32_e32 v31, vcc, v9, v31, vcc
	v_ashrrev_i32_e32 v13, 31, v12
	global_store_dword v[30:31], v19, off
	v_subrev_u32_e32 v9, s9, v28
	s_and_b64 vcc, s[16:17], s[2:3]
	v_lshlrev_b64 v[30:31], 2, v[12:13]
	v_cndmask_b32_e32 v9, 16, v9, vcc
	s_waitcnt lgkmcnt(0)
	v_mov_b32_e32 v11, s13
	v_add_co_u32_e32 v30, vcc, s12, v30
	v_addc_co_u32_e32 v31, vcc, v11, v31, vcc
	v_ashrrev_i32_e32 v11, 31, v10
	global_store_dword v[30:31], v9, off
	v_lshlrev_b64 v[30:31], 2, v[10:11]
	v_mov_b32_e32 v9, s15
	v_add_co_u32_e32 v30, vcc, s14, v30
	v_addc_co_u32_e32 v31, vcc, v9, v31, vcc
	global_store_dword v[30:31], v27, off
.LBB50_9:
	s_or_b64 exec, exec, s[4:5]
	v_ashrrev_i32_e32 v11, 31, v28
	v_lshrrev_b32_e32 v9, 29, v11
	v_add_u32_e32 v13, v28, v9
	v_ashrrev_i32_e32 v9, 3, v13
	v_lshrrev_b32_e32 v13, 31, v13
	v_add_u32_e32 v13, v9, v13
	v_and_b32_e32 v13, -2, v13
	v_sub_u32_e32 v13, v9, v13
	v_cmp_eq_u32_e32 vcc, v16, v13
	s_and_saveexec_b64 s[2:3], vcc
	s_cbranch_execz .LBB50_11
; %bb.10:
	v_lshrrev_b32_e32 v11, 28, v11
	v_add_u32_e32 v11, v28, v11
	v_lshlrev_b32_e32 v9, 3, v9
	v_ashrrev_i32_e32 v11, 4, v11
	v_sub_u32_e32 v9, v28, v9
	v_lshl_add_u32 v9, v11, 3, v9
	v_mov_b32_e32 v11, 0xff800000
	v_cmp_ne_u32_e32 vcc, 7, v9
	v_cndmask_b32_e32 v3, v11, v3, vcc
	v_cmp_ne_u32_e32 vcc, 6, v9
	v_cndmask_b32_e32 v2, v11, v2, vcc
	v_cmp_ne_u32_e32 vcc, 5, v9
	v_cndmask_b32_e32 v1, v11, v1, vcc
	v_cmp_ne_u32_e32 vcc, 4, v9
	v_cndmask_b32_e32 v0, v11, v0, vcc
	v_cmp_ne_u32_e32 vcc, 3, v9
	v_cndmask_b32_e32 v7, v11, v7, vcc
	v_cmp_ne_u32_e32 vcc, 2, v9
	v_cndmask_b32_e32 v6, v11, v6, vcc
	v_cmp_ne_u32_e32 vcc, 1, v9
	v_cndmask_b32_e32 v5, v11, v5, vcc
	v_cmp_ne_u32_e32 vcc, 0, v9
	v_cndmask_b32_e32 v4, v11, v4, vcc
.LBB50_11:
	s_or_b64 exec, exec, s[2:3]
	s_cmp_eq_u32 s8, 1
	s_cbranch_scc1 .LBB50_19
; %bb.12:
	s_add_i32 s23, s23, s22
	s_add_i32 s11, s8, -1
	v_add3_u32 v9, s23, v15, v14
	v_add_u32_e32 v10, 1, v10
	v_add_u32_e32 v12, 1, v12
	;; [unrolled: 1-line block ×3, first 2 shown]
	s_mov_b32 s20, 0x3fb8aa3b
	s_mov_b32 s21, 0xc2ce8ed0
	;; [unrolled: 1-line block ×3, first 2 shown]
	v_mov_b32_e32 v27, 0x7f800000
	v_mov_b32_e32 v28, 0xff800000
	s_branch .LBB50_14
.LBB50_13:                              ;   in Loop: Header=BB50_14 Depth=1
	s_or_b64 exec, exec, s[2:3]
	s_add_i32 s11, s11, -1
	v_add_u32_e32 v9, s22, v9
	v_add_u32_e32 v10, 1, v10
	;; [unrolled: 1-line block ×3, first 2 shown]
	s_cmp_eq_u32 s11, 0
	v_add_u32_e32 v14, 1, v14
	s_cbranch_scc1 .LBB50_19
.LBB50_14:                              ; =>This Inner Loop Header: Depth=1
	v_cmp_gt_f32_e32 vcc, v5, v4
	v_cndmask_b32_e32 v13, v4, v5, vcc
	v_cndmask_b32_e32 v11, v17, v20, vcc
	v_cmp_gt_f32_e32 vcc, v6, v13
	v_cndmask_b32_e32 v13, v13, v6, vcc
	v_cndmask_b32_e32 v11, v11, v21, vcc
	;; [unrolled: 3-line block ×7, first 2 shown]
	s_nop 0
	v_mov_b32_dpp v29, v15 quad_perm:[1,0,3,2] row_mask:0xf bank_mask:0xf
	v_mov_b32_dpp v13, v11 quad_perm:[1,0,3,2] row_mask:0xf bank_mask:0xf
	v_cmp_eq_f32_e64 s[2:3], v11, v13
	v_cmp_lt_i32_e64 s[4:5], v29, v15
	v_cmp_lt_f32_e32 vcc, v11, v13
	s_and_b64 s[2:3], s[2:3], s[4:5]
	s_or_b64 vcc, vcc, s[2:3]
	v_cndmask_b32_e32 v29, v15, v29, vcc
	s_and_saveexec_b64 s[4:5], s[0:1]
	s_cbranch_execz .LBB50_16
; %bb.15:                               ;   in Loop: Header=BB50_14 Depth=1
	v_cndmask_b32_e32 v11, v11, v13, vcc
	v_sub_f32_e32 v11, v11, v18
	v_mul_f32_e32 v13, 0x3fb8aa3b, v11
	v_fma_f32 v15, v11, s20, -v13
	v_rndne_f32_e32 v30, v13
	v_fmac_f32_e32 v15, 0x32a5705f, v11
	v_sub_f32_e32 v13, v13, v30
	v_add_f32_e32 v13, v13, v15
	v_exp_f32_e32 v13, v13
	v_cvt_i32_f32_e32 v15, v30
	v_cmp_le_i32_e32 vcc, s9, v29
	v_cmp_gt_i32_e64 s[2:3], s10, v29
	s_and_b64 s[2:3], vcc, s[2:3]
	v_ldexp_f32 v13, v13, v15
	v_cmp_ngt_f32_e32 vcc, s21, v11
	v_ashrrev_i32_e32 v15, 31, v14
	v_cndmask_b32_e32 v13, 0, v13, vcc
	v_cmp_nlt_f32_e32 vcc, s23, v11
	v_lshlrev_b64 v[30:31], 2, v[14:15]
	v_cndmask_b32_e32 v32, v27, v13, vcc
	v_mov_b32_e32 v11, s7
	v_add_co_u32_e32 v30, vcc, s6, v30
	v_addc_co_u32_e32 v31, vcc, v11, v31, vcc
	v_ashrrev_i32_e32 v13, 31, v12
	global_store_dword v[30:31], v32, off
	v_subrev_u32_e32 v11, s9, v29
	s_and_b64 vcc, s[16:17], s[2:3]
	v_lshlrev_b64 v[30:31], 2, v[12:13]
	v_cndmask_b32_e32 v11, 16, v11, vcc
	s_waitcnt lgkmcnt(0)
	v_mov_b32_e32 v13, s13
	v_add_co_u32_e32 v30, vcc, s12, v30
	v_addc_co_u32_e32 v31, vcc, v13, v31, vcc
	global_store_dword v[30:31], v11, off
	v_ashrrev_i32_e32 v11, 31, v10
	v_lshlrev_b64 v[30:31], 2, v[10:11]
	v_mov_b32_e32 v11, s15
	v_add_co_u32_e32 v30, vcc, s14, v30
	v_addc_co_u32_e32 v31, vcc, v11, v31, vcc
	v_add_f32_e32 v19, v19, v32
	global_store_dword v[30:31], v9, off
.LBB50_16:                              ;   in Loop: Header=BB50_14 Depth=1
	s_or_b64 exec, exec, s[4:5]
	v_ashrrev_i32_e32 v13, 31, v29
	v_lshrrev_b32_e32 v11, 29, v13
	v_add_u32_e32 v15, v29, v11
	v_ashrrev_i32_e32 v11, 3, v15
	v_lshrrev_b32_e32 v15, 31, v15
	v_add_u32_e32 v15, v11, v15
	v_and_b32_e32 v15, -2, v15
	v_sub_u32_e32 v15, v11, v15
	v_cmp_eq_u32_e32 vcc, v16, v15
	s_and_saveexec_b64 s[2:3], vcc
	s_cbranch_execz .LBB50_13
; %bb.17:                               ;   in Loop: Header=BB50_14 Depth=1
	v_lshrrev_b32_e32 v13, 28, v13
	v_add_u32_e32 v13, v29, v13
	v_lshlrev_b32_e32 v11, 3, v11
	v_ashrrev_i32_e32 v13, 4, v13
	v_sub_u32_e32 v11, v29, v11
	v_lshl_add_u32 v11, v13, 3, v11
	v_cmp_ne_u32_e32 vcc, 7, v11
	v_cndmask_b32_e32 v3, v28, v3, vcc
	v_cmp_ne_u32_e32 vcc, 6, v11
	v_cndmask_b32_e32 v2, v28, v2, vcc
	;; [unrolled: 2-line block ×8, first 2 shown]
	s_branch .LBB50_13
.LBB50_18:
	v_mov_b32_e32 v19, 0
.LBB50_19:
	v_sub_f32_e32 v4, v4, v18
	s_mov_b32 s0, 0x3fb8aa3b
	v_mul_f32_e32 v9, 0x3fb8aa3b, v4
	v_fma_f32 v10, v4, s0, -v9
	v_rndne_f32_e32 v11, v9
	v_fmac_f32_e32 v10, 0x32a5705f, v4
	v_sub_f32_e32 v9, v9, v11
	v_add_f32_e32 v9, v9, v10
	v_exp_f32_e32 v9, v9
	v_cvt_i32_f32_e32 v10, v11
	v_sub_f32_e32 v5, v5, v18
	s_mov_b32 s1, 0xc2ce8ed0
	v_cmp_ngt_f32_e32 vcc, s1, v4
	v_ldexp_f32 v9, v9, v10
	v_mul_f32_e32 v10, 0x3fb8aa3b, v5
	v_fma_f32 v11, v5, s0, -v10
	v_rndne_f32_e32 v12, v10
	v_fmac_f32_e32 v11, 0x32a5705f, v5
	v_sub_f32_e32 v10, v10, v12
	v_add_f32_e32 v10, v10, v11
	v_exp_f32_e32 v10, v10
	v_cvt_i32_f32_e32 v11, v12
	s_mov_b32 s2, 0x42b17218
	v_cndmask_b32_e32 v9, 0, v9, vcc
	v_mov_b32_e32 v12, 0x7f800000
	v_cmp_nlt_f32_e32 vcc, s2, v4
	v_sub_f32_e32 v6, v6, v18
	v_cndmask_b32_e32 v4, v12, v9, vcc
	v_ldexp_f32 v9, v10, v11
	v_mul_f32_e32 v10, 0x3fb8aa3b, v6
	v_fma_f32 v11, v6, s0, -v10
	v_rndne_f32_e32 v13, v10
	v_fmac_f32_e32 v11, 0x32a5705f, v6
	v_sub_f32_e32 v10, v10, v13
	v_add_f32_e32 v10, v10, v11
	v_exp_f32_e32 v10, v10
	v_cvt_i32_f32_e32 v11, v13
	v_cmp_ngt_f32_e32 vcc, s1, v5
	v_cndmask_b32_e32 v9, 0, v9, vcc
	v_cmp_nlt_f32_e32 vcc, s2, v5
	v_sub_f32_e32 v7, v7, v18
	v_cndmask_b32_e32 v5, v12, v9, vcc
	v_mul_f32_e32 v9, 0x3fb8aa3b, v7
	v_add_f32_e32 v4, v4, v5
	v_ldexp_f32 v5, v10, v11
	v_fma_f32 v10, v7, s0, -v9
	v_rndne_f32_e32 v11, v9
	v_fmac_f32_e32 v10, 0x32a5705f, v7
	v_sub_f32_e32 v9, v9, v11
	v_add_f32_e32 v9, v9, v10
	v_exp_f32_e32 v9, v9
	v_cvt_i32_f32_e32 v10, v11
	v_cmp_ngt_f32_e32 vcc, s1, v6
	v_cndmask_b32_e32 v5, 0, v5, vcc
	v_cmp_nlt_f32_e32 vcc, s2, v6
	v_sub_f32_e32 v0, v0, v18
	v_cndmask_b32_e32 v5, v12, v5, vcc
	v_mul_f32_e32 v6, 0x3fb8aa3b, v0
	v_add_f32_e32 v4, v4, v5
	v_ldexp_f32 v5, v9, v10
	v_fma_f32 v9, v0, s0, -v6
	v_rndne_f32_e32 v10, v6
	v_fmac_f32_e32 v9, 0x32a5705f, v0
	v_sub_f32_e32 v6, v6, v10
	v_add_f32_e32 v6, v6, v9
	v_exp_f32_e32 v6, v6
	v_cvt_i32_f32_e32 v9, v10
	v_cmp_ngt_f32_e32 vcc, s1, v7
	v_cndmask_b32_e32 v5, 0, v5, vcc
	v_cmp_nlt_f32_e32 vcc, s2, v7
	v_cndmask_b32_e32 v5, v12, v5, vcc
	v_sub_f32_e32 v1, v1, v18
	v_add_f32_e32 v4, v4, v5
	v_ldexp_f32 v5, v6, v9
	v_mul_f32_e32 v6, 0x3fb8aa3b, v1
	v_fma_f32 v7, v1, s0, -v6
	v_rndne_f32_e32 v9, v6
	v_fmac_f32_e32 v7, 0x32a5705f, v1
	v_sub_f32_e32 v6, v6, v9
	v_add_f32_e32 v6, v6, v7
	v_exp_f32_e32 v6, v6
	v_cvt_i32_f32_e32 v7, v9
	v_cmp_ngt_f32_e32 vcc, s1, v0
	v_cndmask_b32_e32 v5, 0, v5, vcc
	v_cmp_nlt_f32_e32 vcc, s2, v0
	v_sub_f32_e32 v2, v2, v18
	v_cndmask_b32_e32 v0, v12, v5, vcc
	v_mul_f32_e32 v5, 0x3fb8aa3b, v2
	v_add_f32_e32 v0, v4, v0
	v_ldexp_f32 v4, v6, v7
	v_fma_f32 v6, v2, s0, -v5
	v_rndne_f32_e32 v7, v5
	v_fmac_f32_e32 v6, 0x32a5705f, v2
	v_sub_f32_e32 v5, v5, v7
	v_add_f32_e32 v5, v5, v6
	v_exp_f32_e32 v5, v5
	v_cvt_i32_f32_e32 v6, v7
	v_cmp_ngt_f32_e32 vcc, s1, v1
	v_cndmask_b32_e32 v4, 0, v4, vcc
	v_cmp_nlt_f32_e32 vcc, s2, v1
	v_sub_f32_e32 v3, v3, v18
	v_cndmask_b32_e32 v1, v12, v4, vcc
	v_mul_f32_e32 v4, 0x3fb8aa3b, v3
	v_add_f32_e32 v0, v0, v1
	v_ldexp_f32 v1, v5, v6
	v_fma_f32 v5, v3, s0, -v4
	v_rndne_f32_e32 v6, v4
	v_fmac_f32_e32 v5, 0x32a5705f, v3
	v_sub_f32_e32 v4, v4, v6
	v_add_f32_e32 v4, v4, v5
	v_exp_f32_e32 v4, v4
	v_cvt_i32_f32_e32 v5, v6
	v_cmp_ngt_f32_e32 vcc, s1, v2
	v_cndmask_b32_e32 v1, 0, v1, vcc
	v_cmp_nlt_f32_e32 vcc, s2, v2
	v_cndmask_b32_e32 v1, v12, v1, vcc
	v_add_f32_e32 v0, v0, v1
	v_ldexp_f32 v1, v4, v5
	v_cmp_ngt_f32_e32 vcc, s1, v3
	v_cndmask_b32_e32 v1, 0, v1, vcc
	v_cmp_nlt_f32_e32 vcc, s2, v3
	v_cndmask_b32_e32 v1, v12, v1, vcc
	v_add_f32_e32 v0, v0, v1
	v_cmp_eq_u32_e32 vcc, 0, v16
	s_nop 0
	v_mov_b32_dpp v1, v0 quad_perm:[1,0,3,2] row_mask:0xf bank_mask:0xf
	s_and_b64 exec, exec, vcc
	s_cbranch_execz .LBB50_32
; %bb.20:
	v_add_f32_e32 v0, v0, v1
	v_add_f32_e32 v0, v19, v0
	v_cmp_neq_f32_e32 vcc, 0, v0
	s_and_b64 exec, exec, vcc
	s_cbranch_execz .LBB50_32
; %bb.21:
	s_andn2_b64 vcc, exec, s[18:19]
	s_cbranch_vccnz .LBB50_32
; %bb.22:
	v_div_scale_f32 v1, s[0:1], v0, v0, 1.0
	v_rcp_f32_e32 v2, v1
	v_div_scale_f32 v3, vcc, 1.0, v0, 1.0
	s_cmp_gt_u32 s8, 3
	v_fma_f32 v4, -v1, v2, 1.0
	v_fmac_f32_e32 v2, v4, v2
	v_mul_f32_e32 v4, v3, v2
	v_fma_f32 v5, -v1, v4, v3
	v_fmac_f32_e32 v4, v5, v2
	v_fma_f32 v1, -v1, v4, v3
	v_div_fmas_f32 v1, v1, v2, v4
	v_div_fixup_f32 v0, v1, v0, 1.0
	v_ashrrev_i32_e32 v9, 31, v8
	s_cbranch_scc0 .LBB50_26
; %bb.23:
	v_lshlrev_b64 v[2:3], 2, v[8:9]
	v_mov_b32_e32 v4, s7
	v_add_co_u32_e32 v2, vcc, s6, v2
	v_addc_co_u32_e32 v3, vcc, v3, v4, vcc
	s_and_b32 s4, s8, 0x7ffffffc
	v_add_co_u32_e32 v2, vcc, 8, v2
	v_mov_b32_e32 v1, v0
	v_addc_co_u32_e32 v3, vcc, 0, v3, vcc
	s_mov_b32 s0, s4
.LBB50_24:                              ; =>This Inner Loop Header: Depth=1
	global_load_dwordx4 v[4:7], v[2:3], off offset:-8
	s_add_i32 s0, s0, -4
	s_cmp_lg_u32 s0, 0
	s_waitcnt vmcnt(0)
	v_pk_mul_f32 v[4:5], v[0:1], v[4:5]
	v_pk_mul_f32 v[6:7], v[0:1], v[6:7]
	global_store_dwordx4 v[2:3], v[4:7], off offset:-8
	v_add_co_u32_e32 v2, vcc, 16, v2
	v_addc_co_u32_e32 v3, vcc, 0, v3, vcc
	s_cbranch_scc1 .LBB50_24
; %bb.25:
	s_cmp_lg_u32 s4, s8
	s_mov_b64 s[2:3], 0
	s_cselect_b64 s[0:1], -1, 0
	s_branch .LBB50_27
.LBB50_26:
	s_mov_b64 s[2:3], -1
	s_mov_b64 s[0:1], 0
                                        ; implicit-def: $sgpr4
.LBB50_27:
	s_and_b64 vcc, exec, s[2:3]
	s_cbranch_vccz .LBB50_29
; %bb.28:
	s_mov_b64 s[0:1], -1
	s_mov_b32 s4, 0
.LBB50_29:
	s_andn2_b64 vcc, exec, s[0:1]
	s_cbranch_vccnz .LBB50_32
; %bb.30:
	v_add_co_u32_e32 v2, vcc, s4, v8
	v_addc_co_u32_e32 v3, vcc, 0, v9, vcc
	v_lshlrev_b64 v[2:3], 2, v[2:3]
	v_mov_b32_e32 v1, s7
	v_add_co_u32_e32 v2, vcc, s6, v2
	s_sub_i32 s0, s8, s4
	v_addc_co_u32_e32 v3, vcc, v1, v3, vcc
.LBB50_31:                              ; =>This Inner Loop Header: Depth=1
	global_load_dword v1, v[2:3], off
	s_add_i32 s0, s0, -1
	s_cmp_lg_u32 s0, 0
	s_waitcnt vmcnt(0)
	v_mul_f32_e32 v1, v0, v1
	global_store_dword v[2:3], v1, off
	v_add_co_u32_e32 v2, vcc, 4, v2
	v_addc_co_u32_e32 v3, vcc, 0, v3, vcc
	s_cbranch_scc1 .LBB50_31
.LBB50_32:
	s_endpgm
	.section	.rodata,"a",@progbits
	.p2align	6, 0x0
	.amdhsa_kernel _ZN4vllm3moe17topkGatingSoftmaxIfLi8ELi16ELi8ELi32ELb0ELi8ELNS0_23SharedExpertScoringFuncE1EEEvPKT_PKbPfiPiS9_iiiiii
		.amdhsa_group_segment_fixed_size 0
		.amdhsa_private_segment_fixed_size 0
		.amdhsa_kernarg_size 72
		.amdhsa_user_sgpr_count 6
		.amdhsa_user_sgpr_private_segment_buffer 1
		.amdhsa_user_sgpr_dispatch_ptr 0
		.amdhsa_user_sgpr_queue_ptr 0
		.amdhsa_user_sgpr_kernarg_segment_ptr 1
		.amdhsa_user_sgpr_dispatch_id 0
		.amdhsa_user_sgpr_flat_scratch_init 0
		.amdhsa_user_sgpr_kernarg_preload_length 0
		.amdhsa_user_sgpr_kernarg_preload_offset 0
		.amdhsa_user_sgpr_private_segment_size 0
		.amdhsa_uses_dynamic_stack 0
		.amdhsa_system_sgpr_private_segment_wavefront_offset 0
		.amdhsa_system_sgpr_workgroup_id_x 1
		.amdhsa_system_sgpr_workgroup_id_y 0
		.amdhsa_system_sgpr_workgroup_id_z 0
		.amdhsa_system_sgpr_workgroup_info 0
		.amdhsa_system_vgpr_workitem_id 1
		.amdhsa_next_free_vgpr 33
		.amdhsa_next_free_sgpr 24
		.amdhsa_accum_offset 36
		.amdhsa_reserve_vcc 1
		.amdhsa_reserve_flat_scratch 0
		.amdhsa_float_round_mode_32 0
		.amdhsa_float_round_mode_16_64 0
		.amdhsa_float_denorm_mode_32 3
		.amdhsa_float_denorm_mode_16_64 3
		.amdhsa_dx10_clamp 1
		.amdhsa_ieee_mode 1
		.amdhsa_fp16_overflow 0
		.amdhsa_tg_split 0
		.amdhsa_exception_fp_ieee_invalid_op 0
		.amdhsa_exception_fp_denorm_src 0
		.amdhsa_exception_fp_ieee_div_zero 0
		.amdhsa_exception_fp_ieee_overflow 0
		.amdhsa_exception_fp_ieee_underflow 0
		.amdhsa_exception_fp_ieee_inexact 0
		.amdhsa_exception_int_div_zero 0
	.end_amdhsa_kernel
	.section	.text._ZN4vllm3moe17topkGatingSoftmaxIfLi8ELi16ELi8ELi32ELb0ELi8ELNS0_23SharedExpertScoringFuncE1EEEvPKT_PKbPfiPiS9_iiiiii,"axG",@progbits,_ZN4vllm3moe17topkGatingSoftmaxIfLi8ELi16ELi8ELi32ELb0ELi8ELNS0_23SharedExpertScoringFuncE1EEEvPKT_PKbPfiPiS9_iiiiii,comdat
.Lfunc_end50:
	.size	_ZN4vllm3moe17topkGatingSoftmaxIfLi8ELi16ELi8ELi32ELb0ELi8ELNS0_23SharedExpertScoringFuncE1EEEvPKT_PKbPfiPiS9_iiiiii, .Lfunc_end50-_ZN4vllm3moe17topkGatingSoftmaxIfLi8ELi16ELi8ELi32ELb0ELi8ELNS0_23SharedExpertScoringFuncE1EEEvPKT_PKbPfiPiS9_iiiiii
                                        ; -- End function
	.section	.AMDGPU.csdata,"",@progbits
; Kernel info:
; codeLenInByte = 2772
; NumSgprs: 28
; NumVgprs: 33
; NumAgprs: 0
; TotalNumVgprs: 33
; ScratchSize: 0
; MemoryBound: 0
; FloatMode: 240
; IeeeMode: 1
; LDSByteSize: 0 bytes/workgroup (compile time only)
; SGPRBlocks: 3
; VGPRBlocks: 4
; NumSGPRsForWavesPerEU: 28
; NumVGPRsForWavesPerEU: 33
; AccumOffset: 36
; Occupancy: 8
; WaveLimiterHint : 0
; COMPUTE_PGM_RSRC2:SCRATCH_EN: 0
; COMPUTE_PGM_RSRC2:USER_SGPR: 6
; COMPUTE_PGM_RSRC2:TRAP_HANDLER: 0
; COMPUTE_PGM_RSRC2:TGID_X_EN: 1
; COMPUTE_PGM_RSRC2:TGID_Y_EN: 0
; COMPUTE_PGM_RSRC2:TGID_Z_EN: 0
; COMPUTE_PGM_RSRC2:TIDIG_COMP_CNT: 1
; COMPUTE_PGM_RSRC3_GFX90A:ACCUM_OFFSET: 8
; COMPUTE_PGM_RSRC3_GFX90A:TG_SPLIT: 0
	.section	.text._ZN4vllm3moe17topkGatingSoftmaxIfLi8ELi32ELi8ELi32ELb1ELi0ELNS0_23SharedExpertScoringFuncE0EEEvPKT_PKbPfiPiS9_iiiiii,"axG",@progbits,_ZN4vllm3moe17topkGatingSoftmaxIfLi8ELi32ELi8ELi32ELb1ELi0ELNS0_23SharedExpertScoringFuncE0EEEvPKT_PKbPfiPiS9_iiiiii,comdat
	.protected	_ZN4vllm3moe17topkGatingSoftmaxIfLi8ELi32ELi8ELi32ELb1ELi0ELNS0_23SharedExpertScoringFuncE0EEEvPKT_PKbPfiPiS9_iiiiii ; -- Begin function _ZN4vllm3moe17topkGatingSoftmaxIfLi8ELi32ELi8ELi32ELb1ELi0ELNS0_23SharedExpertScoringFuncE0EEEvPKT_PKbPfiPiS9_iiiiii
	.globl	_ZN4vllm3moe17topkGatingSoftmaxIfLi8ELi32ELi8ELi32ELb1ELi0ELNS0_23SharedExpertScoringFuncE0EEEvPKT_PKbPfiPiS9_iiiiii
	.p2align	8
	.type	_ZN4vllm3moe17topkGatingSoftmaxIfLi8ELi32ELi8ELi32ELb1ELi0ELNS0_23SharedExpertScoringFuncE0EEEvPKT_PKbPfiPiS9_iiiiii,@function
_ZN4vllm3moe17topkGatingSoftmaxIfLi8ELi32ELi8ELi32ELb1ELi0ELNS0_23SharedExpertScoringFuncE0EEEvPKT_PKbPfiPiS9_iiiiii: ; @_ZN4vllm3moe17topkGatingSoftmaxIfLi8ELi32ELi8ELi32ELb1ELi0ELNS0_23SharedExpertScoringFuncE0EEEvPKT_PKbPfiPiS9_iiiiii
; %bb.0:
	s_load_dword s24, s[4:5], 0x18
	v_bfe_u32 v1, v0, 10, 10
	v_and_b32_e32 v0, 0x3ff, v0
	s_lshl_b32 s25, s6, 7
	v_lshlrev_b32_e32 v26, 4, v1
	v_lshrrev_b32_e32 v27, 2, v0
	v_add3_u32 v14, s25, v26, v27
	s_waitcnt lgkmcnt(0)
	v_cmp_gt_i32_e32 vcc, s24, v14
	s_and_saveexec_b64 s[0:1], vcc
	s_cbranch_execz .LBB51_27
; %bb.1:
	s_load_dwordx4 s[0:3], s[4:5], 0x0
	s_load_dwordx2 s[16:17], s[4:5], 0x10
	s_waitcnt lgkmcnt(0)
	s_cmp_eq_u64 s[2:3], 0
	s_cbranch_scc1 .LBB51_3
; %bb.2:
	v_ashrrev_i32_e32 v1, 31, v14
	v_mov_b32_e32 v3, s3
	v_add_co_u32_e32 v2, vcc, s2, v14
	v_addc_co_u32_e32 v3, vcc, v3, v1, vcc
	global_load_ubyte v1, v[2:3], off
	s_waitcnt vmcnt(0)
	v_and_b32_e32 v1, 1, v1
	v_cmp_eq_u32_e32 vcc, 1, v1
	s_xor_b64 s[2:3], vcc, -1
	s_orn2_b64 s[18:19], s[2:3], exec
	s_branch .LBB51_4
.LBB51_3:
	s_mov_b64 s[18:19], -1
.LBB51_4:
	s_load_dwordx2 s[22:23], s[4:5], 0x40
	s_load_dwordx4 s[8:11], s[4:5], 0x30
	v_mov_b32_e32 v1, s1
	v_and_b32_e32 v15, 3, v0
	v_lshlrev_b32_e32 v0, 5, v15
	s_waitcnt lgkmcnt(0)
	v_mul_lo_u32 v2, v14, s23
	v_ashrrev_i32_e32 v3, 31, v2
	v_lshlrev_b64 v[2:3], 2, v[2:3]
	v_add_co_u32_e32 v2, vcc, s0, v2
	v_addc_co_u32_e32 v1, vcc, v1, v3, vcc
	v_add_co_u32_e32 v8, vcc, v2, v0
	v_addc_co_u32_e32 v9, vcc, 0, v1, vcc
	global_load_dwordx4 v[0:3], v[8:9], off
	global_load_dwordx4 v[4:7], v[8:9], off offset:16
	v_lshlrev_b32_e32 v17, 3, v15
	v_or_b32_e32 v18, 1, v17
	v_or_b32_e32 v19, 2, v17
	;; [unrolled: 1-line block ×7, first 2 shown]
	v_mov_b32_e32 v16, 0
	s_waitcnt vmcnt(1)
	v_cmp_lt_f32_e32 vcc, v0, v1
	v_cndmask_b32_e32 v9, v0, v1, vcc
	v_cndmask_b32_e32 v8, v17, v18, vcc
	v_cmp_lt_f32_e32 vcc, v9, v2
	v_cndmask_b32_e32 v9, v9, v2, vcc
	v_cndmask_b32_e32 v8, v8, v19, vcc
	;; [unrolled: 3-line block ×3, first 2 shown]
	s_waitcnt vmcnt(0)
	v_cmp_lt_f32_e32 vcc, v9, v4
	v_cndmask_b32_e32 v9, v9, v4, vcc
	v_cndmask_b32_e32 v8, v8, v21, vcc
	v_cmp_lt_f32_e32 vcc, v9, v5
	v_cndmask_b32_e32 v9, v9, v5, vcc
	v_cndmask_b32_e32 v8, v8, v22, vcc
	;; [unrolled: 3-line block ×4, first 2 shown]
	s_nop 0
	v_mov_b32_dpp v9, v10 quad_perm:[1,0,3,2] row_mask:0xf bank_mask:0xf
	v_mov_b32_dpp v11, v8 quad_perm:[1,0,3,2] row_mask:0xf bank_mask:0xf
	v_cmp_lt_i32_e32 vcc, v9, v10
	v_cmp_eq_f32_e64 s[2:3], v8, v11
	v_cmp_lt_f32_e64 s[0:1], v8, v11
	s_and_b64 s[2:3], s[2:3], vcc
	s_or_b64 vcc, s[0:1], s[2:3]
	v_cndmask_b32_e32 v8, v8, v11, vcc
	v_cndmask_b32_e32 v9, v10, v9, vcc
	s_cmp_gt_i32 s8, 0
	v_mov_b32_dpp v10, v8 quad_perm:[2,3,0,1] row_mask:0xf bank_mask:0xf
	v_mov_b32_dpp v11, v9 quad_perm:[2,3,0,1] row_mask:0xf bank_mask:0xf
	s_cselect_b64 s[20:21], -1, 0
	s_cmp_lt_i32 s8, 1
	v_cmp_eq_u32_e32 vcc, 0, v15
	s_cbranch_scc1 .LBB51_16
; %bb.5:
	s_load_dwordx4 s[12:15], s[4:5], 0x20
	v_cmp_eq_f32_e64 s[2:3], v8, v10
	v_cmp_lt_i32_e64 s[6:7], v11, v9
	v_cmp_lt_f32_e64 s[0:1], v8, v10
	s_and_b64 s[2:3], s[2:3], s[6:7]
	s_or_b64 s[0:1], s[0:1], s[2:3]
	v_cndmask_b32_e64 v28, v9, v11, s[0:1]
	v_cndmask_b32_e64 v25, v8, v10, s[0:1]
	v_mul_lo_u32 v12, v14, s11
	v_mul_lo_u32 v10, v14, s22
	;; [unrolled: 1-line block ×3, first 2 shown]
	v_mov_b32_e32 v16, 0
	s_and_saveexec_b64 s[4:5], vcc
	s_cbranch_execz .LBB51_7
; %bb.6:
	v_sub_f32_e32 v9, v25, v25
	v_mul_f32_e32 v11, 0x3fb8aa3b, v9
	s_mov_b32 s0, 0x3fb8aa3b
	v_rndne_f32_e32 v13, v11
	v_sub_f32_e32 v16, v11, v13
	v_fma_f32 v11, v9, s0, -v11
	v_fmac_f32_e32 v11, 0x32a5705f, v9
	v_add_f32_e32 v11, v16, v11
	v_exp_f32_e32 v11, v11
	v_cvt_i32_f32_e32 v13, v13
	v_cmp_le_i32_e64 s[0:1], s9, v28
	v_cmp_gt_i32_e64 s[2:3], s10, v28
	s_and_b64 s[2:3], s[0:1], s[2:3]
	s_mov_b32 s0, 0xc2ce8ed0
	v_ldexp_f32 v11, v11, v13
	v_cmp_ngt_f32_e64 s[0:1], s0, v9
	v_cndmask_b32_e64 v11, 0, v11, s[0:1]
	s_mov_b32 s0, 0x42b17218
	v_mov_b32_e32 v13, 0x7f800000
	v_cmp_nlt_f32_e64 s[0:1], s0, v9
	v_cndmask_b32_e64 v16, v13, v11, s[0:1]
	v_ashrrev_i32_e32 v13, 31, v12
	v_lshlrev_b64 v[30:31], 2, v[12:13]
	v_mov_b32_e32 v9, s17
	v_add_co_u32_e64 v30, s[0:1], s16, v30
	v_addc_co_u32_e64 v31, s[0:1], v9, v31, s[0:1]
	v_ashrrev_i32_e32 v11, 31, v10
	global_store_dword v[30:31], v16, off
	v_subrev_u32_e32 v9, s9, v28
	s_and_b64 s[0:1], s[18:19], s[2:3]
	v_lshlrev_b64 v[30:31], 2, v[10:11]
	v_cndmask_b32_e64 v9, 32, v9, s[0:1]
	s_waitcnt lgkmcnt(0)
	v_mov_b32_e32 v11, s13
	v_add_co_u32_e64 v30, s[0:1], s12, v30
	v_addc_co_u32_e64 v31, s[0:1], v11, v31, s[0:1]
	global_store_dword v[30:31], v9, off
	v_ashrrev_i32_e32 v9, 31, v8
	v_lshlrev_b64 v[30:31], 2, v[8:9]
	v_mov_b32_e32 v9, s15
	v_add_co_u32_e64 v30, s[0:1], s14, v30
	v_addc_co_u32_e64 v31, s[0:1], v9, v31, s[0:1]
	global_store_dword v[30:31], v14, off
.LBB51_7:
	s_or_b64 exec, exec, s[4:5]
	v_ashrrev_i32_e32 v11, 31, v28
	v_lshrrev_b32_e32 v9, 29, v11
	v_add_u32_e32 v9, v28, v9
	v_ashrrev_i32_e32 v9, 3, v9
	v_lshrrev_b32_e32 v13, 30, v9
	v_add_u32_e32 v13, v9, v13
	v_and_b32_e32 v13, -4, v13
	v_sub_u32_e32 v13, v9, v13
	v_cmp_eq_u32_e64 s[0:1], v15, v13
	s_and_saveexec_b64 s[2:3], s[0:1]
	s_cbranch_execz .LBB51_9
; %bb.8:
	v_lshrrev_b32_e32 v11, 27, v11
	v_add_u32_e32 v11, v28, v11
	v_lshlrev_b32_e32 v9, 3, v9
	v_ashrrev_i32_e32 v11, 5, v11
	v_sub_u32_e32 v9, v28, v9
	v_lshl_add_u32 v9, v11, 3, v9
	v_mov_b32_e32 v11, 0xff800000
	v_cmp_ne_u32_e64 s[0:1], 7, v9
	v_cndmask_b32_e64 v7, v11, v7, s[0:1]
	v_cmp_ne_u32_e64 s[0:1], 6, v9
	v_cndmask_b32_e64 v6, v11, v6, s[0:1]
	;; [unrolled: 2-line block ×8, first 2 shown]
.LBB51_9:
	s_or_b64 exec, exec, s[2:3]
	s_cmp_eq_u32 s8, 1
	s_cbranch_scc1 .LBB51_16
; %bb.10:
	s_add_i32 s25, s25, s24
	s_add_i32 s6, s8, -1
	v_add3_u32 v26, s25, v27, v26
	v_add_u32_e32 v8, 1, v8
	v_add_u32_e32 v10, 1, v10
	;; [unrolled: 1-line block ×3, first 2 shown]
	s_mov_b32 s7, 0x3fb8aa3b
	s_mov_b32 s22, 0xc2ce8ed0
	;; [unrolled: 1-line block ×3, first 2 shown]
	v_mov_b32_e32 v27, 0x7f800000
	v_mov_b32_e32 v28, 0xff800000
	s_branch .LBB51_12
.LBB51_11:                              ;   in Loop: Header=BB51_12 Depth=1
	s_or_b64 exec, exec, s[2:3]
	s_add_i32 s6, s6, -1
	v_add_u32_e32 v26, s24, v26
	v_add_u32_e32 v8, 1, v8
	;; [unrolled: 1-line block ×3, first 2 shown]
	s_cmp_eq_u32 s6, 0
	v_add_u32_e32 v12, 1, v12
	s_cbranch_scc1 .LBB51_16
.LBB51_12:                              ; =>This Inner Loop Header: Depth=1
	v_cmp_gt_f32_e64 s[0:1], v1, v0
	v_cndmask_b32_e64 v11, v0, v1, s[0:1]
	v_cndmask_b32_e64 v9, v17, v18, s[0:1]
	v_cmp_gt_f32_e64 s[0:1], v2, v11
	v_cndmask_b32_e64 v11, v11, v2, s[0:1]
	v_cndmask_b32_e64 v9, v9, v19, s[0:1]
	;; [unrolled: 3-line block ×7, first 2 shown]
	s_nop 0
	v_mov_b32_dpp v11, v13 quad_perm:[1,0,3,2] row_mask:0xf bank_mask:0xf
	v_mov_b32_dpp v29, v9 quad_perm:[1,0,3,2] row_mask:0xf bank_mask:0xf
	v_cmp_eq_f32_e64 s[2:3], v9, v29
	v_cmp_lt_i32_e64 s[4:5], v11, v13
	v_cmp_lt_f32_e64 s[0:1], v9, v29
	s_and_b64 s[2:3], s[2:3], s[4:5]
	s_or_b64 s[0:1], s[0:1], s[2:3]
	v_cndmask_b32_e64 v9, v9, v29, s[0:1]
	v_cndmask_b32_e64 v13, v13, v11, s[0:1]
	s_nop 0
	v_mov_b32_dpp v11, v9 quad_perm:[2,3,0,1] row_mask:0xf bank_mask:0xf
	v_mov_b32_dpp v29, v13 quad_perm:[2,3,0,1] row_mask:0xf bank_mask:0xf
	v_cmp_eq_f32_e64 s[2:3], v9, v11
	v_cmp_lt_i32_e64 s[4:5], v29, v13
	v_cmp_lt_f32_e64 s[0:1], v9, v11
	s_and_b64 s[2:3], s[2:3], s[4:5]
	s_or_b64 s[0:1], s[0:1], s[2:3]
	v_cndmask_b32_e64 v29, v13, v29, s[0:1]
	s_and_saveexec_b64 s[4:5], vcc
	s_cbranch_execz .LBB51_14
; %bb.13:                               ;   in Loop: Header=BB51_12 Depth=1
	v_cndmask_b32_e64 v9, v9, v11, s[0:1]
	v_sub_f32_e32 v9, v9, v25
	v_mul_f32_e32 v11, 0x3fb8aa3b, v9
	v_fma_f32 v13, v9, s7, -v11
	v_rndne_f32_e32 v30, v11
	v_fmac_f32_e32 v13, 0x32a5705f, v9
	v_sub_f32_e32 v11, v11, v30
	v_add_f32_e32 v11, v11, v13
	v_exp_f32_e32 v11, v11
	v_cvt_i32_f32_e32 v13, v30
	v_cmp_le_i32_e64 s[0:1], s9, v29
	v_cmp_gt_i32_e64 s[2:3], s10, v29
	s_and_b64 s[2:3], s[0:1], s[2:3]
	v_ldexp_f32 v11, v11, v13
	v_cmp_ngt_f32_e64 s[0:1], s22, v9
	v_ashrrev_i32_e32 v13, 31, v12
	v_cndmask_b32_e64 v11, 0, v11, s[0:1]
	v_cmp_nlt_f32_e64 s[0:1], s23, v9
	v_lshlrev_b64 v[30:31], 2, v[12:13]
	v_cndmask_b32_e64 v32, v27, v11, s[0:1]
	v_mov_b32_e32 v9, s17
	v_add_co_u32_e64 v30, s[0:1], s16, v30
	v_addc_co_u32_e64 v31, s[0:1], v9, v31, s[0:1]
	v_ashrrev_i32_e32 v11, 31, v10
	global_store_dword v[30:31], v32, off
	v_subrev_u32_e32 v9, s9, v29
	s_and_b64 s[0:1], s[18:19], s[2:3]
	v_lshlrev_b64 v[30:31], 2, v[10:11]
	v_cndmask_b32_e64 v9, 32, v9, s[0:1]
	s_waitcnt lgkmcnt(0)
	v_mov_b32_e32 v11, s13
	v_add_co_u32_e64 v30, s[0:1], s12, v30
	v_addc_co_u32_e64 v31, s[0:1], v11, v31, s[0:1]
	global_store_dword v[30:31], v9, off
	v_ashrrev_i32_e32 v9, 31, v8
	v_lshlrev_b64 v[30:31], 2, v[8:9]
	v_mov_b32_e32 v9, s15
	v_add_co_u32_e64 v30, s[0:1], s14, v30
	v_addc_co_u32_e64 v31, s[0:1], v9, v31, s[0:1]
	v_add_f32_e32 v16, v16, v32
	global_store_dword v[30:31], v26, off
.LBB51_14:                              ;   in Loop: Header=BB51_12 Depth=1
	s_or_b64 exec, exec, s[4:5]
	v_ashrrev_i32_e32 v11, 31, v29
	v_lshrrev_b32_e32 v9, 29, v11
	v_add_u32_e32 v9, v29, v9
	v_ashrrev_i32_e32 v9, 3, v9
	v_lshrrev_b32_e32 v13, 30, v9
	v_add_u32_e32 v13, v9, v13
	v_and_b32_e32 v13, -4, v13
	v_sub_u32_e32 v13, v9, v13
	v_cmp_eq_u32_e64 s[0:1], v15, v13
	s_and_saveexec_b64 s[2:3], s[0:1]
	s_cbranch_execz .LBB51_11
; %bb.15:                               ;   in Loop: Header=BB51_12 Depth=1
	v_lshrrev_b32_e32 v11, 27, v11
	v_add_u32_e32 v11, v29, v11
	v_lshlrev_b32_e32 v9, 3, v9
	v_ashrrev_i32_e32 v11, 5, v11
	v_sub_u32_e32 v9, v29, v9
	v_lshl_add_u32 v9, v11, 3, v9
	v_cmp_ne_u32_e64 s[0:1], 7, v9
	v_cndmask_b32_e64 v7, v28, v7, s[0:1]
	v_cmp_ne_u32_e64 s[0:1], 6, v9
	v_cndmask_b32_e64 v6, v28, v6, s[0:1]
	;; [unrolled: 2-line block ×8, first 2 shown]
	s_branch .LBB51_11
.LBB51_16:
	v_cmp_eq_u32_e32 vcc, 0, v15
	v_cmp_neq_f32_e64 s[0:1], 0, v16
	s_and_b64 s[0:1], vcc, s[0:1]
	s_and_b64 exec, exec, s[0:1]
	s_cbranch_execz .LBB51_27
; %bb.17:
	s_andn2_b64 vcc, exec, s[20:21]
	s_cbranch_vccnz .LBB51_27
; %bb.18:
	v_div_scale_f32 v0, s[0:1], v16, v16, 1.0
	v_rcp_f32_e32 v1, v0
	v_div_scale_f32 v2, vcc, 1.0, v16, 1.0
	s_cmp_gt_u32 s8, 3
	v_fma_f32 v3, -v0, v1, 1.0
	v_fmac_f32_e32 v1, v3, v1
	v_mul_f32_e32 v3, v2, v1
	v_fma_f32 v4, -v0, v3, v2
	v_fmac_f32_e32 v3, v4, v1
	v_fma_f32 v0, -v0, v3, v2
	v_div_fmas_f32 v0, v0, v1, v3
	v_mul_lo_u32 v2, v14, s11
	v_div_fixup_f32 v0, v0, v16, 1.0
	v_ashrrev_i32_e32 v3, 31, v2
	s_cbranch_scc0 .LBB51_22
; %bb.19:
	v_lshlrev_b64 v[4:5], 2, v[2:3]
	v_mov_b32_e32 v6, s17
	v_add_co_u32_e32 v4, vcc, s16, v4
	v_addc_co_u32_e32 v5, vcc, v5, v6, vcc
	s_and_b32 s4, s8, 0x7ffffffc
	v_add_co_u32_e32 v4, vcc, 8, v4
	v_mov_b32_e32 v1, v0
	v_addc_co_u32_e32 v5, vcc, 0, v5, vcc
	s_mov_b32 s0, s4
.LBB51_20:                              ; =>This Inner Loop Header: Depth=1
	global_load_dwordx4 v[6:9], v[4:5], off offset:-8
	s_add_i32 s0, s0, -4
	s_cmp_lg_u32 s0, 0
	s_waitcnt vmcnt(0)
	v_pk_mul_f32 v[6:7], v[0:1], v[6:7]
	v_pk_mul_f32 v[8:9], v[0:1], v[8:9]
	global_store_dwordx4 v[4:5], v[6:9], off offset:-8
	v_add_co_u32_e32 v4, vcc, 16, v4
	v_addc_co_u32_e32 v5, vcc, 0, v5, vcc
	s_cbranch_scc1 .LBB51_20
; %bb.21:
	s_cmp_lg_u32 s4, s8
	s_cselect_b64 s[0:1], -1, 0
	s_branch .LBB51_24
.LBB51_22:
	s_mov_b64 s[0:1], 0
                                        ; implicit-def: $sgpr4
	s_cbranch_execz .LBB51_24
; %bb.23:
	s_mov_b64 s[0:1], -1
	s_mov_b32 s4, 0
.LBB51_24:
	s_andn2_b64 vcc, exec, s[0:1]
	s_cbranch_vccnz .LBB51_27
; %bb.25:
	v_add_co_u32_e32 v2, vcc, s4, v2
	v_addc_co_u32_e32 v3, vcc, 0, v3, vcc
	v_lshlrev_b64 v[2:3], 2, v[2:3]
	v_mov_b32_e32 v1, s17
	v_add_co_u32_e32 v2, vcc, s16, v2
	s_sub_i32 s0, s8, s4
	v_addc_co_u32_e32 v3, vcc, v1, v3, vcc
.LBB51_26:                              ; =>This Inner Loop Header: Depth=1
	global_load_dword v1, v[2:3], off
	s_add_i32 s0, s0, -1
	s_cmp_lg_u32 s0, 0
	s_waitcnt vmcnt(0)
	v_mul_f32_e32 v1, v0, v1
	global_store_dword v[2:3], v1, off
	v_add_co_u32_e32 v2, vcc, 4, v2
	v_addc_co_u32_e32 v3, vcc, 0, v3, vcc
	s_cbranch_scc1 .LBB51_26
.LBB51_27:
	s_endpgm
	.section	.rodata,"a",@progbits
	.p2align	6, 0x0
	.amdhsa_kernel _ZN4vllm3moe17topkGatingSoftmaxIfLi8ELi32ELi8ELi32ELb1ELi0ELNS0_23SharedExpertScoringFuncE0EEEvPKT_PKbPfiPiS9_iiiiii
		.amdhsa_group_segment_fixed_size 0
		.amdhsa_private_segment_fixed_size 0
		.amdhsa_kernarg_size 72
		.amdhsa_user_sgpr_count 6
		.amdhsa_user_sgpr_private_segment_buffer 1
		.amdhsa_user_sgpr_dispatch_ptr 0
		.amdhsa_user_sgpr_queue_ptr 0
		.amdhsa_user_sgpr_kernarg_segment_ptr 1
		.amdhsa_user_sgpr_dispatch_id 0
		.amdhsa_user_sgpr_flat_scratch_init 0
		.amdhsa_user_sgpr_kernarg_preload_length 0
		.amdhsa_user_sgpr_kernarg_preload_offset 0
		.amdhsa_user_sgpr_private_segment_size 0
		.amdhsa_uses_dynamic_stack 0
		.amdhsa_system_sgpr_private_segment_wavefront_offset 0
		.amdhsa_system_sgpr_workgroup_id_x 1
		.amdhsa_system_sgpr_workgroup_id_y 0
		.amdhsa_system_sgpr_workgroup_id_z 0
		.amdhsa_system_sgpr_workgroup_info 0
		.amdhsa_system_vgpr_workitem_id 1
		.amdhsa_next_free_vgpr 33
		.amdhsa_next_free_sgpr 26
		.amdhsa_accum_offset 36
		.amdhsa_reserve_vcc 1
		.amdhsa_reserve_flat_scratch 0
		.amdhsa_float_round_mode_32 0
		.amdhsa_float_round_mode_16_64 0
		.amdhsa_float_denorm_mode_32 3
		.amdhsa_float_denorm_mode_16_64 3
		.amdhsa_dx10_clamp 1
		.amdhsa_ieee_mode 1
		.amdhsa_fp16_overflow 0
		.amdhsa_tg_split 0
		.amdhsa_exception_fp_ieee_invalid_op 0
		.amdhsa_exception_fp_denorm_src 0
		.amdhsa_exception_fp_ieee_div_zero 0
		.amdhsa_exception_fp_ieee_overflow 0
		.amdhsa_exception_fp_ieee_underflow 0
		.amdhsa_exception_fp_ieee_inexact 0
		.amdhsa_exception_int_div_zero 0
	.end_amdhsa_kernel
	.section	.text._ZN4vllm3moe17topkGatingSoftmaxIfLi8ELi32ELi8ELi32ELb1ELi0ELNS0_23SharedExpertScoringFuncE0EEEvPKT_PKbPfiPiS9_iiiiii,"axG",@progbits,_ZN4vllm3moe17topkGatingSoftmaxIfLi8ELi32ELi8ELi32ELb1ELi0ELNS0_23SharedExpertScoringFuncE0EEEvPKT_PKbPfiPiS9_iiiiii,comdat
.Lfunc_end51:
	.size	_ZN4vllm3moe17topkGatingSoftmaxIfLi8ELi32ELi8ELi32ELb1ELi0ELNS0_23SharedExpertScoringFuncE0EEEvPKT_PKbPfiPiS9_iiiiii, .Lfunc_end51-_ZN4vllm3moe17topkGatingSoftmaxIfLi8ELi32ELi8ELi32ELb1ELi0ELNS0_23SharedExpertScoringFuncE0EEEvPKT_PKbPfiPiS9_iiiiii
                                        ; -- End function
	.section	.AMDGPU.csdata,"",@progbits
; Kernel info:
; codeLenInByte = 2264
; NumSgprs: 30
; NumVgprs: 33
; NumAgprs: 0
; TotalNumVgprs: 33
; ScratchSize: 0
; MemoryBound: 0
; FloatMode: 240
; IeeeMode: 1
; LDSByteSize: 0 bytes/workgroup (compile time only)
; SGPRBlocks: 3
; VGPRBlocks: 4
; NumSGPRsForWavesPerEU: 30
; NumVGPRsForWavesPerEU: 33
; AccumOffset: 36
; Occupancy: 8
; WaveLimiterHint : 0
; COMPUTE_PGM_RSRC2:SCRATCH_EN: 0
; COMPUTE_PGM_RSRC2:USER_SGPR: 6
; COMPUTE_PGM_RSRC2:TRAP_HANDLER: 0
; COMPUTE_PGM_RSRC2:TGID_X_EN: 1
; COMPUTE_PGM_RSRC2:TGID_Y_EN: 0
; COMPUTE_PGM_RSRC2:TGID_Z_EN: 0
; COMPUTE_PGM_RSRC2:TIDIG_COMP_CNT: 1
; COMPUTE_PGM_RSRC3_GFX90A:ACCUM_OFFSET: 8
; COMPUTE_PGM_RSRC3_GFX90A:TG_SPLIT: 0
	.section	.text._ZN4vllm3moe17topkGatingSoftmaxIfLi8ELi32ELi8ELi32ELb0ELi0ELNS0_23SharedExpertScoringFuncE0EEEvPKT_PKbPfiPiS9_iiiiii,"axG",@progbits,_ZN4vllm3moe17topkGatingSoftmaxIfLi8ELi32ELi8ELi32ELb0ELi0ELNS0_23SharedExpertScoringFuncE0EEEvPKT_PKbPfiPiS9_iiiiii,comdat
	.protected	_ZN4vllm3moe17topkGatingSoftmaxIfLi8ELi32ELi8ELi32ELb0ELi0ELNS0_23SharedExpertScoringFuncE0EEEvPKT_PKbPfiPiS9_iiiiii ; -- Begin function _ZN4vllm3moe17topkGatingSoftmaxIfLi8ELi32ELi8ELi32ELb0ELi0ELNS0_23SharedExpertScoringFuncE0EEEvPKT_PKbPfiPiS9_iiiiii
	.globl	_ZN4vllm3moe17topkGatingSoftmaxIfLi8ELi32ELi8ELi32ELb0ELi0ELNS0_23SharedExpertScoringFuncE0EEEvPKT_PKbPfiPiS9_iiiiii
	.p2align	8
	.type	_ZN4vllm3moe17topkGatingSoftmaxIfLi8ELi32ELi8ELi32ELb0ELi0ELNS0_23SharedExpertScoringFuncE0EEEvPKT_PKbPfiPiS9_iiiiii,@function
_ZN4vllm3moe17topkGatingSoftmaxIfLi8ELi32ELi8ELi32ELb0ELi0ELNS0_23SharedExpertScoringFuncE0EEEvPKT_PKbPfiPiS9_iiiiii: ; @_ZN4vllm3moe17topkGatingSoftmaxIfLi8ELi32ELi8ELi32ELb0ELi0ELNS0_23SharedExpertScoringFuncE0EEEvPKT_PKbPfiPiS9_iiiiii
; %bb.0:
	s_load_dword s22, s[4:5], 0x18
	v_bfe_u32 v1, v0, 10, 10
	v_and_b32_e32 v0, 0x3ff, v0
	s_lshl_b32 s23, s6, 7
	v_lshlrev_b32_e32 v26, 4, v1
	v_lshrrev_b32_e32 v27, 2, v0
	v_add3_u32 v14, s23, v26, v27
	s_waitcnt lgkmcnt(0)
	v_cmp_gt_i32_e32 vcc, s22, v14
	s_and_saveexec_b64 s[0:1], vcc
	s_cbranch_execz .LBB52_29
; %bb.1:
	s_load_dwordx4 s[0:3], s[4:5], 0x0
	s_load_dwordx2 s[6:7], s[4:5], 0x10
	s_waitcnt lgkmcnt(0)
	s_cmp_eq_u64 s[2:3], 0
	s_cbranch_scc1 .LBB52_3
; %bb.2:
	v_ashrrev_i32_e32 v1, 31, v14
	v_mov_b32_e32 v3, s3
	v_add_co_u32_e32 v2, vcc, s2, v14
	v_addc_co_u32_e32 v3, vcc, v3, v1, vcc
	global_load_ubyte v1, v[2:3], off
	s_waitcnt vmcnt(0)
	v_and_b32_e32 v1, 1, v1
	v_cmp_eq_u32_e32 vcc, 1, v1
	s_xor_b64 s[2:3], vcc, -1
	s_orn2_b64 s[18:19], s[2:3], exec
	s_branch .LBB52_4
.LBB52_3:
	s_mov_b64 s[18:19], -1
.LBB52_4:
	s_load_dwordx2 s[20:21], s[4:5], 0x40
	s_load_dwordx4 s[8:11], s[4:5], 0x30
	v_mov_b32_e32 v1, s1
	v_and_b32_e32 v15, 3, v0
	v_lshlrev_b32_e32 v0, 5, v15
	s_waitcnt lgkmcnt(0)
	v_mul_lo_u32 v2, v14, s21
	v_ashrrev_i32_e32 v3, 31, v2
	v_lshlrev_b64 v[2:3], 2, v[2:3]
	v_add_co_u32_e32 v2, vcc, s0, v2
	v_addc_co_u32_e32 v1, vcc, v1, v3, vcc
	v_add_co_u32_e32 v8, vcc, v2, v0
	v_addc_co_u32_e32 v9, vcc, 0, v1, vcc
	global_load_dwordx4 v[4:7], v[8:9], off
	global_load_dwordx4 v[0:3], v[8:9], off offset:16
	v_lshlrev_b32_e32 v18, 3, v15
	v_or_b32_e32 v19, 1, v18
	v_or_b32_e32 v20, 2, v18
	;; [unrolled: 1-line block ×7, first 2 shown]
	v_mov_b32_e32 v16, 0
	s_waitcnt vmcnt(1)
	v_cmp_lt_f32_e32 vcc, v4, v5
	v_cndmask_b32_e32 v9, v4, v5, vcc
	v_cndmask_b32_e32 v8, v18, v19, vcc
	v_cmp_lt_f32_e32 vcc, v9, v6
	v_cndmask_b32_e32 v9, v9, v6, vcc
	v_cndmask_b32_e32 v8, v8, v20, vcc
	;; [unrolled: 3-line block ×3, first 2 shown]
	s_waitcnt vmcnt(0)
	v_cmp_lt_f32_e32 vcc, v9, v0
	v_cndmask_b32_e32 v9, v9, v0, vcc
	v_cndmask_b32_e32 v8, v8, v22, vcc
	v_cmp_lt_f32_e32 vcc, v9, v1
	v_cndmask_b32_e32 v9, v9, v1, vcc
	v_cndmask_b32_e32 v8, v8, v23, vcc
	;; [unrolled: 3-line block ×4, first 2 shown]
	s_nop 0
	v_mov_b32_dpp v10, v8 quad_perm:[1,0,3,2] row_mask:0xf bank_mask:0xf
	v_mov_b32_dpp v11, v9 quad_perm:[1,0,3,2] row_mask:0xf bank_mask:0xf
	v_cmp_lt_i32_e32 vcc, v10, v8
	v_cmp_eq_f32_e64 s[2:3], v9, v11
	v_cmp_lt_f32_e64 s[0:1], v9, v11
	s_and_b64 s[2:3], s[2:3], vcc
	s_or_b64 vcc, s[0:1], s[2:3]
	v_cndmask_b32_e32 v11, v9, v11, vcc
	v_cndmask_b32_e32 v8, v8, v10, vcc
	s_nop 0
	v_mov_b32_dpp v10, v11 quad_perm:[2,3,0,1] row_mask:0xf bank_mask:0xf
	v_mov_b32_dpp v9, v8 quad_perm:[2,3,0,1] row_mask:0xf bank_mask:0xf
	v_cmp_eq_f32_e64 s[0:1], v11, v10
	v_cmp_lt_i32_e64 s[2:3], v9, v8
	v_cmp_lt_f32_e32 vcc, v11, v10
	s_and_b64 s[0:1], s[0:1], s[2:3]
	s_or_b64 s[0:1], vcc, s[0:1]
	s_cmp_gt_i32 s8, 0
	v_cndmask_b32_e64 v17, v11, v10, s[0:1]
	s_cselect_b64 s[16:17], -1, 0
	s_cmp_lt_i32 s8, 1
	v_cmp_eq_u32_e32 vcc, 0, v15
	s_cbranch_scc1 .LBB52_16
; %bb.5:
	s_load_dwordx4 s[12:15], s[4:5], 0x20
	v_cndmask_b32_e64 v28, v8, v9, s[0:1]
	v_mul_lo_u32 v12, v14, s11
	v_mul_lo_u32 v10, v14, s20
	;; [unrolled: 1-line block ×3, first 2 shown]
	v_mov_b32_e32 v16, 0
	s_and_saveexec_b64 s[4:5], vcc
	s_cbranch_execz .LBB52_7
; %bb.6:
	v_sub_f32_e32 v9, v17, v17
	v_mul_f32_e32 v11, 0x3fb8aa3b, v9
	s_mov_b32 s0, 0x3fb8aa3b
	v_rndne_f32_e32 v13, v11
	v_sub_f32_e32 v16, v11, v13
	v_fma_f32 v11, v9, s0, -v11
	v_fmac_f32_e32 v11, 0x32a5705f, v9
	v_add_f32_e32 v11, v16, v11
	v_exp_f32_e32 v11, v11
	v_cvt_i32_f32_e32 v13, v13
	v_cmp_le_i32_e64 s[0:1], s9, v28
	v_cmp_gt_i32_e64 s[2:3], s10, v28
	s_and_b64 s[2:3], s[0:1], s[2:3]
	s_mov_b32 s0, 0xc2ce8ed0
	v_ldexp_f32 v11, v11, v13
	v_cmp_ngt_f32_e64 s[0:1], s0, v9
	v_cndmask_b32_e64 v11, 0, v11, s[0:1]
	s_mov_b32 s0, 0x42b17218
	v_mov_b32_e32 v13, 0x7f800000
	v_cmp_nlt_f32_e64 s[0:1], s0, v9
	v_cndmask_b32_e64 v16, v13, v11, s[0:1]
	v_ashrrev_i32_e32 v13, 31, v12
	v_lshlrev_b64 v[30:31], 2, v[12:13]
	v_mov_b32_e32 v9, s7
	v_add_co_u32_e64 v30, s[0:1], s6, v30
	v_addc_co_u32_e64 v31, s[0:1], v9, v31, s[0:1]
	v_ashrrev_i32_e32 v11, 31, v10
	global_store_dword v[30:31], v16, off
	v_subrev_u32_e32 v9, s9, v28
	s_and_b64 s[0:1], s[18:19], s[2:3]
	v_lshlrev_b64 v[30:31], 2, v[10:11]
	v_cndmask_b32_e64 v9, 32, v9, s[0:1]
	s_waitcnt lgkmcnt(0)
	v_mov_b32_e32 v11, s13
	v_add_co_u32_e64 v30, s[0:1], s12, v30
	v_addc_co_u32_e64 v31, s[0:1], v11, v31, s[0:1]
	global_store_dword v[30:31], v9, off
	v_ashrrev_i32_e32 v9, 31, v8
	v_lshlrev_b64 v[30:31], 2, v[8:9]
	v_mov_b32_e32 v9, s15
	v_add_co_u32_e64 v30, s[0:1], s14, v30
	v_addc_co_u32_e64 v31, s[0:1], v9, v31, s[0:1]
	global_store_dword v[30:31], v14, off
.LBB52_7:
	s_or_b64 exec, exec, s[4:5]
	v_ashrrev_i32_e32 v11, 31, v28
	v_lshrrev_b32_e32 v9, 29, v11
	v_add_u32_e32 v9, v28, v9
	v_ashrrev_i32_e32 v9, 3, v9
	v_lshrrev_b32_e32 v13, 30, v9
	v_add_u32_e32 v13, v9, v13
	v_and_b32_e32 v13, -4, v13
	v_sub_u32_e32 v13, v9, v13
	v_cmp_eq_u32_e64 s[0:1], v15, v13
	s_and_saveexec_b64 s[2:3], s[0:1]
	s_cbranch_execz .LBB52_9
; %bb.8:
	v_lshrrev_b32_e32 v11, 27, v11
	v_add_u32_e32 v11, v28, v11
	v_lshlrev_b32_e32 v9, 3, v9
	v_ashrrev_i32_e32 v11, 5, v11
	v_sub_u32_e32 v9, v28, v9
	v_lshl_add_u32 v9, v11, 3, v9
	v_mov_b32_e32 v11, 0xff800000
	v_cmp_ne_u32_e64 s[0:1], 7, v9
	v_cndmask_b32_e64 v3, v11, v3, s[0:1]
	v_cmp_ne_u32_e64 s[0:1], 6, v9
	v_cndmask_b32_e64 v2, v11, v2, s[0:1]
	;; [unrolled: 2-line block ×8, first 2 shown]
.LBB52_9:
	s_or_b64 exec, exec, s[2:3]
	s_cmp_eq_u32 s8, 1
	s_cbranch_scc1 .LBB52_16
; %bb.10:
	s_add_i32 s23, s23, s22
	s_add_i32 s20, s8, -1
	v_add3_u32 v26, s23, v27, v26
	v_add_u32_e32 v8, 1, v8
	v_add_u32_e32 v10, 1, v10
	;; [unrolled: 1-line block ×3, first 2 shown]
	s_mov_b32 s21, 0x3fb8aa3b
	s_mov_b32 s23, 0xc2ce8ed0
	;; [unrolled: 1-line block ×3, first 2 shown]
	v_mov_b32_e32 v27, 0x7f800000
	v_mov_b32_e32 v28, 0xff800000
	s_branch .LBB52_12
.LBB52_11:                              ;   in Loop: Header=BB52_12 Depth=1
	s_or_b64 exec, exec, s[2:3]
	s_add_i32 s20, s20, -1
	v_add_u32_e32 v26, s22, v26
	v_add_u32_e32 v8, 1, v8
	;; [unrolled: 1-line block ×3, first 2 shown]
	s_cmp_eq_u32 s20, 0
	v_add_u32_e32 v12, 1, v12
	s_cbranch_scc1 .LBB52_16
.LBB52_12:                              ; =>This Inner Loop Header: Depth=1
	v_cmp_gt_f32_e64 s[0:1], v5, v4
	v_cndmask_b32_e64 v11, v4, v5, s[0:1]
	v_cndmask_b32_e64 v9, v18, v19, s[0:1]
	v_cmp_gt_f32_e64 s[0:1], v6, v11
	v_cndmask_b32_e64 v11, v11, v6, s[0:1]
	v_cndmask_b32_e64 v9, v9, v20, s[0:1]
	;; [unrolled: 3-line block ×7, first 2 shown]
	s_nop 0
	v_mov_b32_dpp v11, v13 quad_perm:[1,0,3,2] row_mask:0xf bank_mask:0xf
	v_mov_b32_dpp v29, v9 quad_perm:[1,0,3,2] row_mask:0xf bank_mask:0xf
	v_cmp_eq_f32_e64 s[2:3], v9, v29
	v_cmp_lt_i32_e64 s[4:5], v11, v13
	v_cmp_lt_f32_e64 s[0:1], v9, v29
	s_and_b64 s[2:3], s[2:3], s[4:5]
	s_or_b64 s[0:1], s[0:1], s[2:3]
	v_cndmask_b32_e64 v9, v9, v29, s[0:1]
	v_cndmask_b32_e64 v13, v13, v11, s[0:1]
	s_nop 0
	v_mov_b32_dpp v11, v9 quad_perm:[2,3,0,1] row_mask:0xf bank_mask:0xf
	v_mov_b32_dpp v29, v13 quad_perm:[2,3,0,1] row_mask:0xf bank_mask:0xf
	v_cmp_eq_f32_e64 s[2:3], v9, v11
	v_cmp_lt_i32_e64 s[4:5], v29, v13
	v_cmp_lt_f32_e64 s[0:1], v9, v11
	s_and_b64 s[2:3], s[2:3], s[4:5]
	s_or_b64 s[0:1], s[0:1], s[2:3]
	v_cndmask_b32_e64 v29, v13, v29, s[0:1]
	s_and_saveexec_b64 s[4:5], vcc
	s_cbranch_execz .LBB52_14
; %bb.13:                               ;   in Loop: Header=BB52_12 Depth=1
	v_cndmask_b32_e64 v9, v9, v11, s[0:1]
	v_sub_f32_e32 v9, v9, v17
	v_mul_f32_e32 v11, 0x3fb8aa3b, v9
	v_fma_f32 v13, v9, s21, -v11
	v_rndne_f32_e32 v30, v11
	v_fmac_f32_e32 v13, 0x32a5705f, v9
	v_sub_f32_e32 v11, v11, v30
	v_add_f32_e32 v11, v11, v13
	v_exp_f32_e32 v11, v11
	v_cvt_i32_f32_e32 v13, v30
	v_cmp_le_i32_e64 s[0:1], s9, v29
	v_cmp_gt_i32_e64 s[2:3], s10, v29
	s_and_b64 s[2:3], s[0:1], s[2:3]
	v_ldexp_f32 v11, v11, v13
	v_cmp_ngt_f32_e64 s[0:1], s23, v9
	v_ashrrev_i32_e32 v13, 31, v12
	v_cndmask_b32_e64 v11, 0, v11, s[0:1]
	v_cmp_nlt_f32_e64 s[0:1], s24, v9
	v_lshlrev_b64 v[30:31], 2, v[12:13]
	v_cndmask_b32_e64 v32, v27, v11, s[0:1]
	v_mov_b32_e32 v9, s7
	v_add_co_u32_e64 v30, s[0:1], s6, v30
	v_addc_co_u32_e64 v31, s[0:1], v9, v31, s[0:1]
	v_ashrrev_i32_e32 v11, 31, v10
	global_store_dword v[30:31], v32, off
	v_subrev_u32_e32 v9, s9, v29
	s_and_b64 s[0:1], s[18:19], s[2:3]
	v_lshlrev_b64 v[30:31], 2, v[10:11]
	v_cndmask_b32_e64 v9, 32, v9, s[0:1]
	s_waitcnt lgkmcnt(0)
	v_mov_b32_e32 v11, s13
	v_add_co_u32_e64 v30, s[0:1], s12, v30
	v_addc_co_u32_e64 v31, s[0:1], v11, v31, s[0:1]
	global_store_dword v[30:31], v9, off
	v_ashrrev_i32_e32 v9, 31, v8
	v_lshlrev_b64 v[30:31], 2, v[8:9]
	v_mov_b32_e32 v9, s15
	v_add_co_u32_e64 v30, s[0:1], s14, v30
	v_addc_co_u32_e64 v31, s[0:1], v9, v31, s[0:1]
	v_add_f32_e32 v16, v16, v32
	global_store_dword v[30:31], v26, off
.LBB52_14:                              ;   in Loop: Header=BB52_12 Depth=1
	s_or_b64 exec, exec, s[4:5]
	v_ashrrev_i32_e32 v11, 31, v29
	v_lshrrev_b32_e32 v9, 29, v11
	v_add_u32_e32 v9, v29, v9
	v_ashrrev_i32_e32 v9, 3, v9
	v_lshrrev_b32_e32 v13, 30, v9
	v_add_u32_e32 v13, v9, v13
	v_and_b32_e32 v13, -4, v13
	v_sub_u32_e32 v13, v9, v13
	v_cmp_eq_u32_e64 s[0:1], v15, v13
	s_and_saveexec_b64 s[2:3], s[0:1]
	s_cbranch_execz .LBB52_11
; %bb.15:                               ;   in Loop: Header=BB52_12 Depth=1
	v_lshrrev_b32_e32 v11, 27, v11
	v_add_u32_e32 v11, v29, v11
	v_lshlrev_b32_e32 v9, 3, v9
	v_ashrrev_i32_e32 v11, 5, v11
	v_sub_u32_e32 v9, v29, v9
	v_lshl_add_u32 v9, v11, 3, v9
	v_cmp_ne_u32_e64 s[0:1], 7, v9
	v_cndmask_b32_e64 v3, v28, v3, s[0:1]
	v_cmp_ne_u32_e64 s[0:1], 6, v9
	v_cndmask_b32_e64 v2, v28, v2, s[0:1]
	v_cmp_ne_u32_e64 s[0:1], 5, v9
	v_cndmask_b32_e64 v1, v28, v1, s[0:1]
	v_cmp_ne_u32_e64 s[0:1], 4, v9
	v_cndmask_b32_e64 v0, v28, v0, s[0:1]
	v_cmp_ne_u32_e64 s[0:1], 3, v9
	v_cndmask_b32_e64 v7, v28, v7, s[0:1]
	v_cmp_ne_u32_e64 s[0:1], 2, v9
	v_cndmask_b32_e64 v6, v28, v6, s[0:1]
	v_cmp_ne_u32_e64 s[0:1], 1, v9
	v_cndmask_b32_e64 v5, v28, v5, s[0:1]
	v_cmp_ne_u32_e64 s[0:1], 0, v9
	v_cndmask_b32_e64 v4, v28, v4, s[0:1]
	s_branch .LBB52_11
.LBB52_16:
	v_sub_f32_e32 v4, v4, v17
	s_mov_b32 s0, 0x3fb8aa3b
	v_mul_f32_e32 v8, 0x3fb8aa3b, v4
	v_fma_f32 v9, v4, s0, -v8
	v_rndne_f32_e32 v10, v8
	v_fmac_f32_e32 v9, 0x32a5705f, v4
	v_sub_f32_e32 v8, v8, v10
	v_add_f32_e32 v8, v8, v9
	v_exp_f32_e32 v8, v8
	v_cvt_i32_f32_e32 v9, v10
	v_sub_f32_e32 v5, v5, v17
	s_mov_b32 s1, 0xc2ce8ed0
	v_cmp_ngt_f32_e32 vcc, s1, v4
	v_ldexp_f32 v8, v8, v9
	v_mul_f32_e32 v9, 0x3fb8aa3b, v5
	v_fma_f32 v10, v5, s0, -v9
	v_rndne_f32_e32 v11, v9
	v_fmac_f32_e32 v10, 0x32a5705f, v5
	v_sub_f32_e32 v9, v9, v11
	v_add_f32_e32 v9, v9, v10
	v_exp_f32_e32 v9, v9
	v_cvt_i32_f32_e32 v10, v11
	s_mov_b32 s2, 0x42b17218
	v_cndmask_b32_e32 v8, 0, v8, vcc
	v_mov_b32_e32 v11, 0x7f800000
	v_cmp_nlt_f32_e32 vcc, s2, v4
	v_sub_f32_e32 v6, v6, v17
	v_cndmask_b32_e32 v4, v11, v8, vcc
	v_ldexp_f32 v8, v9, v10
	v_mul_f32_e32 v9, 0x3fb8aa3b, v6
	v_fma_f32 v10, v6, s0, -v9
	v_rndne_f32_e32 v12, v9
	v_fmac_f32_e32 v10, 0x32a5705f, v6
	v_sub_f32_e32 v9, v9, v12
	v_add_f32_e32 v9, v9, v10
	v_exp_f32_e32 v9, v9
	v_cvt_i32_f32_e32 v10, v12
	v_cmp_ngt_f32_e32 vcc, s1, v5
	v_cndmask_b32_e32 v8, 0, v8, vcc
	v_cmp_nlt_f32_e32 vcc, s2, v5
	v_sub_f32_e32 v7, v7, v17
	v_cndmask_b32_e32 v5, v11, v8, vcc
	v_mul_f32_e32 v8, 0x3fb8aa3b, v7
	v_add_f32_e32 v4, v4, v5
	v_ldexp_f32 v5, v9, v10
	v_fma_f32 v9, v7, s0, -v8
	v_rndne_f32_e32 v10, v8
	v_fmac_f32_e32 v9, 0x32a5705f, v7
	v_sub_f32_e32 v8, v8, v10
	v_add_f32_e32 v8, v8, v9
	v_exp_f32_e32 v8, v8
	v_cvt_i32_f32_e32 v9, v10
	v_cmp_ngt_f32_e32 vcc, s1, v6
	v_cndmask_b32_e32 v5, 0, v5, vcc
	v_cmp_nlt_f32_e32 vcc, s2, v6
	v_sub_f32_e32 v0, v0, v17
	v_cndmask_b32_e32 v5, v11, v5, vcc
	v_mul_f32_e32 v6, 0x3fb8aa3b, v0
	v_add_f32_e32 v4, v4, v5
	v_ldexp_f32 v5, v8, v9
	v_fma_f32 v8, v0, s0, -v6
	v_rndne_f32_e32 v9, v6
	v_fmac_f32_e32 v8, 0x32a5705f, v0
	v_sub_f32_e32 v6, v6, v9
	v_add_f32_e32 v6, v6, v8
	v_exp_f32_e32 v6, v6
	v_cvt_i32_f32_e32 v8, v9
	v_cmp_ngt_f32_e32 vcc, s1, v7
	v_cndmask_b32_e32 v5, 0, v5, vcc
	v_cmp_nlt_f32_e32 vcc, s2, v7
	v_cndmask_b32_e32 v5, v11, v5, vcc
	v_sub_f32_e32 v1, v1, v17
	v_add_f32_e32 v4, v4, v5
	v_ldexp_f32 v5, v6, v8
	v_mul_f32_e32 v6, 0x3fb8aa3b, v1
	v_fma_f32 v7, v1, s0, -v6
	v_rndne_f32_e32 v8, v6
	v_fmac_f32_e32 v7, 0x32a5705f, v1
	v_sub_f32_e32 v6, v6, v8
	v_add_f32_e32 v6, v6, v7
	v_exp_f32_e32 v6, v6
	v_cvt_i32_f32_e32 v7, v8
	v_cmp_ngt_f32_e32 vcc, s1, v0
	v_cndmask_b32_e32 v5, 0, v5, vcc
	v_cmp_nlt_f32_e32 vcc, s2, v0
	v_sub_f32_e32 v2, v2, v17
	v_cndmask_b32_e32 v0, v11, v5, vcc
	v_mul_f32_e32 v5, 0x3fb8aa3b, v2
	v_add_f32_e32 v0, v4, v0
	v_ldexp_f32 v4, v6, v7
	v_fma_f32 v6, v2, s0, -v5
	v_rndne_f32_e32 v7, v5
	v_fmac_f32_e32 v6, 0x32a5705f, v2
	v_sub_f32_e32 v5, v5, v7
	v_add_f32_e32 v5, v5, v6
	v_exp_f32_e32 v5, v5
	v_cvt_i32_f32_e32 v6, v7
	v_cmp_ngt_f32_e32 vcc, s1, v1
	v_cndmask_b32_e32 v4, 0, v4, vcc
	v_cmp_nlt_f32_e32 vcc, s2, v1
	v_sub_f32_e32 v3, v3, v17
	v_cndmask_b32_e32 v1, v11, v4, vcc
	v_mul_f32_e32 v4, 0x3fb8aa3b, v3
	v_add_f32_e32 v0, v0, v1
	v_ldexp_f32 v1, v5, v6
	v_fma_f32 v5, v3, s0, -v4
	v_rndne_f32_e32 v6, v4
	v_fmac_f32_e32 v5, 0x32a5705f, v3
	v_sub_f32_e32 v4, v4, v6
	v_add_f32_e32 v4, v4, v5
	v_exp_f32_e32 v4, v4
	v_cvt_i32_f32_e32 v5, v6
	v_cmp_ngt_f32_e32 vcc, s1, v2
	v_cndmask_b32_e32 v1, 0, v1, vcc
	v_cmp_nlt_f32_e32 vcc, s2, v2
	v_cndmask_b32_e32 v1, v11, v1, vcc
	v_add_f32_e32 v0, v0, v1
	v_ldexp_f32 v1, v4, v5
	v_cmp_ngt_f32_e32 vcc, s1, v3
	v_cndmask_b32_e32 v1, 0, v1, vcc
	v_cmp_nlt_f32_e32 vcc, s2, v3
	v_cndmask_b32_e32 v1, v11, v1, vcc
	v_add_f32_e32 v0, v0, v1
	v_cmp_eq_u32_e32 vcc, 0, v15
	s_nop 0
	v_mov_b32_dpp v1, v0 quad_perm:[1,0,3,2] row_mask:0xf bank_mask:0xf
	v_add_f32_e32 v0, v0, v1
	s_nop 1
	v_mov_b32_dpp v1, v0 quad_perm:[2,3,0,1] row_mask:0xf bank_mask:0xf
	s_and_b64 exec, exec, vcc
	s_cbranch_execz .LBB52_29
; %bb.17:
	v_add_f32_e32 v0, v0, v1
	v_add_f32_e32 v0, v16, v0
	v_cmp_neq_f32_e32 vcc, 0, v0
	s_and_b64 exec, exec, vcc
	s_cbranch_execz .LBB52_29
; %bb.18:
	s_andn2_b64 vcc, exec, s[16:17]
	s_cbranch_vccnz .LBB52_29
; %bb.19:
	v_div_scale_f32 v1, s[0:1], v0, v0, 1.0
	v_rcp_f32_e32 v2, v1
	v_div_scale_f32 v3, vcc, 1.0, v0, 1.0
	s_cmp_gt_u32 s8, 3
	v_fma_f32 v4, -v1, v2, 1.0
	v_fmac_f32_e32 v2, v4, v2
	v_mul_f32_e32 v4, v3, v2
	v_fma_f32 v5, -v1, v4, v3
	v_fmac_f32_e32 v4, v5, v2
	v_fma_f32 v1, -v1, v4, v3
	v_div_fmas_f32 v1, v1, v2, v4
	v_mul_lo_u32 v2, v14, s11
	v_div_fixup_f32 v0, v1, v0, 1.0
	v_ashrrev_i32_e32 v3, 31, v2
	s_cbranch_scc0 .LBB52_23
; %bb.20:
	v_lshlrev_b64 v[4:5], 2, v[2:3]
	v_mov_b32_e32 v6, s7
	v_add_co_u32_e32 v4, vcc, s6, v4
	v_addc_co_u32_e32 v5, vcc, v5, v6, vcc
	s_and_b32 s4, s8, 0x7ffffffc
	v_add_co_u32_e32 v4, vcc, 8, v4
	v_mov_b32_e32 v1, v0
	v_addc_co_u32_e32 v5, vcc, 0, v5, vcc
	s_mov_b32 s0, s4
.LBB52_21:                              ; =>This Inner Loop Header: Depth=1
	global_load_dwordx4 v[6:9], v[4:5], off offset:-8
	s_add_i32 s0, s0, -4
	s_cmp_lg_u32 s0, 0
	s_waitcnt vmcnt(0)
	v_pk_mul_f32 v[6:7], v[0:1], v[6:7]
	v_pk_mul_f32 v[8:9], v[0:1], v[8:9]
	global_store_dwordx4 v[4:5], v[6:9], off offset:-8
	v_add_co_u32_e32 v4, vcc, 16, v4
	v_addc_co_u32_e32 v5, vcc, 0, v5, vcc
	s_cbranch_scc1 .LBB52_21
; %bb.22:
	s_cmp_lg_u32 s4, s8
	s_mov_b64 s[2:3], 0
	s_cselect_b64 s[0:1], -1, 0
	s_branch .LBB52_24
.LBB52_23:
	s_mov_b64 s[2:3], -1
	s_mov_b64 s[0:1], 0
                                        ; implicit-def: $sgpr4
.LBB52_24:
	s_and_b64 vcc, exec, s[2:3]
	s_cbranch_vccz .LBB52_26
; %bb.25:
	s_mov_b64 s[0:1], -1
	s_mov_b32 s4, 0
.LBB52_26:
	s_andn2_b64 vcc, exec, s[0:1]
	s_cbranch_vccnz .LBB52_29
; %bb.27:
	v_add_co_u32_e32 v2, vcc, s4, v2
	v_addc_co_u32_e32 v3, vcc, 0, v3, vcc
	v_lshlrev_b64 v[2:3], 2, v[2:3]
	v_mov_b32_e32 v1, s7
	v_add_co_u32_e32 v2, vcc, s6, v2
	s_sub_i32 s0, s8, s4
	v_addc_co_u32_e32 v3, vcc, v1, v3, vcc
.LBB52_28:                              ; =>This Inner Loop Header: Depth=1
	global_load_dword v1, v[2:3], off
	s_add_i32 s0, s0, -1
	s_cmp_lg_u32 s0, 0
	s_waitcnt vmcnt(0)
	v_mul_f32_e32 v1, v0, v1
	global_store_dword v[2:3], v1, off
	v_add_co_u32_e32 v2, vcc, 4, v2
	v_addc_co_u32_e32 v3, vcc, 0, v3, vcc
	s_cbranch_scc1 .LBB52_28
.LBB52_29:
	s_endpgm
	.section	.rodata,"a",@progbits
	.p2align	6, 0x0
	.amdhsa_kernel _ZN4vllm3moe17topkGatingSoftmaxIfLi8ELi32ELi8ELi32ELb0ELi0ELNS0_23SharedExpertScoringFuncE0EEEvPKT_PKbPfiPiS9_iiiiii
		.amdhsa_group_segment_fixed_size 0
		.amdhsa_private_segment_fixed_size 0
		.amdhsa_kernarg_size 72
		.amdhsa_user_sgpr_count 6
		.amdhsa_user_sgpr_private_segment_buffer 1
		.amdhsa_user_sgpr_dispatch_ptr 0
		.amdhsa_user_sgpr_queue_ptr 0
		.amdhsa_user_sgpr_kernarg_segment_ptr 1
		.amdhsa_user_sgpr_dispatch_id 0
		.amdhsa_user_sgpr_flat_scratch_init 0
		.amdhsa_user_sgpr_kernarg_preload_length 0
		.amdhsa_user_sgpr_kernarg_preload_offset 0
		.amdhsa_user_sgpr_private_segment_size 0
		.amdhsa_uses_dynamic_stack 0
		.amdhsa_system_sgpr_private_segment_wavefront_offset 0
		.amdhsa_system_sgpr_workgroup_id_x 1
		.amdhsa_system_sgpr_workgroup_id_y 0
		.amdhsa_system_sgpr_workgroup_id_z 0
		.amdhsa_system_sgpr_workgroup_info 0
		.amdhsa_system_vgpr_workitem_id 1
		.amdhsa_next_free_vgpr 33
		.amdhsa_next_free_sgpr 25
		.amdhsa_accum_offset 36
		.amdhsa_reserve_vcc 1
		.amdhsa_reserve_flat_scratch 0
		.amdhsa_float_round_mode_32 0
		.amdhsa_float_round_mode_16_64 0
		.amdhsa_float_denorm_mode_32 3
		.amdhsa_float_denorm_mode_16_64 3
		.amdhsa_dx10_clamp 1
		.amdhsa_ieee_mode 1
		.amdhsa_fp16_overflow 0
		.amdhsa_tg_split 0
		.amdhsa_exception_fp_ieee_invalid_op 0
		.amdhsa_exception_fp_denorm_src 0
		.amdhsa_exception_fp_ieee_div_zero 0
		.amdhsa_exception_fp_ieee_overflow 0
		.amdhsa_exception_fp_ieee_underflow 0
		.amdhsa_exception_fp_ieee_inexact 0
		.amdhsa_exception_int_div_zero 0
	.end_amdhsa_kernel
	.section	.text._ZN4vllm3moe17topkGatingSoftmaxIfLi8ELi32ELi8ELi32ELb0ELi0ELNS0_23SharedExpertScoringFuncE0EEEvPKT_PKbPfiPiS9_iiiiii,"axG",@progbits,_ZN4vllm3moe17topkGatingSoftmaxIfLi8ELi32ELi8ELi32ELb0ELi0ELNS0_23SharedExpertScoringFuncE0EEEvPKT_PKbPfiPiS9_iiiiii,comdat
.Lfunc_end52:
	.size	_ZN4vllm3moe17topkGatingSoftmaxIfLi8ELi32ELi8ELi32ELb0ELi0ELNS0_23SharedExpertScoringFuncE0EEEvPKT_PKbPfiPiS9_iiiiii, .Lfunc_end52-_ZN4vllm3moe17topkGatingSoftmaxIfLi8ELi32ELi8ELi32ELb0ELi0ELNS0_23SharedExpertScoringFuncE0EEEvPKT_PKbPfiPiS9_iiiiii
                                        ; -- End function
	.section	.AMDGPU.csdata,"",@progbits
; Kernel info:
; codeLenInByte = 2948
; NumSgprs: 29
; NumVgprs: 33
; NumAgprs: 0
; TotalNumVgprs: 33
; ScratchSize: 0
; MemoryBound: 0
; FloatMode: 240
; IeeeMode: 1
; LDSByteSize: 0 bytes/workgroup (compile time only)
; SGPRBlocks: 3
; VGPRBlocks: 4
; NumSGPRsForWavesPerEU: 29
; NumVGPRsForWavesPerEU: 33
; AccumOffset: 36
; Occupancy: 8
; WaveLimiterHint : 0
; COMPUTE_PGM_RSRC2:SCRATCH_EN: 0
; COMPUTE_PGM_RSRC2:USER_SGPR: 6
; COMPUTE_PGM_RSRC2:TRAP_HANDLER: 0
; COMPUTE_PGM_RSRC2:TGID_X_EN: 1
; COMPUTE_PGM_RSRC2:TGID_Y_EN: 0
; COMPUTE_PGM_RSRC2:TGID_Z_EN: 0
; COMPUTE_PGM_RSRC2:TIDIG_COMP_CNT: 1
; COMPUTE_PGM_RSRC3_GFX90A:ACCUM_OFFSET: 8
; COMPUTE_PGM_RSRC3_GFX90A:TG_SPLIT: 0
	.section	.text._ZN4vllm3moe17topkGatingSoftmaxIfLi8ELi32ELi8ELi32ELb1ELi1ELNS0_23SharedExpertScoringFuncE1EEEvPKT_PKbPfiPiS9_iiiiii,"axG",@progbits,_ZN4vllm3moe17topkGatingSoftmaxIfLi8ELi32ELi8ELi32ELb1ELi1ELNS0_23SharedExpertScoringFuncE1EEEvPKT_PKbPfiPiS9_iiiiii,comdat
	.protected	_ZN4vllm3moe17topkGatingSoftmaxIfLi8ELi32ELi8ELi32ELb1ELi1ELNS0_23SharedExpertScoringFuncE1EEEvPKT_PKbPfiPiS9_iiiiii ; -- Begin function _ZN4vllm3moe17topkGatingSoftmaxIfLi8ELi32ELi8ELi32ELb1ELi1ELNS0_23SharedExpertScoringFuncE1EEEvPKT_PKbPfiPiS9_iiiiii
	.globl	_ZN4vllm3moe17topkGatingSoftmaxIfLi8ELi32ELi8ELi32ELb1ELi1ELNS0_23SharedExpertScoringFuncE1EEEvPKT_PKbPfiPiS9_iiiiii
	.p2align	8
	.type	_ZN4vllm3moe17topkGatingSoftmaxIfLi8ELi32ELi8ELi32ELb1ELi1ELNS0_23SharedExpertScoringFuncE1EEEvPKT_PKbPfiPiS9_iiiiii,@function
_ZN4vllm3moe17topkGatingSoftmaxIfLi8ELi32ELi8ELi32ELb1ELi1ELNS0_23SharedExpertScoringFuncE1EEEvPKT_PKbPfiPiS9_iiiiii: ; @_ZN4vllm3moe17topkGatingSoftmaxIfLi8ELi32ELi8ELi32ELb1ELi1ELNS0_23SharedExpertScoringFuncE1EEEvPKT_PKbPfiPiS9_iiiiii
; %bb.0:
	s_load_dword s24, s[4:5], 0x18
	v_bfe_u32 v1, v0, 10, 10
	v_and_b32_e32 v0, 0x3ff, v0
	s_lshl_b32 s25, s6, 7
	v_lshlrev_b32_e32 v24, 4, v1
	v_lshrrev_b32_e32 v25, 2, v0
	v_add3_u32 v14, s25, v24, v25
	s_waitcnt lgkmcnt(0)
	v_cmp_gt_i32_e32 vcc, s24, v14
	s_and_saveexec_b64 s[0:1], vcc
	s_cbranch_execz .LBB53_29
; %bb.1:
	s_load_dwordx4 s[0:3], s[4:5], 0x0
	s_load_dwordx2 s[16:17], s[4:5], 0x10
	s_waitcnt lgkmcnt(0)
	s_cmp_eq_u64 s[2:3], 0
	s_cbranch_scc1 .LBB53_3
; %bb.2:
	v_ashrrev_i32_e32 v1, 31, v14
	v_mov_b32_e32 v3, s3
	v_add_co_u32_e32 v2, vcc, s2, v14
	v_addc_co_u32_e32 v3, vcc, v3, v1, vcc
	global_load_ubyte v1, v[2:3], off
	s_waitcnt vmcnt(0)
	v_and_b32_e32 v1, 1, v1
	v_cmp_eq_u32_e32 vcc, 1, v1
	s_xor_b64 s[2:3], vcc, -1
	s_orn2_b64 s[18:19], s[2:3], exec
	s_branch .LBB53_4
.LBB53_3:
	s_mov_b64 s[18:19], -1
.LBB53_4:
	s_load_dwordx2 s[22:23], s[4:5], 0x40
	s_load_dwordx4 s[8:11], s[4:5], 0x30
	v_mov_b32_e32 v1, s1
	v_and_b32_e32 v15, 3, v0
	v_lshlrev_b32_e32 v0, 5, v15
	s_waitcnt lgkmcnt(0)
	v_mul_lo_u32 v2, v14, s23
	v_ashrrev_i32_e32 v3, 31, v2
	v_lshlrev_b64 v[2:3], 2, v[2:3]
	v_add_co_u32_e32 v8, vcc, s0, v2
	v_addc_co_u32_e32 v9, vcc, v1, v3, vcc
	v_add_co_u32_e32 v10, vcc, v8, v0
	v_addc_co_u32_e32 v11, vcc, 0, v9, vcc
	global_load_dwordx4 v[0:3], v[10:11], off offset:16
	global_load_dwordx4 v[4:7], v[10:11], off
	v_lshlrev_b32_e32 v17, 3, v15
	v_mov_b32_e32 v16, 0
	v_cmp_eq_u32_e64 s[0:1], 0, v15
	s_and_saveexec_b64 s[2:3], s[0:1]
	s_cbranch_execz .LBB53_6
; %bb.5:
	global_load_dword v10, v[8:9], off offset:128
	s_mov_b32 s6, 0xbfb8aa3b
	s_mov_b32 s7, 0x42ce8ed0
	;; [unrolled: 1-line block ×3, first 2 shown]
	v_mov_b32_e32 v11, 0x7f800000
	v_mul_lo_u32 v8, v14, s11
	v_add_u32_e32 v8, s8, v8
	v_mov_b32_e32 v18, s17
	s_waitcnt vmcnt(0)
	v_mul_f32_e32 v9, 0xbfb8aa3b, v10
	v_rndne_f32_e32 v12, v9
	v_fma_f32 v13, v10, s6, -v9
	v_sub_f32_e32 v9, v9, v12
	v_fmac_f32_e32 v13, 0xb2a5705f, v10
	v_add_f32_e32 v9, v9, v13
	v_cvt_i32_f32_e32 v12, v12
	v_exp_f32_e32 v13, v9
	v_cmp_nlt_f32_e32 vcc, s7, v10
	v_ashrrev_i32_e32 v9, 31, v8
	v_lshlrev_b64 v[8:9], 2, v[8:9]
	v_ldexp_f32 v12, v13, v12
	v_cndmask_b32_e32 v12, 0, v12, vcc
	v_cmp_ngt_f32_e32 vcc, s12, v10
	v_cndmask_b32_e32 v10, v11, v12, vcc
	v_add_f32_e32 v10, 1.0, v10
	v_div_scale_f32 v11, s[6:7], v10, v10, 1.0
	v_rcp_f32_e32 v12, v11
	v_div_scale_f32 v13, vcc, 1.0, v10, 1.0
	v_fma_f32 v19, -v11, v12, 1.0
	v_fmac_f32_e32 v12, v19, v12
	v_mul_f32_e32 v19, v13, v12
	v_fma_f32 v20, -v11, v19, v13
	v_fmac_f32_e32 v19, v20, v12
	v_fma_f32 v11, -v11, v19, v13
	v_div_fmas_f32 v11, v11, v12, v19
	v_add_co_u32_e32 v8, vcc, s16, v8
	v_div_fixup_f32 v10, v11, v10, 1.0
	v_addc_co_u32_e32 v9, vcc, v18, v9, vcc
	global_store_dword v[8:9], v10, off
.LBB53_6:
	s_or_b64 exec, exec, s[2:3]
	s_waitcnt vmcnt(0)
	v_cmp_lt_f32_e32 vcc, v4, v5
	v_or_b32_e32 v18, 1, v17
	v_cndmask_b32_e32 v9, v4, v5, vcc
	v_cndmask_b32_e32 v8, v17, v18, vcc
	v_cmp_lt_f32_e32 vcc, v9, v6
	v_or_b32_e32 v19, 2, v17
	v_cndmask_b32_e32 v9, v9, v6, vcc
	v_cndmask_b32_e32 v8, v8, v19, vcc
	;; [unrolled: 4-line block ×6, first 2 shown]
	v_or_b32_e32 v26, 7, v17
	v_cmp_lt_f32_e32 vcc, v9, v3
	v_cndmask_b32_e32 v10, v8, v26, vcc
	v_cndmask_b32_e32 v8, v9, v3, vcc
	s_nop 0
	v_mov_b32_dpp v9, v10 quad_perm:[1,0,3,2] row_mask:0xf bank_mask:0xf
	v_mov_b32_dpp v11, v8 quad_perm:[1,0,3,2] row_mask:0xf bank_mask:0xf
	v_cmp_eq_f32_e64 s[2:3], v8, v11
	v_cmp_lt_i32_e64 s[6:7], v9, v10
	v_cmp_lt_f32_e32 vcc, v8, v11
	s_and_b64 s[2:3], s[2:3], s[6:7]
	s_or_b64 vcc, vcc, s[2:3]
	s_cmp_gt_i32 s8, 0
	v_cndmask_b32_e32 v8, v8, v11, vcc
	v_cndmask_b32_e32 v9, v10, v9, vcc
	s_cselect_b64 s[20:21], -1, 0
	v_mov_b32_dpp v11, v8 quad_perm:[2,3,0,1] row_mask:0xf bank_mask:0xf
	v_mov_b32_dpp v10, v9 quad_perm:[2,3,0,1] row_mask:0xf bank_mask:0xf
	s_and_b64 vcc, exec, s[20:21]
	s_cbranch_vccz .LBB53_18
; %bb.7:
	s_load_dwordx4 s[12:15], s[4:5], 0x20
	v_cmp_eq_f32_e64 s[2:3], v8, v11
	v_cmp_lt_i32_e64 s[6:7], v10, v9
	v_cmp_lt_f32_e32 vcc, v8, v11
	s_and_b64 s[2:3], s[2:3], s[6:7]
	s_or_b64 vcc, vcc, s[2:3]
	v_cndmask_b32_e32 v28, v9, v10, vcc
	v_cndmask_b32_e32 v27, v8, v11, vcc
	v_mul_lo_u32 v12, v14, s11
	v_mul_lo_u32 v10, v14, s22
	;; [unrolled: 1-line block ×3, first 2 shown]
	v_mov_b32_e32 v16, 0
	s_and_saveexec_b64 s[4:5], s[0:1]
	s_cbranch_execz .LBB53_9
; %bb.8:
	v_sub_f32_e32 v9, v27, v27
	v_mul_f32_e32 v11, 0x3fb8aa3b, v9
	s_mov_b32 s2, 0x3fb8aa3b
	v_rndne_f32_e32 v13, v11
	v_sub_f32_e32 v16, v11, v13
	v_fma_f32 v11, v9, s2, -v11
	v_fmac_f32_e32 v11, 0x32a5705f, v9
	v_add_f32_e32 v11, v16, v11
	v_exp_f32_e32 v11, v11
	v_cvt_i32_f32_e32 v13, v13
	v_cmp_le_i32_e32 vcc, s9, v28
	v_cmp_gt_i32_e64 s[2:3], s10, v28
	s_mov_b32 s6, 0xc2ce8ed0
	s_and_b64 s[2:3], vcc, s[2:3]
	v_ldexp_f32 v11, v11, v13
	v_cmp_ngt_f32_e32 vcc, s6, v9
	s_mov_b32 s6, 0x42b17218
	v_cndmask_b32_e32 v11, 0, v11, vcc
	v_mov_b32_e32 v13, 0x7f800000
	v_cmp_nlt_f32_e32 vcc, s6, v9
	v_cndmask_b32_e32 v16, v13, v11, vcc
	v_ashrrev_i32_e32 v13, 31, v12
	v_lshlrev_b64 v[30:31], 2, v[12:13]
	v_mov_b32_e32 v9, s17
	v_add_co_u32_e32 v30, vcc, s16, v30
	v_addc_co_u32_e32 v31, vcc, v9, v31, vcc
	v_ashrrev_i32_e32 v11, 31, v10
	global_store_dword v[30:31], v16, off
	v_subrev_u32_e32 v9, s9, v28
	s_and_b64 vcc, s[18:19], s[2:3]
	v_lshlrev_b64 v[30:31], 2, v[10:11]
	v_cndmask_b32_e32 v9, 32, v9, vcc
	s_waitcnt lgkmcnt(0)
	v_mov_b32_e32 v11, s13
	v_add_co_u32_e32 v30, vcc, s12, v30
	v_addc_co_u32_e32 v31, vcc, v11, v31, vcc
	global_store_dword v[30:31], v9, off
	v_ashrrev_i32_e32 v9, 31, v8
	v_lshlrev_b64 v[30:31], 2, v[8:9]
	v_mov_b32_e32 v9, s15
	v_add_co_u32_e32 v30, vcc, s14, v30
	v_addc_co_u32_e32 v31, vcc, v9, v31, vcc
	global_store_dword v[30:31], v14, off
.LBB53_9:
	s_or_b64 exec, exec, s[4:5]
	v_ashrrev_i32_e32 v11, 31, v28
	v_lshrrev_b32_e32 v9, 29, v11
	v_add_u32_e32 v9, v28, v9
	v_ashrrev_i32_e32 v9, 3, v9
	v_lshrrev_b32_e32 v13, 30, v9
	v_add_u32_e32 v13, v9, v13
	v_and_b32_e32 v13, -4, v13
	v_sub_u32_e32 v13, v9, v13
	v_cmp_eq_u32_e32 vcc, v15, v13
	s_and_saveexec_b64 s[2:3], vcc
	s_cbranch_execz .LBB53_11
; %bb.10:
	v_lshrrev_b32_e32 v11, 27, v11
	v_add_u32_e32 v11, v28, v11
	v_lshlrev_b32_e32 v9, 3, v9
	v_ashrrev_i32_e32 v11, 5, v11
	v_sub_u32_e32 v9, v28, v9
	v_lshl_add_u32 v9, v11, 3, v9
	v_mov_b32_e32 v11, 0xff800000
	v_cmp_ne_u32_e32 vcc, 7, v9
	v_cndmask_b32_e32 v3, v11, v3, vcc
	v_cmp_ne_u32_e32 vcc, 6, v9
	v_cndmask_b32_e32 v2, v11, v2, vcc
	;; [unrolled: 2-line block ×8, first 2 shown]
.LBB53_11:
	s_or_b64 exec, exec, s[2:3]
	s_cmp_eq_u32 s8, 1
	s_cbranch_scc1 .LBB53_18
; %bb.12:
	s_add_i32 s25, s25, s24
	s_add_i32 s6, s8, -1
	v_add3_u32 v24, s25, v25, v24
	v_add_u32_e32 v8, 1, v8
	v_add_u32_e32 v10, 1, v10
	;; [unrolled: 1-line block ×3, first 2 shown]
	s_mov_b32 s7, 0x3fb8aa3b
	s_mov_b32 s22, 0xc2ce8ed0
	;; [unrolled: 1-line block ×3, first 2 shown]
	v_mov_b32_e32 v25, 0x7f800000
	v_mov_b32_e32 v28, 0xff800000
	s_branch .LBB53_14
.LBB53_13:                              ;   in Loop: Header=BB53_14 Depth=1
	s_or_b64 exec, exec, s[2:3]
	s_add_i32 s6, s6, -1
	v_add_u32_e32 v24, s24, v24
	v_add_u32_e32 v8, 1, v8
	v_add_u32_e32 v10, 1, v10
	s_cmp_eq_u32 s6, 0
	v_add_u32_e32 v12, 1, v12
	s_cbranch_scc1 .LBB53_18
.LBB53_14:                              ; =>This Inner Loop Header: Depth=1
	v_cmp_gt_f32_e32 vcc, v5, v4
	v_cndmask_b32_e32 v11, v4, v5, vcc
	v_cndmask_b32_e32 v9, v17, v18, vcc
	v_cmp_gt_f32_e32 vcc, v6, v11
	v_cndmask_b32_e32 v11, v11, v6, vcc
	v_cndmask_b32_e32 v9, v9, v19, vcc
	;; [unrolled: 3-line block ×7, first 2 shown]
	s_nop 0
	v_mov_b32_dpp v11, v13 quad_perm:[1,0,3,2] row_mask:0xf bank_mask:0xf
	v_mov_b32_dpp v29, v9 quad_perm:[1,0,3,2] row_mask:0xf bank_mask:0xf
	v_cmp_eq_f32_e64 s[2:3], v9, v29
	v_cmp_lt_i32_e64 s[4:5], v11, v13
	v_cmp_lt_f32_e32 vcc, v9, v29
	s_and_b64 s[2:3], s[2:3], s[4:5]
	s_or_b64 vcc, vcc, s[2:3]
	v_cndmask_b32_e32 v9, v9, v29, vcc
	v_cndmask_b32_e32 v13, v13, v11, vcc
	s_nop 0
	v_mov_b32_dpp v11, v9 quad_perm:[2,3,0,1] row_mask:0xf bank_mask:0xf
	v_mov_b32_dpp v29, v13 quad_perm:[2,3,0,1] row_mask:0xf bank_mask:0xf
	v_cmp_eq_f32_e64 s[2:3], v9, v11
	v_cmp_lt_i32_e64 s[4:5], v29, v13
	v_cmp_lt_f32_e32 vcc, v9, v11
	s_and_b64 s[2:3], s[2:3], s[4:5]
	s_or_b64 vcc, vcc, s[2:3]
	v_cndmask_b32_e32 v29, v13, v29, vcc
	s_and_saveexec_b64 s[4:5], s[0:1]
	s_cbranch_execz .LBB53_16
; %bb.15:                               ;   in Loop: Header=BB53_14 Depth=1
	v_cndmask_b32_e32 v9, v9, v11, vcc
	v_sub_f32_e32 v9, v9, v27
	v_mul_f32_e32 v11, 0x3fb8aa3b, v9
	v_fma_f32 v13, v9, s7, -v11
	v_rndne_f32_e32 v30, v11
	v_fmac_f32_e32 v13, 0x32a5705f, v9
	v_sub_f32_e32 v11, v11, v30
	v_add_f32_e32 v11, v11, v13
	v_exp_f32_e32 v11, v11
	v_cvt_i32_f32_e32 v13, v30
	v_cmp_le_i32_e32 vcc, s9, v29
	v_cmp_gt_i32_e64 s[2:3], s10, v29
	s_and_b64 s[2:3], vcc, s[2:3]
	v_ldexp_f32 v11, v11, v13
	v_cmp_ngt_f32_e32 vcc, s22, v9
	v_ashrrev_i32_e32 v13, 31, v12
	v_cndmask_b32_e32 v11, 0, v11, vcc
	v_cmp_nlt_f32_e32 vcc, s23, v9
	v_lshlrev_b64 v[30:31], 2, v[12:13]
	v_cndmask_b32_e32 v32, v25, v11, vcc
	v_mov_b32_e32 v9, s17
	v_add_co_u32_e32 v30, vcc, s16, v30
	v_addc_co_u32_e32 v31, vcc, v9, v31, vcc
	v_ashrrev_i32_e32 v11, 31, v10
	global_store_dword v[30:31], v32, off
	v_subrev_u32_e32 v9, s9, v29
	s_and_b64 vcc, s[18:19], s[2:3]
	v_lshlrev_b64 v[30:31], 2, v[10:11]
	v_cndmask_b32_e32 v9, 32, v9, vcc
	s_waitcnt lgkmcnt(0)
	v_mov_b32_e32 v11, s13
	v_add_co_u32_e32 v30, vcc, s12, v30
	v_addc_co_u32_e32 v31, vcc, v11, v31, vcc
	global_store_dword v[30:31], v9, off
	v_ashrrev_i32_e32 v9, 31, v8
	v_lshlrev_b64 v[30:31], 2, v[8:9]
	v_mov_b32_e32 v9, s15
	v_add_co_u32_e32 v30, vcc, s14, v30
	v_addc_co_u32_e32 v31, vcc, v9, v31, vcc
	v_add_f32_e32 v16, v16, v32
	global_store_dword v[30:31], v24, off
.LBB53_16:                              ;   in Loop: Header=BB53_14 Depth=1
	s_or_b64 exec, exec, s[4:5]
	v_ashrrev_i32_e32 v11, 31, v29
	v_lshrrev_b32_e32 v9, 29, v11
	v_add_u32_e32 v9, v29, v9
	v_ashrrev_i32_e32 v9, 3, v9
	v_lshrrev_b32_e32 v13, 30, v9
	v_add_u32_e32 v13, v9, v13
	v_and_b32_e32 v13, -4, v13
	v_sub_u32_e32 v13, v9, v13
	v_cmp_eq_u32_e32 vcc, v15, v13
	s_and_saveexec_b64 s[2:3], vcc
	s_cbranch_execz .LBB53_13
; %bb.17:                               ;   in Loop: Header=BB53_14 Depth=1
	v_lshrrev_b32_e32 v11, 27, v11
	v_add_u32_e32 v11, v29, v11
	v_lshlrev_b32_e32 v9, 3, v9
	v_ashrrev_i32_e32 v11, 5, v11
	v_sub_u32_e32 v9, v29, v9
	v_lshl_add_u32 v9, v11, 3, v9
	v_cmp_ne_u32_e32 vcc, 7, v9
	v_cndmask_b32_e32 v3, v28, v3, vcc
	v_cmp_ne_u32_e32 vcc, 6, v9
	v_cndmask_b32_e32 v2, v28, v2, vcc
	v_cmp_ne_u32_e32 vcc, 5, v9
	v_cndmask_b32_e32 v1, v28, v1, vcc
	v_cmp_ne_u32_e32 vcc, 4, v9
	v_cndmask_b32_e32 v0, v28, v0, vcc
	v_cmp_ne_u32_e32 vcc, 3, v9
	v_cndmask_b32_e32 v7, v28, v7, vcc
	v_cmp_ne_u32_e32 vcc, 2, v9
	v_cndmask_b32_e32 v6, v28, v6, vcc
	v_cmp_ne_u32_e32 vcc, 1, v9
	v_cndmask_b32_e32 v5, v28, v5, vcc
	v_cmp_ne_u32_e32 vcc, 0, v9
	v_cndmask_b32_e32 v4, v28, v4, vcc
	s_branch .LBB53_13
.LBB53_18:
	v_cmp_neq_f32_e32 vcc, 0, v16
	s_and_b64 s[0:1], s[0:1], vcc
	s_and_b64 exec, exec, s[0:1]
	s_cbranch_execz .LBB53_29
; %bb.19:
	s_andn2_b64 vcc, exec, s[20:21]
	s_cbranch_vccnz .LBB53_29
; %bb.20:
	v_div_scale_f32 v0, s[0:1], v16, v16, 1.0
	v_rcp_f32_e32 v1, v0
	v_div_scale_f32 v2, vcc, 1.0, v16, 1.0
	s_cmp_gt_u32 s8, 3
	v_fma_f32 v3, -v0, v1, 1.0
	v_fmac_f32_e32 v1, v3, v1
	v_mul_f32_e32 v3, v2, v1
	v_fma_f32 v4, -v0, v3, v2
	v_fmac_f32_e32 v3, v4, v1
	v_fma_f32 v0, -v0, v3, v2
	v_div_fmas_f32 v0, v0, v1, v3
	v_mul_lo_u32 v2, v14, s11
	v_div_fixup_f32 v0, v0, v16, 1.0
	v_ashrrev_i32_e32 v3, 31, v2
	s_cbranch_scc0 .LBB53_24
; %bb.21:
	v_lshlrev_b64 v[4:5], 2, v[2:3]
	v_mov_b32_e32 v6, s17
	v_add_co_u32_e32 v4, vcc, s16, v4
	v_addc_co_u32_e32 v5, vcc, v5, v6, vcc
	s_and_b32 s4, s8, 0x7ffffffc
	v_add_co_u32_e32 v4, vcc, 8, v4
	v_mov_b32_e32 v1, v0
	v_addc_co_u32_e32 v5, vcc, 0, v5, vcc
	s_mov_b32 s0, s4
.LBB53_22:                              ; =>This Inner Loop Header: Depth=1
	global_load_dwordx4 v[6:9], v[4:5], off offset:-8
	s_add_i32 s0, s0, -4
	s_cmp_lg_u32 s0, 0
	s_waitcnt vmcnt(0)
	v_pk_mul_f32 v[6:7], v[0:1], v[6:7]
	v_pk_mul_f32 v[8:9], v[0:1], v[8:9]
	global_store_dwordx4 v[4:5], v[6:9], off offset:-8
	v_add_co_u32_e32 v4, vcc, 16, v4
	v_addc_co_u32_e32 v5, vcc, 0, v5, vcc
	s_cbranch_scc1 .LBB53_22
; %bb.23:
	s_cmp_lg_u32 s4, s8
	s_cselect_b64 s[0:1], -1, 0
	s_branch .LBB53_26
.LBB53_24:
	s_mov_b64 s[0:1], 0
                                        ; implicit-def: $sgpr4
	s_cbranch_execz .LBB53_26
; %bb.25:
	s_mov_b64 s[0:1], -1
	s_mov_b32 s4, 0
.LBB53_26:
	s_andn2_b64 vcc, exec, s[0:1]
	s_cbranch_vccnz .LBB53_29
; %bb.27:
	v_add_co_u32_e32 v2, vcc, s4, v2
	v_addc_co_u32_e32 v3, vcc, 0, v3, vcc
	v_lshlrev_b64 v[2:3], 2, v[2:3]
	v_mov_b32_e32 v1, s17
	v_add_co_u32_e32 v2, vcc, s16, v2
	s_sub_i32 s0, s8, s4
	v_addc_co_u32_e32 v3, vcc, v1, v3, vcc
.LBB53_28:                              ; =>This Inner Loop Header: Depth=1
	global_load_dword v1, v[2:3], off
	s_add_i32 s0, s0, -1
	s_cmp_lg_u32 s0, 0
	s_waitcnt vmcnt(0)
	v_mul_f32_e32 v1, v0, v1
	global_store_dword v[2:3], v1, off
	v_add_co_u32_e32 v2, vcc, 4, v2
	v_addc_co_u32_e32 v3, vcc, 0, v3, vcc
	s_cbranch_scc1 .LBB53_28
.LBB53_29:
	s_endpgm
	.section	.rodata,"a",@progbits
	.p2align	6, 0x0
	.amdhsa_kernel _ZN4vllm3moe17topkGatingSoftmaxIfLi8ELi32ELi8ELi32ELb1ELi1ELNS0_23SharedExpertScoringFuncE1EEEvPKT_PKbPfiPiS9_iiiiii
		.amdhsa_group_segment_fixed_size 0
		.amdhsa_private_segment_fixed_size 0
		.amdhsa_kernarg_size 72
		.amdhsa_user_sgpr_count 6
		.amdhsa_user_sgpr_private_segment_buffer 1
		.amdhsa_user_sgpr_dispatch_ptr 0
		.amdhsa_user_sgpr_queue_ptr 0
		.amdhsa_user_sgpr_kernarg_segment_ptr 1
		.amdhsa_user_sgpr_dispatch_id 0
		.amdhsa_user_sgpr_flat_scratch_init 0
		.amdhsa_user_sgpr_kernarg_preload_length 0
		.amdhsa_user_sgpr_kernarg_preload_offset 0
		.amdhsa_user_sgpr_private_segment_size 0
		.amdhsa_uses_dynamic_stack 0
		.amdhsa_system_sgpr_private_segment_wavefront_offset 0
		.amdhsa_system_sgpr_workgroup_id_x 1
		.amdhsa_system_sgpr_workgroup_id_y 0
		.amdhsa_system_sgpr_workgroup_id_z 0
		.amdhsa_system_sgpr_workgroup_info 0
		.amdhsa_system_vgpr_workitem_id 1
		.amdhsa_next_free_vgpr 33
		.amdhsa_next_free_sgpr 26
		.amdhsa_accum_offset 36
		.amdhsa_reserve_vcc 1
		.amdhsa_reserve_flat_scratch 0
		.amdhsa_float_round_mode_32 0
		.amdhsa_float_round_mode_16_64 0
		.amdhsa_float_denorm_mode_32 3
		.amdhsa_float_denorm_mode_16_64 3
		.amdhsa_dx10_clamp 1
		.amdhsa_ieee_mode 1
		.amdhsa_fp16_overflow 0
		.amdhsa_tg_split 0
		.amdhsa_exception_fp_ieee_invalid_op 0
		.amdhsa_exception_fp_denorm_src 0
		.amdhsa_exception_fp_ieee_div_zero 0
		.amdhsa_exception_fp_ieee_overflow 0
		.amdhsa_exception_fp_ieee_underflow 0
		.amdhsa_exception_fp_ieee_inexact 0
		.amdhsa_exception_int_div_zero 0
	.end_amdhsa_kernel
	.section	.text._ZN4vllm3moe17topkGatingSoftmaxIfLi8ELi32ELi8ELi32ELb1ELi1ELNS0_23SharedExpertScoringFuncE1EEEvPKT_PKbPfiPiS9_iiiiii,"axG",@progbits,_ZN4vllm3moe17topkGatingSoftmaxIfLi8ELi32ELi8ELi32ELb1ELi1ELNS0_23SharedExpertScoringFuncE1EEEvPKT_PKbPfiPiS9_iiiiii,comdat
.Lfunc_end53:
	.size	_ZN4vllm3moe17topkGatingSoftmaxIfLi8ELi32ELi8ELi32ELb1ELi1ELNS0_23SharedExpertScoringFuncE1EEEvPKT_PKbPfiPiS9_iiiiii, .Lfunc_end53-_ZN4vllm3moe17topkGatingSoftmaxIfLi8ELi32ELi8ELi32ELb1ELi1ELNS0_23SharedExpertScoringFuncE1EEEvPKT_PKbPfiPiS9_iiiiii
                                        ; -- End function
	.section	.AMDGPU.csdata,"",@progbits
; Kernel info:
; codeLenInByte = 2148
; NumSgprs: 30
; NumVgprs: 33
; NumAgprs: 0
; TotalNumVgprs: 33
; ScratchSize: 0
; MemoryBound: 0
; FloatMode: 240
; IeeeMode: 1
; LDSByteSize: 0 bytes/workgroup (compile time only)
; SGPRBlocks: 3
; VGPRBlocks: 4
; NumSGPRsForWavesPerEU: 30
; NumVGPRsForWavesPerEU: 33
; AccumOffset: 36
; Occupancy: 8
; WaveLimiterHint : 0
; COMPUTE_PGM_RSRC2:SCRATCH_EN: 0
; COMPUTE_PGM_RSRC2:USER_SGPR: 6
; COMPUTE_PGM_RSRC2:TRAP_HANDLER: 0
; COMPUTE_PGM_RSRC2:TGID_X_EN: 1
; COMPUTE_PGM_RSRC2:TGID_Y_EN: 0
; COMPUTE_PGM_RSRC2:TGID_Z_EN: 0
; COMPUTE_PGM_RSRC2:TIDIG_COMP_CNT: 1
; COMPUTE_PGM_RSRC3_GFX90A:ACCUM_OFFSET: 8
; COMPUTE_PGM_RSRC3_GFX90A:TG_SPLIT: 0
	.section	.text._ZN4vllm3moe17topkGatingSoftmaxIfLi8ELi32ELi8ELi32ELb0ELi1ELNS0_23SharedExpertScoringFuncE1EEEvPKT_PKbPfiPiS9_iiiiii,"axG",@progbits,_ZN4vllm3moe17topkGatingSoftmaxIfLi8ELi32ELi8ELi32ELb0ELi1ELNS0_23SharedExpertScoringFuncE1EEEvPKT_PKbPfiPiS9_iiiiii,comdat
	.protected	_ZN4vllm3moe17topkGatingSoftmaxIfLi8ELi32ELi8ELi32ELb0ELi1ELNS0_23SharedExpertScoringFuncE1EEEvPKT_PKbPfiPiS9_iiiiii ; -- Begin function _ZN4vllm3moe17topkGatingSoftmaxIfLi8ELi32ELi8ELi32ELb0ELi1ELNS0_23SharedExpertScoringFuncE1EEEvPKT_PKbPfiPiS9_iiiiii
	.globl	_ZN4vllm3moe17topkGatingSoftmaxIfLi8ELi32ELi8ELi32ELb0ELi1ELNS0_23SharedExpertScoringFuncE1EEEvPKT_PKbPfiPiS9_iiiiii
	.p2align	8
	.type	_ZN4vllm3moe17topkGatingSoftmaxIfLi8ELi32ELi8ELi32ELb0ELi1ELNS0_23SharedExpertScoringFuncE1EEEvPKT_PKbPfiPiS9_iiiiii,@function
_ZN4vllm3moe17topkGatingSoftmaxIfLi8ELi32ELi8ELi32ELb0ELi1ELNS0_23SharedExpertScoringFuncE1EEEvPKT_PKbPfiPiS9_iiiiii: ; @_ZN4vllm3moe17topkGatingSoftmaxIfLi8ELi32ELi8ELi32ELb0ELi1ELNS0_23SharedExpertScoringFuncE1EEEvPKT_PKbPfiPiS9_iiiiii
; %bb.0:
	s_load_dword s22, s[4:5], 0x18
	v_bfe_u32 v1, v0, 10, 10
	v_and_b32_e32 v0, 0x3ff, v0
	s_lshl_b32 s23, s6, 7
	v_lshlrev_b32_e32 v25, 4, v1
	v_lshrrev_b32_e32 v26, 2, v0
	v_add3_u32 v14, s23, v25, v26
	s_waitcnt lgkmcnt(0)
	v_cmp_gt_i32_e32 vcc, s22, v14
	s_and_saveexec_b64 s[0:1], vcc
	s_cbranch_execz .LBB54_31
; %bb.1:
	s_load_dwordx4 s[0:3], s[4:5], 0x0
	s_load_dwordx2 s[16:17], s[4:5], 0x10
	s_waitcnt lgkmcnt(0)
	s_cmp_eq_u64 s[2:3], 0
	s_cbranch_scc1 .LBB54_3
; %bb.2:
	v_ashrrev_i32_e32 v1, 31, v14
	v_mov_b32_e32 v3, s3
	v_add_co_u32_e32 v2, vcc, s2, v14
	v_addc_co_u32_e32 v3, vcc, v3, v1, vcc
	global_load_ubyte v1, v[2:3], off
	s_waitcnt vmcnt(0)
	v_and_b32_e32 v1, 1, v1
	v_cmp_eq_u32_e32 vcc, 1, v1
	s_xor_b64 s[2:3], vcc, -1
	s_orn2_b64 s[18:19], s[2:3], exec
	s_branch .LBB54_4
.LBB54_3:
	s_mov_b64 s[18:19], -1
.LBB54_4:
	s_load_dwordx2 s[20:21], s[4:5], 0x40
	s_load_dwordx4 s[8:11], s[4:5], 0x30
	v_mov_b32_e32 v1, s1
	v_and_b32_e32 v16, 3, v0
	v_lshlrev_b32_e32 v0, 5, v16
	s_waitcnt lgkmcnt(0)
	v_mul_lo_u32 v2, v14, s21
	v_ashrrev_i32_e32 v3, 31, v2
	v_lshlrev_b64 v[2:3], 2, v[2:3]
	v_add_co_u32_e32 v8, vcc, s0, v2
	v_addc_co_u32_e32 v9, vcc, v1, v3, vcc
	v_add_co_u32_e32 v10, vcc, v8, v0
	v_addc_co_u32_e32 v11, vcc, 0, v9, vcc
	global_load_dwordx4 v[0:3], v[10:11], off offset:16
	global_load_dwordx4 v[4:7], v[10:11], off
	v_lshlrev_b32_e32 v18, 3, v16
	v_mov_b32_e32 v15, 0
	v_cmp_eq_u32_e64 s[0:1], 0, v16
	s_and_saveexec_b64 s[2:3], s[0:1]
	s_cbranch_execz .LBB54_6
; %bb.5:
	global_load_dword v10, v[8:9], off offset:128
	s_mov_b32 s6, 0xbfb8aa3b
	s_mov_b32 s7, 0x42ce8ed0
	;; [unrolled: 1-line block ×3, first 2 shown]
	v_mov_b32_e32 v11, 0x7f800000
	v_mul_lo_u32 v8, v14, s11
	v_add_u32_e32 v8, s8, v8
	v_mov_b32_e32 v17, s17
	s_waitcnt vmcnt(0)
	v_mul_f32_e32 v9, 0xbfb8aa3b, v10
	v_rndne_f32_e32 v12, v9
	v_fma_f32 v13, v10, s6, -v9
	v_sub_f32_e32 v9, v9, v12
	v_fmac_f32_e32 v13, 0xb2a5705f, v10
	v_add_f32_e32 v9, v9, v13
	v_cvt_i32_f32_e32 v12, v12
	v_exp_f32_e32 v13, v9
	v_cmp_nlt_f32_e32 vcc, s7, v10
	v_ashrrev_i32_e32 v9, 31, v8
	v_lshlrev_b64 v[8:9], 2, v[8:9]
	v_ldexp_f32 v12, v13, v12
	v_cndmask_b32_e32 v12, 0, v12, vcc
	v_cmp_ngt_f32_e32 vcc, s12, v10
	v_cndmask_b32_e32 v10, v11, v12, vcc
	v_add_f32_e32 v10, 1.0, v10
	v_div_scale_f32 v11, s[6:7], v10, v10, 1.0
	v_rcp_f32_e32 v12, v11
	v_div_scale_f32 v13, vcc, 1.0, v10, 1.0
	v_fma_f32 v19, -v11, v12, 1.0
	v_fmac_f32_e32 v12, v19, v12
	v_mul_f32_e32 v19, v13, v12
	v_fma_f32 v20, -v11, v19, v13
	v_fmac_f32_e32 v19, v20, v12
	v_fma_f32 v11, -v11, v19, v13
	v_div_fmas_f32 v11, v11, v12, v19
	v_add_co_u32_e32 v8, vcc, s16, v8
	v_div_fixup_f32 v10, v11, v10, 1.0
	v_addc_co_u32_e32 v9, vcc, v17, v9, vcc
	global_store_dword v[8:9], v10, off
.LBB54_6:
	s_or_b64 exec, exec, s[2:3]
	s_waitcnt vmcnt(0)
	v_cmp_lt_f32_e32 vcc, v4, v5
	v_or_b32_e32 v19, 1, v18
	v_cndmask_b32_e32 v9, v4, v5, vcc
	v_cndmask_b32_e32 v8, v18, v19, vcc
	v_cmp_lt_f32_e32 vcc, v9, v6
	v_or_b32_e32 v20, 2, v18
	v_cndmask_b32_e32 v9, v9, v6, vcc
	v_cndmask_b32_e32 v8, v8, v20, vcc
	;; [unrolled: 4-line block ×6, first 2 shown]
	v_or_b32_e32 v27, 7, v18
	v_cmp_lt_f32_e32 vcc, v9, v3
	v_cndmask_b32_e32 v8, v8, v27, vcc
	v_cndmask_b32_e32 v9, v9, v3, vcc
	s_nop 0
	v_mov_b32_dpp v10, v8 quad_perm:[1,0,3,2] row_mask:0xf bank_mask:0xf
	v_mov_b32_dpp v11, v9 quad_perm:[1,0,3,2] row_mask:0xf bank_mask:0xf
	v_cmp_eq_f32_e64 s[2:3], v9, v11
	v_cmp_lt_i32_e64 s[6:7], v10, v8
	v_cmp_lt_f32_e32 vcc, v9, v11
	s_and_b64 s[2:3], s[2:3], s[6:7]
	s_or_b64 vcc, vcc, s[2:3]
	v_cndmask_b32_e32 v11, v9, v11, vcc
	v_cndmask_b32_e32 v8, v8, v10, vcc
	s_nop 0
	v_mov_b32_dpp v10, v11 quad_perm:[2,3,0,1] row_mask:0xf bank_mask:0xf
	v_mov_b32_dpp v9, v8 quad_perm:[2,3,0,1] row_mask:0xf bank_mask:0xf
	v_cmp_eq_f32_e64 s[2:3], v11, v10
	v_cmp_lt_i32_e64 s[6:7], v9, v8
	v_cmp_lt_f32_e32 vcc, v11, v10
	s_and_b64 s[2:3], s[2:3], s[6:7]
	s_or_b64 s[2:3], vcc, s[2:3]
	s_cmp_gt_i32 s8, 0
	s_cselect_b64 s[6:7], -1, 0
	v_cndmask_b32_e64 v17, v11, v10, s[2:3]
	s_and_b64 vcc, exec, s[6:7]
	s_cbranch_vccz .LBB54_18
; %bb.7:
	s_load_dwordx4 s[12:15], s[4:5], 0x20
	v_cndmask_b32_e64 v28, v8, v9, s[2:3]
	v_mul_lo_u32 v12, v14, s11
	v_mul_lo_u32 v10, v14, s20
	;; [unrolled: 1-line block ×3, first 2 shown]
	v_mov_b32_e32 v15, 0
	s_and_saveexec_b64 s[4:5], s[0:1]
	s_cbranch_execz .LBB54_9
; %bb.8:
	v_sub_f32_e32 v9, v17, v17
	v_mul_f32_e32 v11, 0x3fb8aa3b, v9
	s_mov_b32 s2, 0x3fb8aa3b
	v_rndne_f32_e32 v13, v11
	v_sub_f32_e32 v15, v11, v13
	v_fma_f32 v11, v9, s2, -v11
	v_fmac_f32_e32 v11, 0x32a5705f, v9
	v_add_f32_e32 v11, v15, v11
	v_exp_f32_e32 v11, v11
	v_cvt_i32_f32_e32 v13, v13
	v_cmp_le_i32_e32 vcc, s9, v28
	v_cmp_gt_i32_e64 s[2:3], s10, v28
	s_mov_b32 s20, 0xc2ce8ed0
	s_and_b64 s[2:3], vcc, s[2:3]
	v_ldexp_f32 v11, v11, v13
	v_cmp_ngt_f32_e32 vcc, s20, v9
	s_mov_b32 s20, 0x42b17218
	v_cndmask_b32_e32 v11, 0, v11, vcc
	v_mov_b32_e32 v13, 0x7f800000
	v_cmp_nlt_f32_e32 vcc, s20, v9
	v_cndmask_b32_e32 v15, v13, v11, vcc
	v_ashrrev_i32_e32 v13, 31, v12
	v_lshlrev_b64 v[30:31], 2, v[12:13]
	v_mov_b32_e32 v9, s17
	v_add_co_u32_e32 v30, vcc, s16, v30
	v_addc_co_u32_e32 v31, vcc, v9, v31, vcc
	v_ashrrev_i32_e32 v11, 31, v10
	global_store_dword v[30:31], v15, off
	v_subrev_u32_e32 v9, s9, v28
	s_and_b64 vcc, s[18:19], s[2:3]
	v_lshlrev_b64 v[30:31], 2, v[10:11]
	v_cndmask_b32_e32 v9, 32, v9, vcc
	s_waitcnt lgkmcnt(0)
	v_mov_b32_e32 v11, s13
	v_add_co_u32_e32 v30, vcc, s12, v30
	v_addc_co_u32_e32 v31, vcc, v11, v31, vcc
	global_store_dword v[30:31], v9, off
	v_ashrrev_i32_e32 v9, 31, v8
	v_lshlrev_b64 v[30:31], 2, v[8:9]
	v_mov_b32_e32 v9, s15
	v_add_co_u32_e32 v30, vcc, s14, v30
	v_addc_co_u32_e32 v31, vcc, v9, v31, vcc
	global_store_dword v[30:31], v14, off
.LBB54_9:
	s_or_b64 exec, exec, s[4:5]
	v_ashrrev_i32_e32 v11, 31, v28
	v_lshrrev_b32_e32 v9, 29, v11
	v_add_u32_e32 v9, v28, v9
	v_ashrrev_i32_e32 v9, 3, v9
	v_lshrrev_b32_e32 v13, 30, v9
	v_add_u32_e32 v13, v9, v13
	v_and_b32_e32 v13, -4, v13
	v_sub_u32_e32 v13, v9, v13
	v_cmp_eq_u32_e32 vcc, v16, v13
	s_and_saveexec_b64 s[2:3], vcc
	s_cbranch_execz .LBB54_11
; %bb.10:
	v_lshrrev_b32_e32 v11, 27, v11
	v_add_u32_e32 v11, v28, v11
	v_lshlrev_b32_e32 v9, 3, v9
	v_ashrrev_i32_e32 v11, 5, v11
	v_sub_u32_e32 v9, v28, v9
	v_lshl_add_u32 v9, v11, 3, v9
	v_mov_b32_e32 v11, 0xff800000
	v_cmp_ne_u32_e32 vcc, 7, v9
	v_cndmask_b32_e32 v3, v11, v3, vcc
	v_cmp_ne_u32_e32 vcc, 6, v9
	v_cndmask_b32_e32 v2, v11, v2, vcc
	;; [unrolled: 2-line block ×8, first 2 shown]
.LBB54_11:
	s_or_b64 exec, exec, s[2:3]
	s_cmp_eq_u32 s8, 1
	s_cbranch_scc1 .LBB54_18
; %bb.12:
	s_add_i32 s23, s23, s22
	s_add_i32 s20, s8, -1
	v_add3_u32 v25, s23, v26, v25
	v_add_u32_e32 v8, 1, v8
	v_add_u32_e32 v10, 1, v10
	v_add_u32_e32 v12, 1, v12
	s_mov_b32 s21, 0x3fb8aa3b
	s_mov_b32 s23, 0xc2ce8ed0
	;; [unrolled: 1-line block ×3, first 2 shown]
	v_mov_b32_e32 v26, 0x7f800000
	v_mov_b32_e32 v28, 0xff800000
	s_branch .LBB54_14
.LBB54_13:                              ;   in Loop: Header=BB54_14 Depth=1
	s_or_b64 exec, exec, s[2:3]
	s_add_i32 s20, s20, -1
	v_add_u32_e32 v25, s22, v25
	v_add_u32_e32 v8, 1, v8
	v_add_u32_e32 v10, 1, v10
	s_cmp_eq_u32 s20, 0
	v_add_u32_e32 v12, 1, v12
	s_cbranch_scc1 .LBB54_18
.LBB54_14:                              ; =>This Inner Loop Header: Depth=1
	v_cmp_gt_f32_e32 vcc, v5, v4
	v_cndmask_b32_e32 v11, v4, v5, vcc
	v_cndmask_b32_e32 v9, v18, v19, vcc
	v_cmp_gt_f32_e32 vcc, v6, v11
	v_cndmask_b32_e32 v11, v11, v6, vcc
	v_cndmask_b32_e32 v9, v9, v20, vcc
	;; [unrolled: 3-line block ×7, first 2 shown]
	s_nop 0
	v_mov_b32_dpp v11, v13 quad_perm:[1,0,3,2] row_mask:0xf bank_mask:0xf
	v_mov_b32_dpp v29, v9 quad_perm:[1,0,3,2] row_mask:0xf bank_mask:0xf
	v_cmp_eq_f32_e64 s[2:3], v9, v29
	v_cmp_lt_i32_e64 s[4:5], v11, v13
	v_cmp_lt_f32_e32 vcc, v9, v29
	s_and_b64 s[2:3], s[2:3], s[4:5]
	s_or_b64 vcc, vcc, s[2:3]
	v_cndmask_b32_e32 v9, v9, v29, vcc
	v_cndmask_b32_e32 v13, v13, v11, vcc
	s_nop 0
	v_mov_b32_dpp v11, v9 quad_perm:[2,3,0,1] row_mask:0xf bank_mask:0xf
	v_mov_b32_dpp v29, v13 quad_perm:[2,3,0,1] row_mask:0xf bank_mask:0xf
	v_cmp_eq_f32_e64 s[2:3], v9, v11
	v_cmp_lt_i32_e64 s[4:5], v29, v13
	v_cmp_lt_f32_e32 vcc, v9, v11
	s_and_b64 s[2:3], s[2:3], s[4:5]
	s_or_b64 vcc, vcc, s[2:3]
	v_cndmask_b32_e32 v29, v13, v29, vcc
	s_and_saveexec_b64 s[4:5], s[0:1]
	s_cbranch_execz .LBB54_16
; %bb.15:                               ;   in Loop: Header=BB54_14 Depth=1
	v_cndmask_b32_e32 v9, v9, v11, vcc
	v_sub_f32_e32 v9, v9, v17
	v_mul_f32_e32 v11, 0x3fb8aa3b, v9
	v_fma_f32 v13, v9, s21, -v11
	v_rndne_f32_e32 v30, v11
	v_fmac_f32_e32 v13, 0x32a5705f, v9
	v_sub_f32_e32 v11, v11, v30
	v_add_f32_e32 v11, v11, v13
	v_exp_f32_e32 v11, v11
	v_cvt_i32_f32_e32 v13, v30
	v_cmp_le_i32_e32 vcc, s9, v29
	v_cmp_gt_i32_e64 s[2:3], s10, v29
	s_and_b64 s[2:3], vcc, s[2:3]
	v_ldexp_f32 v11, v11, v13
	v_cmp_ngt_f32_e32 vcc, s23, v9
	v_ashrrev_i32_e32 v13, 31, v12
	v_cndmask_b32_e32 v11, 0, v11, vcc
	v_cmp_nlt_f32_e32 vcc, s24, v9
	v_lshlrev_b64 v[30:31], 2, v[12:13]
	v_cndmask_b32_e32 v32, v26, v11, vcc
	v_mov_b32_e32 v9, s17
	v_add_co_u32_e32 v30, vcc, s16, v30
	v_addc_co_u32_e32 v31, vcc, v9, v31, vcc
	v_ashrrev_i32_e32 v11, 31, v10
	global_store_dword v[30:31], v32, off
	v_subrev_u32_e32 v9, s9, v29
	s_and_b64 vcc, s[18:19], s[2:3]
	v_lshlrev_b64 v[30:31], 2, v[10:11]
	v_cndmask_b32_e32 v9, 32, v9, vcc
	s_waitcnt lgkmcnt(0)
	v_mov_b32_e32 v11, s13
	v_add_co_u32_e32 v30, vcc, s12, v30
	v_addc_co_u32_e32 v31, vcc, v11, v31, vcc
	global_store_dword v[30:31], v9, off
	v_ashrrev_i32_e32 v9, 31, v8
	v_lshlrev_b64 v[30:31], 2, v[8:9]
	v_mov_b32_e32 v9, s15
	v_add_co_u32_e32 v30, vcc, s14, v30
	v_addc_co_u32_e32 v31, vcc, v9, v31, vcc
	v_add_f32_e32 v15, v15, v32
	global_store_dword v[30:31], v25, off
.LBB54_16:                              ;   in Loop: Header=BB54_14 Depth=1
	s_or_b64 exec, exec, s[4:5]
	v_ashrrev_i32_e32 v11, 31, v29
	v_lshrrev_b32_e32 v9, 29, v11
	v_add_u32_e32 v9, v29, v9
	v_ashrrev_i32_e32 v9, 3, v9
	v_lshrrev_b32_e32 v13, 30, v9
	v_add_u32_e32 v13, v9, v13
	v_and_b32_e32 v13, -4, v13
	v_sub_u32_e32 v13, v9, v13
	v_cmp_eq_u32_e32 vcc, v16, v13
	s_and_saveexec_b64 s[2:3], vcc
	s_cbranch_execz .LBB54_13
; %bb.17:                               ;   in Loop: Header=BB54_14 Depth=1
	v_lshrrev_b32_e32 v11, 27, v11
	v_add_u32_e32 v11, v29, v11
	v_lshlrev_b32_e32 v9, 3, v9
	v_ashrrev_i32_e32 v11, 5, v11
	v_sub_u32_e32 v9, v29, v9
	v_lshl_add_u32 v9, v11, 3, v9
	v_cmp_ne_u32_e32 vcc, 7, v9
	v_cndmask_b32_e32 v3, v28, v3, vcc
	v_cmp_ne_u32_e32 vcc, 6, v9
	v_cndmask_b32_e32 v2, v28, v2, vcc
	;; [unrolled: 2-line block ×8, first 2 shown]
	s_branch .LBB54_13
.LBB54_18:
	v_sub_f32_e32 v4, v4, v17
	s_mov_b32 s2, 0x3fb8aa3b
	v_mul_f32_e32 v8, 0x3fb8aa3b, v4
	v_fma_f32 v9, v4, s2, -v8
	v_rndne_f32_e32 v10, v8
	v_fmac_f32_e32 v9, 0x32a5705f, v4
	v_sub_f32_e32 v8, v8, v10
	v_add_f32_e32 v8, v8, v9
	v_exp_f32_e32 v8, v8
	v_cvt_i32_f32_e32 v9, v10
	v_sub_f32_e32 v5, v5, v17
	s_mov_b32 s3, 0xc2ce8ed0
	v_cmp_ngt_f32_e32 vcc, s3, v4
	v_ldexp_f32 v8, v8, v9
	v_mul_f32_e32 v9, 0x3fb8aa3b, v5
	v_fma_f32 v10, v5, s2, -v9
	v_rndne_f32_e32 v11, v9
	v_fmac_f32_e32 v10, 0x32a5705f, v5
	v_sub_f32_e32 v9, v9, v11
	v_add_f32_e32 v9, v9, v10
	v_exp_f32_e32 v9, v9
	v_cvt_i32_f32_e32 v10, v11
	s_mov_b32 s4, 0x42b17218
	v_cndmask_b32_e32 v8, 0, v8, vcc
	v_mov_b32_e32 v11, 0x7f800000
	v_cmp_nlt_f32_e32 vcc, s4, v4
	v_sub_f32_e32 v6, v6, v17
	v_cndmask_b32_e32 v4, v11, v8, vcc
	v_ldexp_f32 v8, v9, v10
	v_mul_f32_e32 v9, 0x3fb8aa3b, v6
	v_fma_f32 v10, v6, s2, -v9
	v_rndne_f32_e32 v12, v9
	v_fmac_f32_e32 v10, 0x32a5705f, v6
	v_sub_f32_e32 v9, v9, v12
	v_add_f32_e32 v9, v9, v10
	v_exp_f32_e32 v9, v9
	v_cvt_i32_f32_e32 v10, v12
	v_cmp_ngt_f32_e32 vcc, s3, v5
	v_cndmask_b32_e32 v8, 0, v8, vcc
	v_cmp_nlt_f32_e32 vcc, s4, v5
	v_sub_f32_e32 v7, v7, v17
	v_cndmask_b32_e32 v5, v11, v8, vcc
	v_mul_f32_e32 v8, 0x3fb8aa3b, v7
	v_add_f32_e32 v4, v4, v5
	v_ldexp_f32 v5, v9, v10
	v_fma_f32 v9, v7, s2, -v8
	v_rndne_f32_e32 v10, v8
	v_fmac_f32_e32 v9, 0x32a5705f, v7
	v_sub_f32_e32 v8, v8, v10
	v_add_f32_e32 v8, v8, v9
	v_exp_f32_e32 v8, v8
	v_cvt_i32_f32_e32 v9, v10
	v_cmp_ngt_f32_e32 vcc, s3, v6
	v_cndmask_b32_e32 v5, 0, v5, vcc
	v_cmp_nlt_f32_e32 vcc, s4, v6
	v_sub_f32_e32 v0, v0, v17
	v_cndmask_b32_e32 v5, v11, v5, vcc
	v_mul_f32_e32 v6, 0x3fb8aa3b, v0
	v_add_f32_e32 v4, v4, v5
	v_ldexp_f32 v5, v8, v9
	v_fma_f32 v8, v0, s2, -v6
	v_rndne_f32_e32 v9, v6
	v_fmac_f32_e32 v8, 0x32a5705f, v0
	v_sub_f32_e32 v6, v6, v9
	v_add_f32_e32 v6, v6, v8
	v_exp_f32_e32 v6, v6
	v_cvt_i32_f32_e32 v8, v9
	v_cmp_ngt_f32_e32 vcc, s3, v7
	v_cndmask_b32_e32 v5, 0, v5, vcc
	v_cmp_nlt_f32_e32 vcc, s4, v7
	v_cndmask_b32_e32 v5, v11, v5, vcc
	v_sub_f32_e32 v1, v1, v17
	v_add_f32_e32 v4, v4, v5
	v_ldexp_f32 v5, v6, v8
	v_mul_f32_e32 v6, 0x3fb8aa3b, v1
	v_fma_f32 v7, v1, s2, -v6
	v_rndne_f32_e32 v8, v6
	v_fmac_f32_e32 v7, 0x32a5705f, v1
	v_sub_f32_e32 v6, v6, v8
	v_add_f32_e32 v6, v6, v7
	v_exp_f32_e32 v6, v6
	v_cvt_i32_f32_e32 v7, v8
	v_cmp_ngt_f32_e32 vcc, s3, v0
	v_cndmask_b32_e32 v5, 0, v5, vcc
	v_cmp_nlt_f32_e32 vcc, s4, v0
	v_sub_f32_e32 v2, v2, v17
	v_cndmask_b32_e32 v0, v11, v5, vcc
	v_mul_f32_e32 v5, 0x3fb8aa3b, v2
	v_add_f32_e32 v0, v4, v0
	v_ldexp_f32 v4, v6, v7
	v_fma_f32 v6, v2, s2, -v5
	v_rndne_f32_e32 v7, v5
	v_fmac_f32_e32 v6, 0x32a5705f, v2
	v_sub_f32_e32 v5, v5, v7
	v_add_f32_e32 v5, v5, v6
	v_exp_f32_e32 v5, v5
	v_cvt_i32_f32_e32 v6, v7
	v_cmp_ngt_f32_e32 vcc, s3, v1
	v_cndmask_b32_e32 v4, 0, v4, vcc
	v_cmp_nlt_f32_e32 vcc, s4, v1
	v_sub_f32_e32 v3, v3, v17
	v_cndmask_b32_e32 v1, v11, v4, vcc
	v_mul_f32_e32 v4, 0x3fb8aa3b, v3
	v_add_f32_e32 v0, v0, v1
	v_ldexp_f32 v1, v5, v6
	v_fma_f32 v5, v3, s2, -v4
	v_rndne_f32_e32 v6, v4
	v_fmac_f32_e32 v5, 0x32a5705f, v3
	v_sub_f32_e32 v4, v4, v6
	v_add_f32_e32 v4, v4, v5
	v_exp_f32_e32 v4, v4
	v_cvt_i32_f32_e32 v5, v6
	v_cmp_ngt_f32_e32 vcc, s3, v2
	v_cndmask_b32_e32 v1, 0, v1, vcc
	v_cmp_nlt_f32_e32 vcc, s4, v2
	v_cndmask_b32_e32 v1, v11, v1, vcc
	v_add_f32_e32 v0, v0, v1
	v_ldexp_f32 v1, v4, v5
	v_cmp_ngt_f32_e32 vcc, s3, v3
	v_cndmask_b32_e32 v1, 0, v1, vcc
	v_cmp_nlt_f32_e32 vcc, s4, v3
	v_cndmask_b32_e32 v1, v11, v1, vcc
	v_add_f32_e32 v0, v0, v1
	s_nop 1
	v_mov_b32_dpp v1, v0 quad_perm:[1,0,3,2] row_mask:0xf bank_mask:0xf
	v_add_f32_e32 v0, v0, v1
	s_nop 1
	v_mov_b32_dpp v1, v0 quad_perm:[2,3,0,1] row_mask:0xf bank_mask:0xf
	s_and_b64 exec, exec, s[0:1]
	s_cbranch_execz .LBB54_31
; %bb.19:
	v_add_f32_e32 v0, v0, v1
	v_add_f32_e32 v0, v15, v0
	v_cmp_neq_f32_e32 vcc, 0, v0
	s_and_b64 exec, exec, vcc
	s_cbranch_execz .LBB54_31
; %bb.20:
	s_andn2_b64 vcc, exec, s[6:7]
	s_cbranch_vccnz .LBB54_31
; %bb.21:
	v_div_scale_f32 v1, s[0:1], v0, v0, 1.0
	v_rcp_f32_e32 v2, v1
	v_div_scale_f32 v3, vcc, 1.0, v0, 1.0
	s_cmp_gt_u32 s8, 3
	v_fma_f32 v4, -v1, v2, 1.0
	v_fmac_f32_e32 v2, v4, v2
	v_mul_f32_e32 v4, v3, v2
	v_fma_f32 v5, -v1, v4, v3
	v_fmac_f32_e32 v4, v5, v2
	v_fma_f32 v1, -v1, v4, v3
	v_div_fmas_f32 v1, v1, v2, v4
	v_mul_lo_u32 v2, v14, s11
	v_div_fixup_f32 v0, v1, v0, 1.0
	v_ashrrev_i32_e32 v3, 31, v2
	s_cbranch_scc0 .LBB54_25
; %bb.22:
	v_lshlrev_b64 v[4:5], 2, v[2:3]
	v_mov_b32_e32 v6, s17
	v_add_co_u32_e32 v4, vcc, s16, v4
	v_addc_co_u32_e32 v5, vcc, v5, v6, vcc
	s_and_b32 s4, s8, 0x7ffffffc
	v_add_co_u32_e32 v4, vcc, 8, v4
	v_mov_b32_e32 v1, v0
	v_addc_co_u32_e32 v5, vcc, 0, v5, vcc
	s_mov_b32 s0, s4
.LBB54_23:                              ; =>This Inner Loop Header: Depth=1
	global_load_dwordx4 v[6:9], v[4:5], off offset:-8
	s_add_i32 s0, s0, -4
	s_cmp_lg_u32 s0, 0
	s_waitcnt vmcnt(0)
	v_pk_mul_f32 v[6:7], v[0:1], v[6:7]
	v_pk_mul_f32 v[8:9], v[0:1], v[8:9]
	global_store_dwordx4 v[4:5], v[6:9], off offset:-8
	v_add_co_u32_e32 v4, vcc, 16, v4
	v_addc_co_u32_e32 v5, vcc, 0, v5, vcc
	s_cbranch_scc1 .LBB54_23
; %bb.24:
	s_cmp_lg_u32 s4, s8
	s_mov_b64 s[2:3], 0
	s_cselect_b64 s[0:1], -1, 0
	s_branch .LBB54_26
.LBB54_25:
	s_mov_b64 s[2:3], -1
	s_mov_b64 s[0:1], 0
                                        ; implicit-def: $sgpr4
.LBB54_26:
	s_and_b64 vcc, exec, s[2:3]
	s_cbranch_vccz .LBB54_28
; %bb.27:
	s_mov_b64 s[0:1], -1
	s_mov_b32 s4, 0
.LBB54_28:
	s_andn2_b64 vcc, exec, s[0:1]
	s_cbranch_vccnz .LBB54_31
; %bb.29:
	v_add_co_u32_e32 v2, vcc, s4, v2
	v_addc_co_u32_e32 v3, vcc, 0, v3, vcc
	v_lshlrev_b64 v[2:3], 2, v[2:3]
	v_mov_b32_e32 v1, s17
	v_add_co_u32_e32 v2, vcc, s16, v2
	s_sub_i32 s0, s8, s4
	v_addc_co_u32_e32 v3, vcc, v1, v3, vcc
.LBB54_30:                              ; =>This Inner Loop Header: Depth=1
	global_load_dword v1, v[2:3], off
	s_add_i32 s0, s0, -1
	s_cmp_lg_u32 s0, 0
	s_waitcnt vmcnt(0)
	v_mul_f32_e32 v1, v0, v1
	global_store_dword v[2:3], v1, off
	v_add_co_u32_e32 v2, vcc, 4, v2
	v_addc_co_u32_e32 v3, vcc, 0, v3, vcc
	s_cbranch_scc1 .LBB54_30
.LBB54_31:
	s_endpgm
	.section	.rodata,"a",@progbits
	.p2align	6, 0x0
	.amdhsa_kernel _ZN4vllm3moe17topkGatingSoftmaxIfLi8ELi32ELi8ELi32ELb0ELi1ELNS0_23SharedExpertScoringFuncE1EEEvPKT_PKbPfiPiS9_iiiiii
		.amdhsa_group_segment_fixed_size 0
		.amdhsa_private_segment_fixed_size 0
		.amdhsa_kernarg_size 72
		.amdhsa_user_sgpr_count 6
		.amdhsa_user_sgpr_private_segment_buffer 1
		.amdhsa_user_sgpr_dispatch_ptr 0
		.amdhsa_user_sgpr_queue_ptr 0
		.amdhsa_user_sgpr_kernarg_segment_ptr 1
		.amdhsa_user_sgpr_dispatch_id 0
		.amdhsa_user_sgpr_flat_scratch_init 0
		.amdhsa_user_sgpr_kernarg_preload_length 0
		.amdhsa_user_sgpr_kernarg_preload_offset 0
		.amdhsa_user_sgpr_private_segment_size 0
		.amdhsa_uses_dynamic_stack 0
		.amdhsa_system_sgpr_private_segment_wavefront_offset 0
		.amdhsa_system_sgpr_workgroup_id_x 1
		.amdhsa_system_sgpr_workgroup_id_y 0
		.amdhsa_system_sgpr_workgroup_id_z 0
		.amdhsa_system_sgpr_workgroup_info 0
		.amdhsa_system_vgpr_workitem_id 1
		.amdhsa_next_free_vgpr 33
		.amdhsa_next_free_sgpr 25
		.amdhsa_accum_offset 36
		.amdhsa_reserve_vcc 1
		.amdhsa_reserve_flat_scratch 0
		.amdhsa_float_round_mode_32 0
		.amdhsa_float_round_mode_16_64 0
		.amdhsa_float_denorm_mode_32 3
		.amdhsa_float_denorm_mode_16_64 3
		.amdhsa_dx10_clamp 1
		.amdhsa_ieee_mode 1
		.amdhsa_fp16_overflow 0
		.amdhsa_tg_split 0
		.amdhsa_exception_fp_ieee_invalid_op 0
		.amdhsa_exception_fp_denorm_src 0
		.amdhsa_exception_fp_ieee_div_zero 0
		.amdhsa_exception_fp_ieee_overflow 0
		.amdhsa_exception_fp_ieee_underflow 0
		.amdhsa_exception_fp_ieee_inexact 0
		.amdhsa_exception_int_div_zero 0
	.end_amdhsa_kernel
	.section	.text._ZN4vllm3moe17topkGatingSoftmaxIfLi8ELi32ELi8ELi32ELb0ELi1ELNS0_23SharedExpertScoringFuncE1EEEvPKT_PKbPfiPiS9_iiiiii,"axG",@progbits,_ZN4vllm3moe17topkGatingSoftmaxIfLi8ELi32ELi8ELi32ELb0ELi1ELNS0_23SharedExpertScoringFuncE1EEEvPKT_PKbPfiPiS9_iiiiii,comdat
.Lfunc_end54:
	.size	_ZN4vllm3moe17topkGatingSoftmaxIfLi8ELi32ELi8ELi32ELb0ELi1ELNS0_23SharedExpertScoringFuncE1EEEvPKT_PKbPfiPiS9_iiiiii, .Lfunc_end54-_ZN4vllm3moe17topkGatingSoftmaxIfLi8ELi32ELi8ELi32ELb0ELi1ELNS0_23SharedExpertScoringFuncE1EEEvPKT_PKbPfiPiS9_iiiiii
                                        ; -- End function
	.section	.AMDGPU.csdata,"",@progbits
; Kernel info:
; codeLenInByte = 2848
; NumSgprs: 29
; NumVgprs: 33
; NumAgprs: 0
; TotalNumVgprs: 33
; ScratchSize: 0
; MemoryBound: 0
; FloatMode: 240
; IeeeMode: 1
; LDSByteSize: 0 bytes/workgroup (compile time only)
; SGPRBlocks: 3
; VGPRBlocks: 4
; NumSGPRsForWavesPerEU: 29
; NumVGPRsForWavesPerEU: 33
; AccumOffset: 36
; Occupancy: 8
; WaveLimiterHint : 0
; COMPUTE_PGM_RSRC2:SCRATCH_EN: 0
; COMPUTE_PGM_RSRC2:USER_SGPR: 6
; COMPUTE_PGM_RSRC2:TRAP_HANDLER: 0
; COMPUTE_PGM_RSRC2:TGID_X_EN: 1
; COMPUTE_PGM_RSRC2:TGID_Y_EN: 0
; COMPUTE_PGM_RSRC2:TGID_Z_EN: 0
; COMPUTE_PGM_RSRC2:TIDIG_COMP_CNT: 1
; COMPUTE_PGM_RSRC3_GFX90A:ACCUM_OFFSET: 8
; COMPUTE_PGM_RSRC3_GFX90A:TG_SPLIT: 0
	.section	.text._ZN4vllm3moe17topkGatingSoftmaxIfLi8ELi32ELi8ELi32ELb1ELi2ELNS0_23SharedExpertScoringFuncE1EEEvPKT_PKbPfiPiS9_iiiiii,"axG",@progbits,_ZN4vllm3moe17topkGatingSoftmaxIfLi8ELi32ELi8ELi32ELb1ELi2ELNS0_23SharedExpertScoringFuncE1EEEvPKT_PKbPfiPiS9_iiiiii,comdat
	.protected	_ZN4vllm3moe17topkGatingSoftmaxIfLi8ELi32ELi8ELi32ELb1ELi2ELNS0_23SharedExpertScoringFuncE1EEEvPKT_PKbPfiPiS9_iiiiii ; -- Begin function _ZN4vllm3moe17topkGatingSoftmaxIfLi8ELi32ELi8ELi32ELb1ELi2ELNS0_23SharedExpertScoringFuncE1EEEvPKT_PKbPfiPiS9_iiiiii
	.globl	_ZN4vllm3moe17topkGatingSoftmaxIfLi8ELi32ELi8ELi32ELb1ELi2ELNS0_23SharedExpertScoringFuncE1EEEvPKT_PKbPfiPiS9_iiiiii
	.p2align	8
	.type	_ZN4vllm3moe17topkGatingSoftmaxIfLi8ELi32ELi8ELi32ELb1ELi2ELNS0_23SharedExpertScoringFuncE1EEEvPKT_PKbPfiPiS9_iiiiii,@function
_ZN4vllm3moe17topkGatingSoftmaxIfLi8ELi32ELi8ELi32ELb1ELi2ELNS0_23SharedExpertScoringFuncE1EEEvPKT_PKbPfiPiS9_iiiiii: ; @_ZN4vllm3moe17topkGatingSoftmaxIfLi8ELi32ELi8ELi32ELb1ELi2ELNS0_23SharedExpertScoringFuncE1EEEvPKT_PKbPfiPiS9_iiiiii
; %bb.0:
	s_load_dword s24, s[4:5], 0x18
	v_bfe_u32 v1, v0, 10, 10
	v_and_b32_e32 v0, 0x3ff, v0
	s_lshl_b32 s25, s6, 7
	v_lshlrev_b32_e32 v23, 4, v1
	v_lshrrev_b32_e32 v24, 2, v0
	v_add3_u32 v14, s25, v23, v24
	s_waitcnt lgkmcnt(0)
	v_cmp_gt_i32_e32 vcc, s24, v14
	s_and_saveexec_b64 s[0:1], vcc
	s_cbranch_execz .LBB55_29
; %bb.1:
	s_load_dwordx4 s[0:3], s[4:5], 0x0
	s_load_dwordx2 s[16:17], s[4:5], 0x10
	s_waitcnt lgkmcnt(0)
	s_cmp_eq_u64 s[2:3], 0
	s_cbranch_scc1 .LBB55_3
; %bb.2:
	v_ashrrev_i32_e32 v1, 31, v14
	v_mov_b32_e32 v3, s3
	v_add_co_u32_e32 v2, vcc, s2, v14
	v_addc_co_u32_e32 v3, vcc, v3, v1, vcc
	global_load_ubyte v1, v[2:3], off
	s_waitcnt vmcnt(0)
	v_and_b32_e32 v1, 1, v1
	v_cmp_eq_u32_e32 vcc, 1, v1
	s_xor_b64 s[2:3], vcc, -1
	s_orn2_b64 s[18:19], s[2:3], exec
	s_branch .LBB55_4
.LBB55_3:
	s_mov_b64 s[18:19], -1
.LBB55_4:
	s_load_dwordx2 s[22:23], s[4:5], 0x40
	s_load_dwordx4 s[8:11], s[4:5], 0x30
	v_mov_b32_e32 v1, s1
	v_and_b32_e32 v15, 3, v0
	v_lshlrev_b32_e32 v0, 5, v15
	s_waitcnt lgkmcnt(0)
	v_mul_lo_u32 v2, v14, s23
	v_ashrrev_i32_e32 v3, 31, v2
	v_lshlrev_b64 v[2:3], 2, v[2:3]
	v_add_co_u32_e32 v8, vcc, s0, v2
	v_addc_co_u32_e32 v9, vcc, v1, v3, vcc
	v_add_co_u32_e32 v10, vcc, v8, v0
	v_addc_co_u32_e32 v11, vcc, 0, v9, vcc
	global_load_dwordx4 v[0:3], v[10:11], off offset:16
	global_load_dwordx4 v[4:7], v[10:11], off
	v_lshlrev_b32_e32 v17, 3, v15
	v_mov_b32_e32 v16, 0
	v_cmp_gt_u32_e32 vcc, 2, v15
	s_and_saveexec_b64 s[0:1], vcc
	s_cbranch_execz .LBB55_6
; %bb.5:
	v_lshlrev_b32_e32 v10, 2, v15
	v_add_co_u32_e32 v8, vcc, v8, v10
	v_addc_co_u32_e32 v9, vcc, 0, v9, vcc
	global_load_dword v10, v[8:9], off offset:128
	s_mov_b32 s2, 0xbfb8aa3b
	s_mov_b32 s3, 0x42ce8ed0
	;; [unrolled: 1-line block ×3, first 2 shown]
	v_mov_b32_e32 v11, 0x7f800000
	v_mul_lo_u32 v8, v14, s11
	v_add3_u32 v8, v8, s8, v15
	v_mov_b32_e32 v18, s17
	s_waitcnt vmcnt(0)
	v_mul_f32_e32 v9, 0xbfb8aa3b, v10
	v_fma_f32 v12, v10, s2, -v9
	v_rndne_f32_e32 v13, v9
	v_fmac_f32_e32 v12, 0xb2a5705f, v10
	v_sub_f32_e32 v9, v9, v13
	v_add_f32_e32 v9, v9, v12
	v_cvt_i32_f32_e32 v13, v13
	v_exp_f32_e32 v12, v9
	v_cmp_nlt_f32_e32 vcc, s3, v10
	v_ashrrev_i32_e32 v9, 31, v8
	v_lshlrev_b64 v[8:9], 2, v[8:9]
	v_ldexp_f32 v12, v12, v13
	v_cndmask_b32_e32 v12, 0, v12, vcc
	v_cmp_ngt_f32_e32 vcc, s6, v10
	v_cndmask_b32_e32 v10, v11, v12, vcc
	v_add_f32_e32 v10, 1.0, v10
	v_div_scale_f32 v11, s[2:3], v10, v10, 1.0
	v_rcp_f32_e32 v12, v11
	v_div_scale_f32 v13, vcc, 1.0, v10, 1.0
	v_fma_f32 v19, -v11, v12, 1.0
	v_fmac_f32_e32 v12, v19, v12
	v_mul_f32_e32 v19, v13, v12
	v_fma_f32 v20, -v11, v19, v13
	v_fmac_f32_e32 v19, v20, v12
	v_fma_f32 v11, -v11, v19, v13
	v_div_fmas_f32 v11, v11, v12, v19
	v_add_co_u32_e32 v8, vcc, s16, v8
	v_div_fixup_f32 v10, v11, v10, 1.0
	v_addc_co_u32_e32 v9, vcc, v18, v9, vcc
	global_store_dword v[8:9], v10, off
.LBB55_6:
	s_or_b64 exec, exec, s[0:1]
	s_waitcnt vmcnt(0)
	v_cmp_lt_f32_e32 vcc, v4, v5
	v_or_b32_e32 v18, 1, v17
	v_cndmask_b32_e32 v9, v4, v5, vcc
	v_cndmask_b32_e32 v8, v17, v18, vcc
	v_cmp_lt_f32_e32 vcc, v9, v6
	v_or_b32_e32 v19, 2, v17
	v_cndmask_b32_e32 v9, v9, v6, vcc
	v_cndmask_b32_e32 v8, v8, v19, vcc
	;; [unrolled: 4-line block ×6, first 2 shown]
	v_or_b32_e32 v26, 7, v17
	v_cmp_lt_f32_e32 vcc, v9, v3
	v_cndmask_b32_e32 v10, v8, v26, vcc
	v_cndmask_b32_e32 v8, v9, v3, vcc
	s_nop 0
	v_mov_b32_dpp v9, v10 quad_perm:[1,0,3,2] row_mask:0xf bank_mask:0xf
	v_mov_b32_dpp v11, v8 quad_perm:[1,0,3,2] row_mask:0xf bank_mask:0xf
	v_cmp_eq_f32_e64 s[0:1], v8, v11
	v_cmp_lt_i32_e64 s[2:3], v9, v10
	v_cmp_lt_f32_e32 vcc, v8, v11
	s_and_b64 s[0:1], s[0:1], s[2:3]
	s_or_b64 vcc, vcc, s[0:1]
	v_cndmask_b32_e32 v8, v8, v11, vcc
	v_cndmask_b32_e32 v9, v10, v9, vcc
	s_cmp_gt_i32 s8, 0
	v_mov_b32_dpp v11, v8 quad_perm:[2,3,0,1] row_mask:0xf bank_mask:0xf
	v_mov_b32_dpp v10, v9 quad_perm:[2,3,0,1] row_mask:0xf bank_mask:0xf
	s_cselect_b64 s[20:21], -1, 0
	s_cmp_lt_i32 s8, 1
	v_cmp_eq_u32_e32 vcc, 0, v15
	s_cbranch_scc1 .LBB55_18
; %bb.7:
	s_load_dwordx4 s[12:15], s[4:5], 0x20
	v_cmp_eq_f32_e64 s[2:3], v8, v11
	v_cmp_lt_i32_e64 s[6:7], v10, v9
	v_cmp_lt_f32_e64 s[0:1], v8, v11
	s_and_b64 s[2:3], s[2:3], s[6:7]
	s_or_b64 s[0:1], s[0:1], s[2:3]
	v_cndmask_b32_e64 v28, v9, v10, s[0:1]
	v_cndmask_b32_e64 v27, v8, v11, s[0:1]
	v_mul_lo_u32 v12, v14, s11
	v_mul_lo_u32 v10, v14, s22
	;; [unrolled: 1-line block ×3, first 2 shown]
	v_mov_b32_e32 v16, 0
	s_and_saveexec_b64 s[4:5], vcc
	s_cbranch_execz .LBB55_9
; %bb.8:
	v_sub_f32_e32 v9, v27, v27
	v_mul_f32_e32 v11, 0x3fb8aa3b, v9
	s_mov_b32 s0, 0x3fb8aa3b
	v_rndne_f32_e32 v13, v11
	v_sub_f32_e32 v16, v11, v13
	v_fma_f32 v11, v9, s0, -v11
	v_fmac_f32_e32 v11, 0x32a5705f, v9
	v_add_f32_e32 v11, v16, v11
	v_exp_f32_e32 v11, v11
	v_cvt_i32_f32_e32 v13, v13
	v_cmp_le_i32_e64 s[0:1], s9, v28
	v_cmp_gt_i32_e64 s[2:3], s10, v28
	s_and_b64 s[2:3], s[0:1], s[2:3]
	s_mov_b32 s0, 0xc2ce8ed0
	v_ldexp_f32 v11, v11, v13
	v_cmp_ngt_f32_e64 s[0:1], s0, v9
	v_cndmask_b32_e64 v11, 0, v11, s[0:1]
	s_mov_b32 s0, 0x42b17218
	v_mov_b32_e32 v13, 0x7f800000
	v_cmp_nlt_f32_e64 s[0:1], s0, v9
	v_cndmask_b32_e64 v16, v13, v11, s[0:1]
	v_ashrrev_i32_e32 v13, 31, v12
	v_lshlrev_b64 v[30:31], 2, v[12:13]
	v_mov_b32_e32 v9, s17
	v_add_co_u32_e64 v30, s[0:1], s16, v30
	v_addc_co_u32_e64 v31, s[0:1], v9, v31, s[0:1]
	v_ashrrev_i32_e32 v11, 31, v10
	global_store_dword v[30:31], v16, off
	v_subrev_u32_e32 v9, s9, v28
	s_and_b64 s[0:1], s[18:19], s[2:3]
	v_lshlrev_b64 v[30:31], 2, v[10:11]
	v_cndmask_b32_e64 v9, 32, v9, s[0:1]
	s_waitcnt lgkmcnt(0)
	v_mov_b32_e32 v11, s13
	v_add_co_u32_e64 v30, s[0:1], s12, v30
	v_addc_co_u32_e64 v31, s[0:1], v11, v31, s[0:1]
	global_store_dword v[30:31], v9, off
	v_ashrrev_i32_e32 v9, 31, v8
	v_lshlrev_b64 v[30:31], 2, v[8:9]
	v_mov_b32_e32 v9, s15
	v_add_co_u32_e64 v30, s[0:1], s14, v30
	v_addc_co_u32_e64 v31, s[0:1], v9, v31, s[0:1]
	global_store_dword v[30:31], v14, off
.LBB55_9:
	s_or_b64 exec, exec, s[4:5]
	v_ashrrev_i32_e32 v11, 31, v28
	v_lshrrev_b32_e32 v9, 29, v11
	v_add_u32_e32 v9, v28, v9
	v_ashrrev_i32_e32 v9, 3, v9
	v_lshrrev_b32_e32 v13, 30, v9
	v_add_u32_e32 v13, v9, v13
	v_and_b32_e32 v13, -4, v13
	v_sub_u32_e32 v13, v9, v13
	v_cmp_eq_u32_e64 s[0:1], v15, v13
	s_and_saveexec_b64 s[2:3], s[0:1]
	s_cbranch_execz .LBB55_11
; %bb.10:
	v_lshrrev_b32_e32 v11, 27, v11
	v_add_u32_e32 v11, v28, v11
	v_lshlrev_b32_e32 v9, 3, v9
	v_ashrrev_i32_e32 v11, 5, v11
	v_sub_u32_e32 v9, v28, v9
	v_lshl_add_u32 v9, v11, 3, v9
	v_mov_b32_e32 v11, 0xff800000
	v_cmp_ne_u32_e64 s[0:1], 7, v9
	v_cndmask_b32_e64 v3, v11, v3, s[0:1]
	v_cmp_ne_u32_e64 s[0:1], 6, v9
	v_cndmask_b32_e64 v2, v11, v2, s[0:1]
	;; [unrolled: 2-line block ×8, first 2 shown]
.LBB55_11:
	s_or_b64 exec, exec, s[2:3]
	s_cmp_eq_u32 s8, 1
	s_cbranch_scc1 .LBB55_18
; %bb.12:
	s_add_i32 s25, s25, s24
	s_add_i32 s6, s8, -1
	v_add3_u32 v23, s25, v24, v23
	v_add_u32_e32 v8, 1, v8
	v_add_u32_e32 v10, 1, v10
	;; [unrolled: 1-line block ×3, first 2 shown]
	s_mov_b32 s7, 0x3fb8aa3b
	s_mov_b32 s22, 0xc2ce8ed0
	;; [unrolled: 1-line block ×3, first 2 shown]
	v_mov_b32_e32 v24, 0x7f800000
	v_mov_b32_e32 v28, 0xff800000
	s_branch .LBB55_14
.LBB55_13:                              ;   in Loop: Header=BB55_14 Depth=1
	s_or_b64 exec, exec, s[2:3]
	s_add_i32 s6, s6, -1
	v_add_u32_e32 v23, s24, v23
	v_add_u32_e32 v8, 1, v8
	;; [unrolled: 1-line block ×3, first 2 shown]
	s_cmp_eq_u32 s6, 0
	v_add_u32_e32 v12, 1, v12
	s_cbranch_scc1 .LBB55_18
.LBB55_14:                              ; =>This Inner Loop Header: Depth=1
	v_cmp_gt_f32_e64 s[0:1], v5, v4
	v_cndmask_b32_e64 v11, v4, v5, s[0:1]
	v_cndmask_b32_e64 v9, v17, v18, s[0:1]
	v_cmp_gt_f32_e64 s[0:1], v6, v11
	v_cndmask_b32_e64 v11, v11, v6, s[0:1]
	v_cndmask_b32_e64 v9, v9, v19, s[0:1]
	;; [unrolled: 3-line block ×7, first 2 shown]
	s_nop 0
	v_mov_b32_dpp v11, v13 quad_perm:[1,0,3,2] row_mask:0xf bank_mask:0xf
	v_mov_b32_dpp v29, v9 quad_perm:[1,0,3,2] row_mask:0xf bank_mask:0xf
	v_cmp_eq_f32_e64 s[2:3], v9, v29
	v_cmp_lt_i32_e64 s[4:5], v11, v13
	v_cmp_lt_f32_e64 s[0:1], v9, v29
	s_and_b64 s[2:3], s[2:3], s[4:5]
	s_or_b64 s[0:1], s[0:1], s[2:3]
	v_cndmask_b32_e64 v9, v9, v29, s[0:1]
	v_cndmask_b32_e64 v13, v13, v11, s[0:1]
	s_nop 0
	v_mov_b32_dpp v11, v9 quad_perm:[2,3,0,1] row_mask:0xf bank_mask:0xf
	v_mov_b32_dpp v29, v13 quad_perm:[2,3,0,1] row_mask:0xf bank_mask:0xf
	v_cmp_eq_f32_e64 s[2:3], v9, v11
	v_cmp_lt_i32_e64 s[4:5], v29, v13
	v_cmp_lt_f32_e64 s[0:1], v9, v11
	s_and_b64 s[2:3], s[2:3], s[4:5]
	s_or_b64 s[0:1], s[0:1], s[2:3]
	v_cndmask_b32_e64 v29, v13, v29, s[0:1]
	s_and_saveexec_b64 s[4:5], vcc
	s_cbranch_execz .LBB55_16
; %bb.15:                               ;   in Loop: Header=BB55_14 Depth=1
	v_cndmask_b32_e64 v9, v9, v11, s[0:1]
	v_sub_f32_e32 v9, v9, v27
	v_mul_f32_e32 v11, 0x3fb8aa3b, v9
	v_fma_f32 v13, v9, s7, -v11
	v_rndne_f32_e32 v30, v11
	v_fmac_f32_e32 v13, 0x32a5705f, v9
	v_sub_f32_e32 v11, v11, v30
	v_add_f32_e32 v11, v11, v13
	v_exp_f32_e32 v11, v11
	v_cvt_i32_f32_e32 v13, v30
	v_cmp_le_i32_e64 s[0:1], s9, v29
	v_cmp_gt_i32_e64 s[2:3], s10, v29
	s_and_b64 s[2:3], s[0:1], s[2:3]
	v_ldexp_f32 v11, v11, v13
	v_cmp_ngt_f32_e64 s[0:1], s22, v9
	v_ashrrev_i32_e32 v13, 31, v12
	v_cndmask_b32_e64 v11, 0, v11, s[0:1]
	v_cmp_nlt_f32_e64 s[0:1], s23, v9
	v_lshlrev_b64 v[30:31], 2, v[12:13]
	v_cndmask_b32_e64 v32, v24, v11, s[0:1]
	v_mov_b32_e32 v9, s17
	v_add_co_u32_e64 v30, s[0:1], s16, v30
	v_addc_co_u32_e64 v31, s[0:1], v9, v31, s[0:1]
	v_ashrrev_i32_e32 v11, 31, v10
	global_store_dword v[30:31], v32, off
	v_subrev_u32_e32 v9, s9, v29
	s_and_b64 s[0:1], s[18:19], s[2:3]
	v_lshlrev_b64 v[30:31], 2, v[10:11]
	v_cndmask_b32_e64 v9, 32, v9, s[0:1]
	s_waitcnt lgkmcnt(0)
	v_mov_b32_e32 v11, s13
	v_add_co_u32_e64 v30, s[0:1], s12, v30
	v_addc_co_u32_e64 v31, s[0:1], v11, v31, s[0:1]
	global_store_dword v[30:31], v9, off
	v_ashrrev_i32_e32 v9, 31, v8
	v_lshlrev_b64 v[30:31], 2, v[8:9]
	v_mov_b32_e32 v9, s15
	v_add_co_u32_e64 v30, s[0:1], s14, v30
	v_addc_co_u32_e64 v31, s[0:1], v9, v31, s[0:1]
	v_add_f32_e32 v16, v16, v32
	global_store_dword v[30:31], v23, off
.LBB55_16:                              ;   in Loop: Header=BB55_14 Depth=1
	s_or_b64 exec, exec, s[4:5]
	v_ashrrev_i32_e32 v11, 31, v29
	v_lshrrev_b32_e32 v9, 29, v11
	v_add_u32_e32 v9, v29, v9
	v_ashrrev_i32_e32 v9, 3, v9
	v_lshrrev_b32_e32 v13, 30, v9
	v_add_u32_e32 v13, v9, v13
	v_and_b32_e32 v13, -4, v13
	v_sub_u32_e32 v13, v9, v13
	v_cmp_eq_u32_e64 s[0:1], v15, v13
	s_and_saveexec_b64 s[2:3], s[0:1]
	s_cbranch_execz .LBB55_13
; %bb.17:                               ;   in Loop: Header=BB55_14 Depth=1
	v_lshrrev_b32_e32 v11, 27, v11
	v_add_u32_e32 v11, v29, v11
	v_lshlrev_b32_e32 v9, 3, v9
	v_ashrrev_i32_e32 v11, 5, v11
	v_sub_u32_e32 v9, v29, v9
	v_lshl_add_u32 v9, v11, 3, v9
	v_cmp_ne_u32_e64 s[0:1], 7, v9
	v_cndmask_b32_e64 v3, v28, v3, s[0:1]
	v_cmp_ne_u32_e64 s[0:1], 6, v9
	v_cndmask_b32_e64 v2, v28, v2, s[0:1]
	;; [unrolled: 2-line block ×8, first 2 shown]
	s_branch .LBB55_13
.LBB55_18:
	v_cmp_eq_u32_e32 vcc, 0, v15
	v_cmp_neq_f32_e64 s[0:1], 0, v16
	s_and_b64 s[0:1], vcc, s[0:1]
	s_and_b64 exec, exec, s[0:1]
	s_cbranch_execz .LBB55_29
; %bb.19:
	s_andn2_b64 vcc, exec, s[20:21]
	s_cbranch_vccnz .LBB55_29
; %bb.20:
	v_div_scale_f32 v0, s[0:1], v16, v16, 1.0
	v_rcp_f32_e32 v1, v0
	v_div_scale_f32 v2, vcc, 1.0, v16, 1.0
	s_cmp_gt_u32 s8, 3
	v_fma_f32 v3, -v0, v1, 1.0
	v_fmac_f32_e32 v1, v3, v1
	v_mul_f32_e32 v3, v2, v1
	v_fma_f32 v4, -v0, v3, v2
	v_fmac_f32_e32 v3, v4, v1
	v_fma_f32 v0, -v0, v3, v2
	v_div_fmas_f32 v0, v0, v1, v3
	v_mul_lo_u32 v2, v14, s11
	v_div_fixup_f32 v0, v0, v16, 1.0
	v_ashrrev_i32_e32 v3, 31, v2
	s_cbranch_scc0 .LBB55_24
; %bb.21:
	v_lshlrev_b64 v[4:5], 2, v[2:3]
	v_mov_b32_e32 v6, s17
	v_add_co_u32_e32 v4, vcc, s16, v4
	v_addc_co_u32_e32 v5, vcc, v5, v6, vcc
	s_and_b32 s4, s8, 0x7ffffffc
	v_add_co_u32_e32 v4, vcc, 8, v4
	v_mov_b32_e32 v1, v0
	v_addc_co_u32_e32 v5, vcc, 0, v5, vcc
	s_mov_b32 s0, s4
.LBB55_22:                              ; =>This Inner Loop Header: Depth=1
	global_load_dwordx4 v[6:9], v[4:5], off offset:-8
	s_add_i32 s0, s0, -4
	s_cmp_lg_u32 s0, 0
	s_waitcnt vmcnt(0)
	v_pk_mul_f32 v[6:7], v[0:1], v[6:7]
	v_pk_mul_f32 v[8:9], v[0:1], v[8:9]
	global_store_dwordx4 v[4:5], v[6:9], off offset:-8
	v_add_co_u32_e32 v4, vcc, 16, v4
	v_addc_co_u32_e32 v5, vcc, 0, v5, vcc
	s_cbranch_scc1 .LBB55_22
; %bb.23:
	s_cmp_lg_u32 s4, s8
	s_cselect_b64 s[0:1], -1, 0
	s_branch .LBB55_26
.LBB55_24:
	s_mov_b64 s[0:1], 0
                                        ; implicit-def: $sgpr4
	s_cbranch_execz .LBB55_26
; %bb.25:
	s_mov_b64 s[0:1], -1
	s_mov_b32 s4, 0
.LBB55_26:
	s_andn2_b64 vcc, exec, s[0:1]
	s_cbranch_vccnz .LBB55_29
; %bb.27:
	v_add_co_u32_e32 v2, vcc, s4, v2
	v_addc_co_u32_e32 v3, vcc, 0, v3, vcc
	v_lshlrev_b64 v[2:3], 2, v[2:3]
	v_mov_b32_e32 v1, s17
	v_add_co_u32_e32 v2, vcc, s16, v2
	s_sub_i32 s0, s8, s4
	v_addc_co_u32_e32 v3, vcc, v1, v3, vcc
.LBB55_28:                              ; =>This Inner Loop Header: Depth=1
	global_load_dword v1, v[2:3], off
	s_add_i32 s0, s0, -1
	s_cmp_lg_u32 s0, 0
	s_waitcnt vmcnt(0)
	v_mul_f32_e32 v1, v0, v1
	global_store_dword v[2:3], v1, off
	v_add_co_u32_e32 v2, vcc, 4, v2
	v_addc_co_u32_e32 v3, vcc, 0, v3, vcc
	s_cbranch_scc1 .LBB55_28
.LBB55_29:
	s_endpgm
	.section	.rodata,"a",@progbits
	.p2align	6, 0x0
	.amdhsa_kernel _ZN4vllm3moe17topkGatingSoftmaxIfLi8ELi32ELi8ELi32ELb1ELi2ELNS0_23SharedExpertScoringFuncE1EEEvPKT_PKbPfiPiS9_iiiiii
		.amdhsa_group_segment_fixed_size 0
		.amdhsa_private_segment_fixed_size 0
		.amdhsa_kernarg_size 72
		.amdhsa_user_sgpr_count 6
		.amdhsa_user_sgpr_private_segment_buffer 1
		.amdhsa_user_sgpr_dispatch_ptr 0
		.amdhsa_user_sgpr_queue_ptr 0
		.amdhsa_user_sgpr_kernarg_segment_ptr 1
		.amdhsa_user_sgpr_dispatch_id 0
		.amdhsa_user_sgpr_flat_scratch_init 0
		.amdhsa_user_sgpr_kernarg_preload_length 0
		.amdhsa_user_sgpr_kernarg_preload_offset 0
		.amdhsa_user_sgpr_private_segment_size 0
		.amdhsa_uses_dynamic_stack 0
		.amdhsa_system_sgpr_private_segment_wavefront_offset 0
		.amdhsa_system_sgpr_workgroup_id_x 1
		.amdhsa_system_sgpr_workgroup_id_y 0
		.amdhsa_system_sgpr_workgroup_id_z 0
		.amdhsa_system_sgpr_workgroup_info 0
		.amdhsa_system_vgpr_workitem_id 1
		.amdhsa_next_free_vgpr 33
		.amdhsa_next_free_sgpr 26
		.amdhsa_accum_offset 36
		.amdhsa_reserve_vcc 1
		.amdhsa_reserve_flat_scratch 0
		.amdhsa_float_round_mode_32 0
		.amdhsa_float_round_mode_16_64 0
		.amdhsa_float_denorm_mode_32 3
		.amdhsa_float_denorm_mode_16_64 3
		.amdhsa_dx10_clamp 1
		.amdhsa_ieee_mode 1
		.amdhsa_fp16_overflow 0
		.amdhsa_tg_split 0
		.amdhsa_exception_fp_ieee_invalid_op 0
		.amdhsa_exception_fp_denorm_src 0
		.amdhsa_exception_fp_ieee_div_zero 0
		.amdhsa_exception_fp_ieee_overflow 0
		.amdhsa_exception_fp_ieee_underflow 0
		.amdhsa_exception_fp_ieee_inexact 0
		.amdhsa_exception_int_div_zero 0
	.end_amdhsa_kernel
	.section	.text._ZN4vllm3moe17topkGatingSoftmaxIfLi8ELi32ELi8ELi32ELb1ELi2ELNS0_23SharedExpertScoringFuncE1EEEvPKT_PKbPfiPiS9_iiiiii,"axG",@progbits,_ZN4vllm3moe17topkGatingSoftmaxIfLi8ELi32ELi8ELi32ELb1ELi2ELNS0_23SharedExpertScoringFuncE1EEEvPKT_PKbPfiPiS9_iiiiii,comdat
.Lfunc_end55:
	.size	_ZN4vllm3moe17topkGatingSoftmaxIfLi8ELi32ELi8ELi32ELb1ELi2ELNS0_23SharedExpertScoringFuncE1EEEvPKT_PKbPfiPiS9_iiiiii, .Lfunc_end55-_ZN4vllm3moe17topkGatingSoftmaxIfLi8ELi32ELi8ELi32ELb1ELi2ELNS0_23SharedExpertScoringFuncE1EEEvPKT_PKbPfiPiS9_iiiiii
                                        ; -- End function
	.section	.AMDGPU.csdata,"",@progbits
; Kernel info:
; codeLenInByte = 2524
; NumSgprs: 30
; NumVgprs: 33
; NumAgprs: 0
; TotalNumVgprs: 33
; ScratchSize: 0
; MemoryBound: 0
; FloatMode: 240
; IeeeMode: 1
; LDSByteSize: 0 bytes/workgroup (compile time only)
; SGPRBlocks: 3
; VGPRBlocks: 4
; NumSGPRsForWavesPerEU: 30
; NumVGPRsForWavesPerEU: 33
; AccumOffset: 36
; Occupancy: 8
; WaveLimiterHint : 0
; COMPUTE_PGM_RSRC2:SCRATCH_EN: 0
; COMPUTE_PGM_RSRC2:USER_SGPR: 6
; COMPUTE_PGM_RSRC2:TRAP_HANDLER: 0
; COMPUTE_PGM_RSRC2:TGID_X_EN: 1
; COMPUTE_PGM_RSRC2:TGID_Y_EN: 0
; COMPUTE_PGM_RSRC2:TGID_Z_EN: 0
; COMPUTE_PGM_RSRC2:TIDIG_COMP_CNT: 1
; COMPUTE_PGM_RSRC3_GFX90A:ACCUM_OFFSET: 8
; COMPUTE_PGM_RSRC3_GFX90A:TG_SPLIT: 0
	.section	.text._ZN4vllm3moe17topkGatingSoftmaxIfLi8ELi32ELi8ELi32ELb0ELi2ELNS0_23SharedExpertScoringFuncE1EEEvPKT_PKbPfiPiS9_iiiiii,"axG",@progbits,_ZN4vllm3moe17topkGatingSoftmaxIfLi8ELi32ELi8ELi32ELb0ELi2ELNS0_23SharedExpertScoringFuncE1EEEvPKT_PKbPfiPiS9_iiiiii,comdat
	.protected	_ZN4vllm3moe17topkGatingSoftmaxIfLi8ELi32ELi8ELi32ELb0ELi2ELNS0_23SharedExpertScoringFuncE1EEEvPKT_PKbPfiPiS9_iiiiii ; -- Begin function _ZN4vllm3moe17topkGatingSoftmaxIfLi8ELi32ELi8ELi32ELb0ELi2ELNS0_23SharedExpertScoringFuncE1EEEvPKT_PKbPfiPiS9_iiiiii
	.globl	_ZN4vllm3moe17topkGatingSoftmaxIfLi8ELi32ELi8ELi32ELb0ELi2ELNS0_23SharedExpertScoringFuncE1EEEvPKT_PKbPfiPiS9_iiiiii
	.p2align	8
	.type	_ZN4vllm3moe17topkGatingSoftmaxIfLi8ELi32ELi8ELi32ELb0ELi2ELNS0_23SharedExpertScoringFuncE1EEEvPKT_PKbPfiPiS9_iiiiii,@function
_ZN4vllm3moe17topkGatingSoftmaxIfLi8ELi32ELi8ELi32ELb0ELi2ELNS0_23SharedExpertScoringFuncE1EEEvPKT_PKbPfiPiS9_iiiiii: ; @_ZN4vllm3moe17topkGatingSoftmaxIfLi8ELi32ELi8ELi32ELb0ELi2ELNS0_23SharedExpertScoringFuncE1EEEvPKT_PKbPfiPiS9_iiiiii
; %bb.0:
	s_load_dword s22, s[4:5], 0x18
	v_bfe_u32 v1, v0, 10, 10
	v_and_b32_e32 v0, 0x3ff, v0
	s_lshl_b32 s23, s6, 7
	v_lshlrev_b32_e32 v24, 4, v1
	v_lshrrev_b32_e32 v25, 2, v0
	v_add3_u32 v14, s23, v24, v25
	s_waitcnt lgkmcnt(0)
	v_cmp_gt_i32_e32 vcc, s22, v14
	s_and_saveexec_b64 s[0:1], vcc
	s_cbranch_execz .LBB56_31
; %bb.1:
	s_load_dwordx4 s[0:3], s[4:5], 0x0
	s_load_dwordx2 s[6:7], s[4:5], 0x10
	s_waitcnt lgkmcnt(0)
	s_cmp_eq_u64 s[2:3], 0
	s_cbranch_scc1 .LBB56_3
; %bb.2:
	v_ashrrev_i32_e32 v1, 31, v14
	v_mov_b32_e32 v3, s3
	v_add_co_u32_e32 v2, vcc, s2, v14
	v_addc_co_u32_e32 v3, vcc, v3, v1, vcc
	global_load_ubyte v1, v[2:3], off
	s_waitcnt vmcnt(0)
	v_and_b32_e32 v1, 1, v1
	v_cmp_eq_u32_e32 vcc, 1, v1
	s_xor_b64 s[2:3], vcc, -1
	s_orn2_b64 s[16:17], s[2:3], exec
	s_branch .LBB56_4
.LBB56_3:
	s_mov_b64 s[16:17], -1
.LBB56_4:
	s_load_dwordx2 s[20:21], s[4:5], 0x40
	s_load_dwordx4 s[8:11], s[4:5], 0x30
	v_mov_b32_e32 v1, s1
	v_and_b32_e32 v15, 3, v0
	v_lshlrev_b32_e32 v0, 5, v15
	s_waitcnt lgkmcnt(0)
	v_mul_lo_u32 v2, v14, s21
	v_ashrrev_i32_e32 v3, 31, v2
	v_lshlrev_b64 v[2:3], 2, v[2:3]
	v_add_co_u32_e32 v8, vcc, s0, v2
	v_addc_co_u32_e32 v9, vcc, v1, v3, vcc
	v_add_co_u32_e32 v10, vcc, v8, v0
	v_addc_co_u32_e32 v11, vcc, 0, v9, vcc
	global_load_dwordx4 v[0:3], v[10:11], off offset:16
	global_load_dwordx4 v[4:7], v[10:11], off
	v_lshlrev_b32_e32 v18, 3, v15
	v_mov_b32_e32 v16, 0
	v_cmp_gt_u32_e32 vcc, 2, v15
	s_and_saveexec_b64 s[0:1], vcc
	s_cbranch_execz .LBB56_6
; %bb.5:
	v_lshlrev_b32_e32 v10, 2, v15
	v_add_co_u32_e32 v8, vcc, v8, v10
	v_addc_co_u32_e32 v9, vcc, 0, v9, vcc
	global_load_dword v10, v[8:9], off offset:128
	s_mov_b32 s2, 0xbfb8aa3b
	s_mov_b32 s3, 0x42ce8ed0
	;; [unrolled: 1-line block ×3, first 2 shown]
	v_mov_b32_e32 v11, 0x7f800000
	v_mul_lo_u32 v8, v14, s11
	v_add3_u32 v8, v8, s8, v15
	v_mov_b32_e32 v17, s7
	s_waitcnt vmcnt(0)
	v_mul_f32_e32 v9, 0xbfb8aa3b, v10
	v_fma_f32 v12, v10, s2, -v9
	v_rndne_f32_e32 v13, v9
	v_fmac_f32_e32 v12, 0xb2a5705f, v10
	v_sub_f32_e32 v9, v9, v13
	v_add_f32_e32 v9, v9, v12
	v_cvt_i32_f32_e32 v13, v13
	v_exp_f32_e32 v12, v9
	v_cmp_nlt_f32_e32 vcc, s3, v10
	v_ashrrev_i32_e32 v9, 31, v8
	v_lshlrev_b64 v[8:9], 2, v[8:9]
	v_ldexp_f32 v12, v12, v13
	v_cndmask_b32_e32 v12, 0, v12, vcc
	v_cmp_ngt_f32_e32 vcc, s12, v10
	v_cndmask_b32_e32 v10, v11, v12, vcc
	v_add_f32_e32 v10, 1.0, v10
	v_div_scale_f32 v11, s[2:3], v10, v10, 1.0
	v_rcp_f32_e32 v12, v11
	v_div_scale_f32 v13, vcc, 1.0, v10, 1.0
	v_fma_f32 v19, -v11, v12, 1.0
	v_fmac_f32_e32 v12, v19, v12
	v_mul_f32_e32 v19, v13, v12
	v_fma_f32 v20, -v11, v19, v13
	v_fmac_f32_e32 v19, v20, v12
	v_fma_f32 v11, -v11, v19, v13
	v_div_fmas_f32 v11, v11, v12, v19
	v_add_co_u32_e32 v8, vcc, s6, v8
	v_div_fixup_f32 v10, v11, v10, 1.0
	v_addc_co_u32_e32 v9, vcc, v17, v9, vcc
	global_store_dword v[8:9], v10, off
.LBB56_6:
	s_or_b64 exec, exec, s[0:1]
	s_waitcnt vmcnt(0)
	v_cmp_lt_f32_e32 vcc, v4, v5
	v_or_b32_e32 v19, 1, v18
	v_cndmask_b32_e32 v9, v4, v5, vcc
	v_cndmask_b32_e32 v8, v18, v19, vcc
	v_cmp_lt_f32_e32 vcc, v9, v6
	v_or_b32_e32 v20, 2, v18
	v_cndmask_b32_e32 v9, v9, v6, vcc
	v_cndmask_b32_e32 v8, v8, v20, vcc
	v_cmp_lt_f32_e32 vcc, v9, v7
	v_or_b32_e32 v21, 3, v18
	v_cndmask_b32_e32 v9, v9, v7, vcc
	v_cndmask_b32_e32 v8, v8, v21, vcc
	v_cmp_lt_f32_e32 vcc, v9, v0
	v_or_b32_e32 v22, 4, v18
	v_cndmask_b32_e32 v9, v9, v0, vcc
	v_cndmask_b32_e32 v8, v8, v22, vcc
	v_cmp_lt_f32_e32 vcc, v9, v1
	v_or_b32_e32 v23, 5, v18
	v_cndmask_b32_e32 v9, v9, v1, vcc
	v_cndmask_b32_e32 v8, v8, v23, vcc
	v_cmp_lt_f32_e32 vcc, v9, v2
	v_or_b32_e32 v26, 6, v18
	v_cndmask_b32_e32 v9, v9, v2, vcc
	v_cndmask_b32_e32 v8, v8, v26, vcc
	v_or_b32_e32 v27, 7, v18
	v_cmp_lt_f32_e32 vcc, v9, v3
	v_cndmask_b32_e32 v8, v8, v27, vcc
	v_cndmask_b32_e32 v9, v9, v3, vcc
	s_nop 0
	v_mov_b32_dpp v10, v8 quad_perm:[1,0,3,2] row_mask:0xf bank_mask:0xf
	v_mov_b32_dpp v11, v9 quad_perm:[1,0,3,2] row_mask:0xf bank_mask:0xf
	v_cmp_eq_f32_e64 s[0:1], v9, v11
	v_cmp_lt_i32_e64 s[2:3], v10, v8
	v_cmp_lt_f32_e32 vcc, v9, v11
	s_and_b64 s[0:1], s[0:1], s[2:3]
	s_or_b64 vcc, vcc, s[0:1]
	v_cndmask_b32_e32 v11, v9, v11, vcc
	v_cndmask_b32_e32 v8, v8, v10, vcc
	s_nop 0
	v_mov_b32_dpp v10, v11 quad_perm:[2,3,0,1] row_mask:0xf bank_mask:0xf
	v_mov_b32_dpp v9, v8 quad_perm:[2,3,0,1] row_mask:0xf bank_mask:0xf
	v_cmp_eq_f32_e64 s[0:1], v11, v10
	v_cmp_lt_i32_e64 s[2:3], v9, v8
	v_cmp_lt_f32_e32 vcc, v11, v10
	s_and_b64 s[0:1], s[0:1], s[2:3]
	s_or_b64 s[0:1], vcc, s[0:1]
	s_cmp_gt_i32 s8, 0
	v_cndmask_b32_e64 v17, v11, v10, s[0:1]
	s_cselect_b64 s[18:19], -1, 0
	s_cmp_lt_i32 s8, 1
	v_cmp_eq_u32_e32 vcc, 0, v15
	s_cbranch_scc1 .LBB56_18
; %bb.7:
	s_load_dwordx4 s[12:15], s[4:5], 0x20
	v_cndmask_b32_e64 v28, v8, v9, s[0:1]
	v_mul_lo_u32 v12, v14, s11
	v_mul_lo_u32 v10, v14, s20
	;; [unrolled: 1-line block ×3, first 2 shown]
	v_mov_b32_e32 v16, 0
	s_and_saveexec_b64 s[4:5], vcc
	s_cbranch_execz .LBB56_9
; %bb.8:
	v_sub_f32_e32 v9, v17, v17
	v_mul_f32_e32 v11, 0x3fb8aa3b, v9
	s_mov_b32 s0, 0x3fb8aa3b
	v_rndne_f32_e32 v13, v11
	v_sub_f32_e32 v16, v11, v13
	v_fma_f32 v11, v9, s0, -v11
	v_fmac_f32_e32 v11, 0x32a5705f, v9
	v_add_f32_e32 v11, v16, v11
	v_exp_f32_e32 v11, v11
	v_cvt_i32_f32_e32 v13, v13
	v_cmp_le_i32_e64 s[0:1], s9, v28
	v_cmp_gt_i32_e64 s[2:3], s10, v28
	s_and_b64 s[2:3], s[0:1], s[2:3]
	s_mov_b32 s0, 0xc2ce8ed0
	v_ldexp_f32 v11, v11, v13
	v_cmp_ngt_f32_e64 s[0:1], s0, v9
	v_cndmask_b32_e64 v11, 0, v11, s[0:1]
	s_mov_b32 s0, 0x42b17218
	v_mov_b32_e32 v13, 0x7f800000
	v_cmp_nlt_f32_e64 s[0:1], s0, v9
	v_cndmask_b32_e64 v16, v13, v11, s[0:1]
	v_ashrrev_i32_e32 v13, 31, v12
	v_lshlrev_b64 v[30:31], 2, v[12:13]
	v_mov_b32_e32 v9, s7
	v_add_co_u32_e64 v30, s[0:1], s6, v30
	v_addc_co_u32_e64 v31, s[0:1], v9, v31, s[0:1]
	v_ashrrev_i32_e32 v11, 31, v10
	global_store_dword v[30:31], v16, off
	v_subrev_u32_e32 v9, s9, v28
	s_and_b64 s[0:1], s[16:17], s[2:3]
	v_lshlrev_b64 v[30:31], 2, v[10:11]
	v_cndmask_b32_e64 v9, 32, v9, s[0:1]
	s_waitcnt lgkmcnt(0)
	v_mov_b32_e32 v11, s13
	v_add_co_u32_e64 v30, s[0:1], s12, v30
	v_addc_co_u32_e64 v31, s[0:1], v11, v31, s[0:1]
	global_store_dword v[30:31], v9, off
	v_ashrrev_i32_e32 v9, 31, v8
	v_lshlrev_b64 v[30:31], 2, v[8:9]
	v_mov_b32_e32 v9, s15
	v_add_co_u32_e64 v30, s[0:1], s14, v30
	v_addc_co_u32_e64 v31, s[0:1], v9, v31, s[0:1]
	global_store_dword v[30:31], v14, off
.LBB56_9:
	s_or_b64 exec, exec, s[4:5]
	v_ashrrev_i32_e32 v11, 31, v28
	v_lshrrev_b32_e32 v9, 29, v11
	v_add_u32_e32 v9, v28, v9
	v_ashrrev_i32_e32 v9, 3, v9
	v_lshrrev_b32_e32 v13, 30, v9
	v_add_u32_e32 v13, v9, v13
	v_and_b32_e32 v13, -4, v13
	v_sub_u32_e32 v13, v9, v13
	v_cmp_eq_u32_e64 s[0:1], v15, v13
	s_and_saveexec_b64 s[2:3], s[0:1]
	s_cbranch_execz .LBB56_11
; %bb.10:
	v_lshrrev_b32_e32 v11, 27, v11
	v_add_u32_e32 v11, v28, v11
	v_lshlrev_b32_e32 v9, 3, v9
	v_ashrrev_i32_e32 v11, 5, v11
	v_sub_u32_e32 v9, v28, v9
	v_lshl_add_u32 v9, v11, 3, v9
	v_mov_b32_e32 v11, 0xff800000
	v_cmp_ne_u32_e64 s[0:1], 7, v9
	v_cndmask_b32_e64 v3, v11, v3, s[0:1]
	v_cmp_ne_u32_e64 s[0:1], 6, v9
	v_cndmask_b32_e64 v2, v11, v2, s[0:1]
	;; [unrolled: 2-line block ×8, first 2 shown]
.LBB56_11:
	s_or_b64 exec, exec, s[2:3]
	s_cmp_eq_u32 s8, 1
	s_cbranch_scc1 .LBB56_18
; %bb.12:
	s_add_i32 s23, s23, s22
	s_add_i32 s20, s8, -1
	v_add3_u32 v24, s23, v25, v24
	v_add_u32_e32 v8, 1, v8
	v_add_u32_e32 v10, 1, v10
	;; [unrolled: 1-line block ×3, first 2 shown]
	s_mov_b32 s21, 0x3fb8aa3b
	s_mov_b32 s23, 0xc2ce8ed0
	;; [unrolled: 1-line block ×3, first 2 shown]
	v_mov_b32_e32 v25, 0x7f800000
	v_mov_b32_e32 v28, 0xff800000
	s_branch .LBB56_14
.LBB56_13:                              ;   in Loop: Header=BB56_14 Depth=1
	s_or_b64 exec, exec, s[2:3]
	s_add_i32 s20, s20, -1
	v_add_u32_e32 v24, s22, v24
	v_add_u32_e32 v8, 1, v8
	;; [unrolled: 1-line block ×3, first 2 shown]
	s_cmp_eq_u32 s20, 0
	v_add_u32_e32 v12, 1, v12
	s_cbranch_scc1 .LBB56_18
.LBB56_14:                              ; =>This Inner Loop Header: Depth=1
	v_cmp_gt_f32_e64 s[0:1], v5, v4
	v_cndmask_b32_e64 v11, v4, v5, s[0:1]
	v_cndmask_b32_e64 v9, v18, v19, s[0:1]
	v_cmp_gt_f32_e64 s[0:1], v6, v11
	v_cndmask_b32_e64 v11, v11, v6, s[0:1]
	v_cndmask_b32_e64 v9, v9, v20, s[0:1]
	;; [unrolled: 3-line block ×7, first 2 shown]
	s_nop 0
	v_mov_b32_dpp v11, v13 quad_perm:[1,0,3,2] row_mask:0xf bank_mask:0xf
	v_mov_b32_dpp v29, v9 quad_perm:[1,0,3,2] row_mask:0xf bank_mask:0xf
	v_cmp_eq_f32_e64 s[2:3], v9, v29
	v_cmp_lt_i32_e64 s[4:5], v11, v13
	v_cmp_lt_f32_e64 s[0:1], v9, v29
	s_and_b64 s[2:3], s[2:3], s[4:5]
	s_or_b64 s[0:1], s[0:1], s[2:3]
	v_cndmask_b32_e64 v9, v9, v29, s[0:1]
	v_cndmask_b32_e64 v13, v13, v11, s[0:1]
	s_nop 0
	v_mov_b32_dpp v11, v9 quad_perm:[2,3,0,1] row_mask:0xf bank_mask:0xf
	v_mov_b32_dpp v29, v13 quad_perm:[2,3,0,1] row_mask:0xf bank_mask:0xf
	v_cmp_eq_f32_e64 s[2:3], v9, v11
	v_cmp_lt_i32_e64 s[4:5], v29, v13
	v_cmp_lt_f32_e64 s[0:1], v9, v11
	s_and_b64 s[2:3], s[2:3], s[4:5]
	s_or_b64 s[0:1], s[0:1], s[2:3]
	v_cndmask_b32_e64 v29, v13, v29, s[0:1]
	s_and_saveexec_b64 s[4:5], vcc
	s_cbranch_execz .LBB56_16
; %bb.15:                               ;   in Loop: Header=BB56_14 Depth=1
	v_cndmask_b32_e64 v9, v9, v11, s[0:1]
	v_sub_f32_e32 v9, v9, v17
	v_mul_f32_e32 v11, 0x3fb8aa3b, v9
	v_fma_f32 v13, v9, s21, -v11
	v_rndne_f32_e32 v30, v11
	v_fmac_f32_e32 v13, 0x32a5705f, v9
	v_sub_f32_e32 v11, v11, v30
	v_add_f32_e32 v11, v11, v13
	v_exp_f32_e32 v11, v11
	v_cvt_i32_f32_e32 v13, v30
	v_cmp_le_i32_e64 s[0:1], s9, v29
	v_cmp_gt_i32_e64 s[2:3], s10, v29
	s_and_b64 s[2:3], s[0:1], s[2:3]
	v_ldexp_f32 v11, v11, v13
	v_cmp_ngt_f32_e64 s[0:1], s23, v9
	v_ashrrev_i32_e32 v13, 31, v12
	v_cndmask_b32_e64 v11, 0, v11, s[0:1]
	v_cmp_nlt_f32_e64 s[0:1], s24, v9
	v_lshlrev_b64 v[30:31], 2, v[12:13]
	v_cndmask_b32_e64 v32, v25, v11, s[0:1]
	v_mov_b32_e32 v9, s7
	v_add_co_u32_e64 v30, s[0:1], s6, v30
	v_addc_co_u32_e64 v31, s[0:1], v9, v31, s[0:1]
	v_ashrrev_i32_e32 v11, 31, v10
	global_store_dword v[30:31], v32, off
	v_subrev_u32_e32 v9, s9, v29
	s_and_b64 s[0:1], s[16:17], s[2:3]
	v_lshlrev_b64 v[30:31], 2, v[10:11]
	v_cndmask_b32_e64 v9, 32, v9, s[0:1]
	s_waitcnt lgkmcnt(0)
	v_mov_b32_e32 v11, s13
	v_add_co_u32_e64 v30, s[0:1], s12, v30
	v_addc_co_u32_e64 v31, s[0:1], v11, v31, s[0:1]
	global_store_dword v[30:31], v9, off
	v_ashrrev_i32_e32 v9, 31, v8
	v_lshlrev_b64 v[30:31], 2, v[8:9]
	v_mov_b32_e32 v9, s15
	v_add_co_u32_e64 v30, s[0:1], s14, v30
	v_addc_co_u32_e64 v31, s[0:1], v9, v31, s[0:1]
	v_add_f32_e32 v16, v16, v32
	global_store_dword v[30:31], v24, off
.LBB56_16:                              ;   in Loop: Header=BB56_14 Depth=1
	s_or_b64 exec, exec, s[4:5]
	v_ashrrev_i32_e32 v11, 31, v29
	v_lshrrev_b32_e32 v9, 29, v11
	v_add_u32_e32 v9, v29, v9
	v_ashrrev_i32_e32 v9, 3, v9
	v_lshrrev_b32_e32 v13, 30, v9
	v_add_u32_e32 v13, v9, v13
	v_and_b32_e32 v13, -4, v13
	v_sub_u32_e32 v13, v9, v13
	v_cmp_eq_u32_e64 s[0:1], v15, v13
	s_and_saveexec_b64 s[2:3], s[0:1]
	s_cbranch_execz .LBB56_13
; %bb.17:                               ;   in Loop: Header=BB56_14 Depth=1
	v_lshrrev_b32_e32 v11, 27, v11
	v_add_u32_e32 v11, v29, v11
	v_lshlrev_b32_e32 v9, 3, v9
	v_ashrrev_i32_e32 v11, 5, v11
	v_sub_u32_e32 v9, v29, v9
	v_lshl_add_u32 v9, v11, 3, v9
	v_cmp_ne_u32_e64 s[0:1], 7, v9
	v_cndmask_b32_e64 v3, v28, v3, s[0:1]
	v_cmp_ne_u32_e64 s[0:1], 6, v9
	v_cndmask_b32_e64 v2, v28, v2, s[0:1]
	;; [unrolled: 2-line block ×8, first 2 shown]
	s_branch .LBB56_13
.LBB56_18:
	v_sub_f32_e32 v4, v4, v17
	s_mov_b32 s0, 0x3fb8aa3b
	v_mul_f32_e32 v8, 0x3fb8aa3b, v4
	v_fma_f32 v9, v4, s0, -v8
	v_rndne_f32_e32 v10, v8
	v_fmac_f32_e32 v9, 0x32a5705f, v4
	v_sub_f32_e32 v8, v8, v10
	v_add_f32_e32 v8, v8, v9
	v_exp_f32_e32 v8, v8
	v_cvt_i32_f32_e32 v9, v10
	v_sub_f32_e32 v5, v5, v17
	s_mov_b32 s1, 0xc2ce8ed0
	v_cmp_ngt_f32_e32 vcc, s1, v4
	v_ldexp_f32 v8, v8, v9
	v_mul_f32_e32 v9, 0x3fb8aa3b, v5
	v_fma_f32 v10, v5, s0, -v9
	v_rndne_f32_e32 v11, v9
	v_fmac_f32_e32 v10, 0x32a5705f, v5
	v_sub_f32_e32 v9, v9, v11
	v_add_f32_e32 v9, v9, v10
	v_exp_f32_e32 v9, v9
	v_cvt_i32_f32_e32 v10, v11
	s_mov_b32 s2, 0x42b17218
	v_cndmask_b32_e32 v8, 0, v8, vcc
	v_mov_b32_e32 v11, 0x7f800000
	v_cmp_nlt_f32_e32 vcc, s2, v4
	v_sub_f32_e32 v6, v6, v17
	v_cndmask_b32_e32 v4, v11, v8, vcc
	v_ldexp_f32 v8, v9, v10
	v_mul_f32_e32 v9, 0x3fb8aa3b, v6
	v_fma_f32 v10, v6, s0, -v9
	v_rndne_f32_e32 v12, v9
	v_fmac_f32_e32 v10, 0x32a5705f, v6
	v_sub_f32_e32 v9, v9, v12
	v_add_f32_e32 v9, v9, v10
	v_exp_f32_e32 v9, v9
	v_cvt_i32_f32_e32 v10, v12
	v_cmp_ngt_f32_e32 vcc, s1, v5
	v_cndmask_b32_e32 v8, 0, v8, vcc
	v_cmp_nlt_f32_e32 vcc, s2, v5
	v_sub_f32_e32 v7, v7, v17
	v_cndmask_b32_e32 v5, v11, v8, vcc
	v_mul_f32_e32 v8, 0x3fb8aa3b, v7
	v_add_f32_e32 v4, v4, v5
	v_ldexp_f32 v5, v9, v10
	v_fma_f32 v9, v7, s0, -v8
	v_rndne_f32_e32 v10, v8
	v_fmac_f32_e32 v9, 0x32a5705f, v7
	v_sub_f32_e32 v8, v8, v10
	v_add_f32_e32 v8, v8, v9
	v_exp_f32_e32 v8, v8
	v_cvt_i32_f32_e32 v9, v10
	v_cmp_ngt_f32_e32 vcc, s1, v6
	v_cndmask_b32_e32 v5, 0, v5, vcc
	v_cmp_nlt_f32_e32 vcc, s2, v6
	v_sub_f32_e32 v0, v0, v17
	v_cndmask_b32_e32 v5, v11, v5, vcc
	v_mul_f32_e32 v6, 0x3fb8aa3b, v0
	v_add_f32_e32 v4, v4, v5
	v_ldexp_f32 v5, v8, v9
	v_fma_f32 v8, v0, s0, -v6
	v_rndne_f32_e32 v9, v6
	v_fmac_f32_e32 v8, 0x32a5705f, v0
	v_sub_f32_e32 v6, v6, v9
	v_add_f32_e32 v6, v6, v8
	v_exp_f32_e32 v6, v6
	v_cvt_i32_f32_e32 v8, v9
	v_cmp_ngt_f32_e32 vcc, s1, v7
	v_cndmask_b32_e32 v5, 0, v5, vcc
	v_cmp_nlt_f32_e32 vcc, s2, v7
	v_cndmask_b32_e32 v5, v11, v5, vcc
	v_sub_f32_e32 v1, v1, v17
	v_add_f32_e32 v4, v4, v5
	v_ldexp_f32 v5, v6, v8
	v_mul_f32_e32 v6, 0x3fb8aa3b, v1
	v_fma_f32 v7, v1, s0, -v6
	v_rndne_f32_e32 v8, v6
	v_fmac_f32_e32 v7, 0x32a5705f, v1
	v_sub_f32_e32 v6, v6, v8
	v_add_f32_e32 v6, v6, v7
	v_exp_f32_e32 v6, v6
	v_cvt_i32_f32_e32 v7, v8
	v_cmp_ngt_f32_e32 vcc, s1, v0
	v_cndmask_b32_e32 v5, 0, v5, vcc
	v_cmp_nlt_f32_e32 vcc, s2, v0
	v_sub_f32_e32 v2, v2, v17
	v_cndmask_b32_e32 v0, v11, v5, vcc
	v_mul_f32_e32 v5, 0x3fb8aa3b, v2
	v_add_f32_e32 v0, v4, v0
	v_ldexp_f32 v4, v6, v7
	v_fma_f32 v6, v2, s0, -v5
	v_rndne_f32_e32 v7, v5
	v_fmac_f32_e32 v6, 0x32a5705f, v2
	v_sub_f32_e32 v5, v5, v7
	v_add_f32_e32 v5, v5, v6
	v_exp_f32_e32 v5, v5
	v_cvt_i32_f32_e32 v6, v7
	v_cmp_ngt_f32_e32 vcc, s1, v1
	v_cndmask_b32_e32 v4, 0, v4, vcc
	v_cmp_nlt_f32_e32 vcc, s2, v1
	v_sub_f32_e32 v3, v3, v17
	v_cndmask_b32_e32 v1, v11, v4, vcc
	v_mul_f32_e32 v4, 0x3fb8aa3b, v3
	v_add_f32_e32 v0, v0, v1
	v_ldexp_f32 v1, v5, v6
	v_fma_f32 v5, v3, s0, -v4
	v_rndne_f32_e32 v6, v4
	v_fmac_f32_e32 v5, 0x32a5705f, v3
	v_sub_f32_e32 v4, v4, v6
	v_add_f32_e32 v4, v4, v5
	v_exp_f32_e32 v4, v4
	v_cvt_i32_f32_e32 v5, v6
	v_cmp_ngt_f32_e32 vcc, s1, v2
	v_cndmask_b32_e32 v1, 0, v1, vcc
	v_cmp_nlt_f32_e32 vcc, s2, v2
	v_cndmask_b32_e32 v1, v11, v1, vcc
	v_add_f32_e32 v0, v0, v1
	v_ldexp_f32 v1, v4, v5
	v_cmp_ngt_f32_e32 vcc, s1, v3
	v_cndmask_b32_e32 v1, 0, v1, vcc
	v_cmp_nlt_f32_e32 vcc, s2, v3
	v_cndmask_b32_e32 v1, v11, v1, vcc
	v_add_f32_e32 v0, v0, v1
	v_cmp_eq_u32_e32 vcc, 0, v15
	s_nop 0
	v_mov_b32_dpp v1, v0 quad_perm:[1,0,3,2] row_mask:0xf bank_mask:0xf
	v_add_f32_e32 v0, v0, v1
	s_nop 1
	v_mov_b32_dpp v1, v0 quad_perm:[2,3,0,1] row_mask:0xf bank_mask:0xf
	s_and_b64 exec, exec, vcc
	s_cbranch_execz .LBB56_31
; %bb.19:
	v_add_f32_e32 v0, v0, v1
	v_add_f32_e32 v0, v16, v0
	v_cmp_neq_f32_e32 vcc, 0, v0
	s_and_b64 exec, exec, vcc
	s_cbranch_execz .LBB56_31
; %bb.20:
	s_andn2_b64 vcc, exec, s[18:19]
	s_cbranch_vccnz .LBB56_31
; %bb.21:
	v_div_scale_f32 v1, s[0:1], v0, v0, 1.0
	v_rcp_f32_e32 v2, v1
	v_div_scale_f32 v3, vcc, 1.0, v0, 1.0
	s_cmp_gt_u32 s8, 3
	v_fma_f32 v4, -v1, v2, 1.0
	v_fmac_f32_e32 v2, v4, v2
	v_mul_f32_e32 v4, v3, v2
	v_fma_f32 v5, -v1, v4, v3
	v_fmac_f32_e32 v4, v5, v2
	v_fma_f32 v1, -v1, v4, v3
	v_div_fmas_f32 v1, v1, v2, v4
	v_mul_lo_u32 v2, v14, s11
	v_div_fixup_f32 v0, v1, v0, 1.0
	v_ashrrev_i32_e32 v3, 31, v2
	s_cbranch_scc0 .LBB56_25
; %bb.22:
	v_lshlrev_b64 v[4:5], 2, v[2:3]
	v_mov_b32_e32 v6, s7
	v_add_co_u32_e32 v4, vcc, s6, v4
	v_addc_co_u32_e32 v5, vcc, v5, v6, vcc
	s_and_b32 s4, s8, 0x7ffffffc
	v_add_co_u32_e32 v4, vcc, 8, v4
	v_mov_b32_e32 v1, v0
	v_addc_co_u32_e32 v5, vcc, 0, v5, vcc
	s_mov_b32 s0, s4
.LBB56_23:                              ; =>This Inner Loop Header: Depth=1
	global_load_dwordx4 v[6:9], v[4:5], off offset:-8
	s_add_i32 s0, s0, -4
	s_cmp_lg_u32 s0, 0
	s_waitcnt vmcnt(0)
	v_pk_mul_f32 v[6:7], v[0:1], v[6:7]
	v_pk_mul_f32 v[8:9], v[0:1], v[8:9]
	global_store_dwordx4 v[4:5], v[6:9], off offset:-8
	v_add_co_u32_e32 v4, vcc, 16, v4
	v_addc_co_u32_e32 v5, vcc, 0, v5, vcc
	s_cbranch_scc1 .LBB56_23
; %bb.24:
	s_cmp_lg_u32 s4, s8
	s_mov_b64 s[2:3], 0
	s_cselect_b64 s[0:1], -1, 0
	s_branch .LBB56_26
.LBB56_25:
	s_mov_b64 s[2:3], -1
	s_mov_b64 s[0:1], 0
                                        ; implicit-def: $sgpr4
.LBB56_26:
	s_and_b64 vcc, exec, s[2:3]
	s_cbranch_vccz .LBB56_28
; %bb.27:
	s_mov_b64 s[0:1], -1
	s_mov_b32 s4, 0
.LBB56_28:
	s_andn2_b64 vcc, exec, s[0:1]
	s_cbranch_vccnz .LBB56_31
; %bb.29:
	v_add_co_u32_e32 v2, vcc, s4, v2
	v_addc_co_u32_e32 v3, vcc, 0, v3, vcc
	v_lshlrev_b64 v[2:3], 2, v[2:3]
	v_mov_b32_e32 v1, s7
	v_add_co_u32_e32 v2, vcc, s6, v2
	s_sub_i32 s0, s8, s4
	v_addc_co_u32_e32 v3, vcc, v1, v3, vcc
.LBB56_30:                              ; =>This Inner Loop Header: Depth=1
	global_load_dword v1, v[2:3], off
	s_add_i32 s0, s0, -1
	s_cmp_lg_u32 s0, 0
	s_waitcnt vmcnt(0)
	v_mul_f32_e32 v1, v0, v1
	global_store_dword v[2:3], v1, off
	v_add_co_u32_e32 v2, vcc, 4, v2
	v_addc_co_u32_e32 v3, vcc, 0, v3, vcc
	s_cbranch_scc1 .LBB56_30
.LBB56_31:
	s_endpgm
	.section	.rodata,"a",@progbits
	.p2align	6, 0x0
	.amdhsa_kernel _ZN4vllm3moe17topkGatingSoftmaxIfLi8ELi32ELi8ELi32ELb0ELi2ELNS0_23SharedExpertScoringFuncE1EEEvPKT_PKbPfiPiS9_iiiiii
		.amdhsa_group_segment_fixed_size 0
		.amdhsa_private_segment_fixed_size 0
		.amdhsa_kernarg_size 72
		.amdhsa_user_sgpr_count 6
		.amdhsa_user_sgpr_private_segment_buffer 1
		.amdhsa_user_sgpr_dispatch_ptr 0
		.amdhsa_user_sgpr_queue_ptr 0
		.amdhsa_user_sgpr_kernarg_segment_ptr 1
		.amdhsa_user_sgpr_dispatch_id 0
		.amdhsa_user_sgpr_flat_scratch_init 0
		.amdhsa_user_sgpr_kernarg_preload_length 0
		.amdhsa_user_sgpr_kernarg_preload_offset 0
		.amdhsa_user_sgpr_private_segment_size 0
		.amdhsa_uses_dynamic_stack 0
		.amdhsa_system_sgpr_private_segment_wavefront_offset 0
		.amdhsa_system_sgpr_workgroup_id_x 1
		.amdhsa_system_sgpr_workgroup_id_y 0
		.amdhsa_system_sgpr_workgroup_id_z 0
		.amdhsa_system_sgpr_workgroup_info 0
		.amdhsa_system_vgpr_workitem_id 1
		.amdhsa_next_free_vgpr 33
		.amdhsa_next_free_sgpr 25
		.amdhsa_accum_offset 36
		.amdhsa_reserve_vcc 1
		.amdhsa_reserve_flat_scratch 0
		.amdhsa_float_round_mode_32 0
		.amdhsa_float_round_mode_16_64 0
		.amdhsa_float_denorm_mode_32 3
		.amdhsa_float_denorm_mode_16_64 3
		.amdhsa_dx10_clamp 1
		.amdhsa_ieee_mode 1
		.amdhsa_fp16_overflow 0
		.amdhsa_tg_split 0
		.amdhsa_exception_fp_ieee_invalid_op 0
		.amdhsa_exception_fp_denorm_src 0
		.amdhsa_exception_fp_ieee_div_zero 0
		.amdhsa_exception_fp_ieee_overflow 0
		.amdhsa_exception_fp_ieee_underflow 0
		.amdhsa_exception_fp_ieee_inexact 0
		.amdhsa_exception_int_div_zero 0
	.end_amdhsa_kernel
	.section	.text._ZN4vllm3moe17topkGatingSoftmaxIfLi8ELi32ELi8ELi32ELb0ELi2ELNS0_23SharedExpertScoringFuncE1EEEvPKT_PKbPfiPiS9_iiiiii,"axG",@progbits,_ZN4vllm3moe17topkGatingSoftmaxIfLi8ELi32ELi8ELi32ELb0ELi2ELNS0_23SharedExpertScoringFuncE1EEEvPKT_PKbPfiPiS9_iiiiii,comdat
.Lfunc_end56:
	.size	_ZN4vllm3moe17topkGatingSoftmaxIfLi8ELi32ELi8ELi32ELb0ELi2ELNS0_23SharedExpertScoringFuncE1EEEvPKT_PKbPfiPiS9_iiiiii, .Lfunc_end56-_ZN4vllm3moe17topkGatingSoftmaxIfLi8ELi32ELi8ELi32ELb0ELi2ELNS0_23SharedExpertScoringFuncE1EEEvPKT_PKbPfiPiS9_iiiiii
                                        ; -- End function
	.section	.AMDGPU.csdata,"",@progbits
; Kernel info:
; codeLenInByte = 3208
; NumSgprs: 29
; NumVgprs: 33
; NumAgprs: 0
; TotalNumVgprs: 33
; ScratchSize: 0
; MemoryBound: 0
; FloatMode: 240
; IeeeMode: 1
; LDSByteSize: 0 bytes/workgroup (compile time only)
; SGPRBlocks: 3
; VGPRBlocks: 4
; NumSGPRsForWavesPerEU: 29
; NumVGPRsForWavesPerEU: 33
; AccumOffset: 36
; Occupancy: 8
; WaveLimiterHint : 0
; COMPUTE_PGM_RSRC2:SCRATCH_EN: 0
; COMPUTE_PGM_RSRC2:USER_SGPR: 6
; COMPUTE_PGM_RSRC2:TRAP_HANDLER: 0
; COMPUTE_PGM_RSRC2:TGID_X_EN: 1
; COMPUTE_PGM_RSRC2:TGID_Y_EN: 0
; COMPUTE_PGM_RSRC2:TGID_Z_EN: 0
; COMPUTE_PGM_RSRC2:TIDIG_COMP_CNT: 1
; COMPUTE_PGM_RSRC3_GFX90A:ACCUM_OFFSET: 8
; COMPUTE_PGM_RSRC3_GFX90A:TG_SPLIT: 0
	.section	.text._ZN4vllm3moe17topkGatingSoftmaxIfLi8ELi32ELi8ELi32ELb1ELi4ELNS0_23SharedExpertScoringFuncE1EEEvPKT_PKbPfiPiS9_iiiiii,"axG",@progbits,_ZN4vllm3moe17topkGatingSoftmaxIfLi8ELi32ELi8ELi32ELb1ELi4ELNS0_23SharedExpertScoringFuncE1EEEvPKT_PKbPfiPiS9_iiiiii,comdat
	.protected	_ZN4vllm3moe17topkGatingSoftmaxIfLi8ELi32ELi8ELi32ELb1ELi4ELNS0_23SharedExpertScoringFuncE1EEEvPKT_PKbPfiPiS9_iiiiii ; -- Begin function _ZN4vllm3moe17topkGatingSoftmaxIfLi8ELi32ELi8ELi32ELb1ELi4ELNS0_23SharedExpertScoringFuncE1EEEvPKT_PKbPfiPiS9_iiiiii
	.globl	_ZN4vllm3moe17topkGatingSoftmaxIfLi8ELi32ELi8ELi32ELb1ELi4ELNS0_23SharedExpertScoringFuncE1EEEvPKT_PKbPfiPiS9_iiiiii
	.p2align	8
	.type	_ZN4vllm3moe17topkGatingSoftmaxIfLi8ELi32ELi8ELi32ELb1ELi4ELNS0_23SharedExpertScoringFuncE1EEEvPKT_PKbPfiPiS9_iiiiii,@function
_ZN4vllm3moe17topkGatingSoftmaxIfLi8ELi32ELi8ELi32ELb1ELi4ELNS0_23SharedExpertScoringFuncE1EEEvPKT_PKbPfiPiS9_iiiiii: ; @_ZN4vllm3moe17topkGatingSoftmaxIfLi8ELi32ELi8ELi32ELb1ELi4ELNS0_23SharedExpertScoringFuncE1EEEvPKT_PKbPfiPiS9_iiiiii
; %bb.0:
	s_load_dword s24, s[4:5], 0x18
	v_bfe_u32 v1, v0, 10, 10
	v_and_b32_e32 v0, 0x3ff, v0
	s_lshl_b32 s25, s6, 7
	v_lshlrev_b32_e32 v14, 4, v1
	v_lshrrev_b32_e32 v15, 2, v0
	v_add3_u32 v27, s25, v14, v15
	s_waitcnt lgkmcnt(0)
	v_cmp_gt_i32_e32 vcc, s24, v27
	s_and_saveexec_b64 s[0:1], vcc
	s_cbranch_execz .LBB57_27
; %bb.1:
	s_load_dwordx4 s[0:3], s[4:5], 0x0
	s_load_dwordx2 s[16:17], s[4:5], 0x10
	s_waitcnt lgkmcnt(0)
	s_cmp_eq_u64 s[2:3], 0
	s_cbranch_scc1 .LBB57_3
; %bb.2:
	v_ashrrev_i32_e32 v1, 31, v27
	v_mov_b32_e32 v3, s3
	v_add_co_u32_e32 v2, vcc, s2, v27
	v_addc_co_u32_e32 v3, vcc, v3, v1, vcc
	global_load_ubyte v1, v[2:3], off
	s_waitcnt vmcnt(0)
	v_and_b32_e32 v1, 1, v1
	v_cmp_eq_u32_e32 vcc, 1, v1
	s_xor_b64 s[2:3], vcc, -1
	s_orn2_b64 s[18:19], s[2:3], exec
	s_branch .LBB57_4
.LBB57_3:
	s_mov_b64 s[18:19], -1
.LBB57_4:
	s_load_dwordx2 s[22:23], s[4:5], 0x40
	s_load_dwordx4 s[8:11], s[4:5], 0x30
	v_mov_b32_e32 v1, s1
	v_and_b32_e32 v16, 3, v0
	v_lshlrev_b32_e32 v0, 5, v16
	s_waitcnt lgkmcnt(0)
	v_mul_lo_u32 v2, v27, s23
	v_ashrrev_i32_e32 v3, 31, v2
	v_lshlrev_b64 v[2:3], 2, v[2:3]
	v_add_co_u32_e32 v2, vcc, s0, v2
	v_addc_co_u32_e32 v1, vcc, v1, v3, vcc
	v_add_co_u32_e32 v8, vcc, v2, v0
	v_addc_co_u32_e32 v9, vcc, 0, v1, vcc
	v_lshlrev_b32_e32 v0, 2, v16
	v_add_co_u32_e32 v10, vcc, v2, v0
	v_addc_co_u32_e32 v11, vcc, 0, v1, vcc
	global_load_dword v12, v[10:11], off offset:128
	global_load_dwordx4 v[0:3], v[8:9], off
	global_load_dwordx4 v[4:7], v[8:9], off offset:16
	v_mul_lo_u32 v8, v27, s11
	v_add3_u32 v10, v8, s8, v16
	v_ashrrev_i32_e32 v11, 31, v10
	v_lshlrev_b64 v[10:11], 2, v[10:11]
	v_mov_b32_e32 v13, s17
	v_add_co_u32_e32 v28, vcc, s16, v10
	v_addc_co_u32_e32 v29, vcc, v13, v11, vcc
	s_mov_b32 s0, 0xbfb8aa3b
	v_lshlrev_b32_e32 v18, 3, v16
	v_or_b32_e32 v19, 1, v18
	v_or_b32_e32 v20, 2, v18
	v_or_b32_e32 v21, 3, v18
	s_mov_b32 s1, 0x42ce8ed0
	v_or_b32_e32 v22, 4, v18
	s_mov_b32 s2, 0xc2b17218
	v_or_b32_e32 v23, 5, v18
	v_mov_b32_e32 v9, 0x7f800000
	v_or_b32_e32 v24, 6, v18
	v_or_b32_e32 v25, 7, v18
	v_mov_b32_e32 v17, 0
	s_waitcnt vmcnt(2)
	v_mul_f32_e32 v10, 0xbfb8aa3b, v12
	s_waitcnt vmcnt(1)
	v_cmp_lt_f32_e32 vcc, v0, v1
	v_fma_f32 v13, v12, s0, -v10
	v_rndne_f32_e32 v26, v10
	v_cndmask_b32_e32 v30, v0, v1, vcc
	v_cndmask_b32_e32 v11, v18, v19, vcc
	v_fmac_f32_e32 v13, 0xb2a5705f, v12
	v_sub_f32_e32 v10, v10, v26
	v_cmp_lt_f32_e32 vcc, v30, v2
	v_add_f32_e32 v10, v10, v13
	v_cndmask_b32_e32 v13, v30, v2, vcc
	v_cvt_i32_f32_e32 v26, v26
	v_cndmask_b32_e32 v11, v11, v20, vcc
	v_exp_f32_e32 v10, v10
	v_cmp_lt_f32_e32 vcc, v13, v3
	v_cndmask_b32_e32 v13, v13, v3, vcc
	v_cndmask_b32_e32 v11, v11, v21, vcc
	s_waitcnt vmcnt(0)
	v_cmp_lt_f32_e32 vcc, v13, v4
	v_cndmask_b32_e32 v13, v13, v4, vcc
	v_cndmask_b32_e32 v11, v11, v22, vcc
	v_ldexp_f32 v10, v10, v26
	v_cmp_lt_f32_e32 vcc, v13, v5
	v_cmp_nlt_f32_e64 s[0:1], s1, v12
	v_cndmask_b32_e32 v11, v11, v23, vcc
	v_cndmask_b32_e64 v10, 0, v10, s[0:1]
	v_cndmask_b32_e32 v13, v13, v5, vcc
	v_cmp_ngt_f32_e32 vcc, s2, v12
	v_cndmask_b32_e32 v9, v9, v10, vcc
	v_cmp_lt_f32_e32 vcc, v13, v6
	v_add_f32_e32 v26, 1.0, v9
	v_cndmask_b32_e32 v9, v13, v6, vcc
	v_div_scale_f32 v13, s[0:1], v26, v26, 1.0
	v_rcp_f32_e32 v31, v13
	v_cndmask_b32_e32 v10, v11, v24, vcc
	v_cmp_lt_f32_e64 s[0:1], v9, v7
	v_div_scale_f32 v30, vcc, 1.0, v26, 1.0
	v_fma_f32 v32, -v13, v31, 1.0
	v_cndmask_b32_e64 v10, v10, v25, s[0:1]
	v_cndmask_b32_e64 v9, v9, v7, s[0:1]
	v_fmac_f32_e32 v31, v32, v31
	v_mov_b32_dpp v11, v10 quad_perm:[1,0,3,2] row_mask:0xf bank_mask:0xf
	v_mov_b32_dpp v12, v9 quad_perm:[1,0,3,2] row_mask:0xf bank_mask:0xf
	v_mul_f32_e32 v32, v30, v31
	v_cmp_lt_i32_e64 s[0:1], v11, v10
	v_cmp_eq_f32_e64 s[6:7], v9, v12
	v_fma_f32 v33, -v13, v32, v30
	v_cmp_lt_f32_e64 s[2:3], v9, v12
	s_and_b64 s[0:1], s[6:7], s[0:1]
	v_fmac_f32_e32 v32, v33, v31
	s_or_b64 s[0:1], s[2:3], s[0:1]
	v_fma_f32 v13, -v13, v32, v30
	v_cndmask_b32_e64 v9, v9, v12, s[0:1]
	v_cndmask_b32_e64 v11, v10, v11, s[0:1]
	s_cmp_gt_i32 s8, 0
	v_div_fmas_f32 v13, v13, v31, v32
	v_mov_b32_dpp v10, v9 quad_perm:[2,3,0,1] row_mask:0xf bank_mask:0xf
	v_mov_b32_dpp v12, v11 quad_perm:[2,3,0,1] row_mask:0xf bank_mask:0xf
	s_cselect_b64 s[20:21], -1, 0
	s_cmp_lt_i32 s8, 1
	v_div_fixup_f32 v13, v13, v26, 1.0
	v_cmp_eq_u32_e32 vcc, 0, v16
	global_store_dword v[28:29], v13, off
	s_cbranch_scc1 .LBB57_16
; %bb.5:
	s_load_dwordx4 s[12:15], s[4:5], 0x20
	v_cmp_eq_f32_e64 s[2:3], v9, v10
	v_cmp_lt_i32_e64 s[6:7], v12, v11
	v_cmp_lt_f32_e64 s[0:1], v9, v10
	s_and_b64 s[2:3], s[2:3], s[6:7]
	s_or_b64 s[0:1], s[0:1], s[2:3]
	v_cndmask_b32_e64 v28, v11, v12, s[0:1]
	v_cndmask_b32_e64 v26, v9, v10, s[0:1]
	v_mul_lo_u32 v12, v27, s22
	v_mul_lo_u32 v10, v27, s8
	v_mov_b32_e32 v17, 0
	s_and_saveexec_b64 s[4:5], vcc
	s_cbranch_execz .LBB57_7
; %bb.6:
	v_sub_f32_e32 v9, v26, v26
	v_mul_f32_e32 v11, 0x3fb8aa3b, v9
	s_mov_b32 s0, 0x3fb8aa3b
	v_rndne_f32_e32 v13, v11
	v_sub_f32_e32 v17, v11, v13
	v_fma_f32 v11, v9, s0, -v11
	v_fmac_f32_e32 v11, 0x32a5705f, v9
	v_add_f32_e32 v11, v17, v11
	v_exp_f32_e32 v11, v11
	v_cvt_i32_f32_e32 v13, v13
	v_cmp_le_i32_e64 s[0:1], s9, v28
	v_cmp_gt_i32_e64 s[2:3], s10, v28
	s_and_b64 s[2:3], s[0:1], s[2:3]
	s_mov_b32 s0, 0xc2ce8ed0
	v_ldexp_f32 v11, v11, v13
	v_cmp_ngt_f32_e64 s[0:1], s0, v9
	v_cndmask_b32_e64 v11, 0, v11, s[0:1]
	s_mov_b32 s0, 0x42b17218
	v_cmp_nlt_f32_e64 s[0:1], s0, v9
	v_ashrrev_i32_e32 v9, 31, v8
	v_mov_b32_e32 v13, 0x7f800000
	v_lshlrev_b64 v[30:31], 2, v[8:9]
	v_cndmask_b32_e64 v17, v13, v11, s[0:1]
	v_mov_b32_e32 v9, s17
	v_add_co_u32_e64 v30, s[0:1], s16, v30
	v_addc_co_u32_e64 v31, s[0:1], v9, v31, s[0:1]
	v_ashrrev_i32_e32 v13, 31, v12
	global_store_dword v[30:31], v17, off
	v_subrev_u32_e32 v9, s9, v28
	s_and_b64 s[0:1], s[18:19], s[2:3]
	v_lshlrev_b64 v[30:31], 2, v[12:13]
	v_cndmask_b32_e64 v9, 32, v9, s[0:1]
	s_waitcnt lgkmcnt(0)
	v_mov_b32_e32 v11, s13
	v_add_co_u32_e64 v30, s[0:1], s12, v30
	v_addc_co_u32_e64 v31, s[0:1], v11, v31, s[0:1]
	v_ashrrev_i32_e32 v11, 31, v10
	global_store_dword v[30:31], v9, off
	v_lshlrev_b64 v[30:31], 2, v[10:11]
	v_mov_b32_e32 v9, s15
	v_add_co_u32_e64 v30, s[0:1], s14, v30
	v_addc_co_u32_e64 v31, s[0:1], v9, v31, s[0:1]
	global_store_dword v[30:31], v27, off
.LBB57_7:
	s_or_b64 exec, exec, s[4:5]
	v_ashrrev_i32_e32 v11, 31, v28
	v_lshrrev_b32_e32 v9, 29, v11
	v_add_u32_e32 v9, v28, v9
	v_ashrrev_i32_e32 v9, 3, v9
	v_lshrrev_b32_e32 v13, 30, v9
	v_add_u32_e32 v13, v9, v13
	v_and_b32_e32 v13, -4, v13
	v_sub_u32_e32 v13, v9, v13
	v_cmp_eq_u32_e64 s[0:1], v16, v13
	s_and_saveexec_b64 s[2:3], s[0:1]
	s_cbranch_execz .LBB57_9
; %bb.8:
	v_lshrrev_b32_e32 v11, 27, v11
	v_add_u32_e32 v11, v28, v11
	v_lshlrev_b32_e32 v9, 3, v9
	v_ashrrev_i32_e32 v11, 5, v11
	v_sub_u32_e32 v9, v28, v9
	v_lshl_add_u32 v9, v11, 3, v9
	v_mov_b32_e32 v11, 0xff800000
	v_cmp_ne_u32_e64 s[0:1], 7, v9
	v_cndmask_b32_e64 v7, v11, v7, s[0:1]
	v_cmp_ne_u32_e64 s[0:1], 6, v9
	v_cndmask_b32_e64 v6, v11, v6, s[0:1]
	;; [unrolled: 2-line block ×8, first 2 shown]
.LBB57_9:
	s_or_b64 exec, exec, s[2:3]
	s_cmp_eq_u32 s8, 1
	s_cbranch_scc1 .LBB57_16
; %bb.10:
	s_add_i32 s25, s25, s24
	s_add_i32 s6, s8, -1
	v_add3_u32 v9, s25, v15, v14
	v_add_u32_e32 v10, 1, v10
	v_add_u32_e32 v12, 1, v12
	;; [unrolled: 1-line block ×3, first 2 shown]
	s_mov_b32 s7, 0x3fb8aa3b
	s_mov_b32 s11, 0xc2ce8ed0
	s_mov_b32 s22, 0x42b17218
	v_mov_b32_e32 v27, 0x7f800000
	v_mov_b32_e32 v28, 0xff800000
	s_branch .LBB57_12
.LBB57_11:                              ;   in Loop: Header=BB57_12 Depth=1
	s_or_b64 exec, exec, s[2:3]
	s_add_i32 s6, s6, -1
	v_add_u32_e32 v9, s24, v9
	v_add_u32_e32 v10, 1, v10
	;; [unrolled: 1-line block ×3, first 2 shown]
	s_cmp_eq_u32 s6, 0
	v_add_u32_e32 v14, 1, v14
	s_cbranch_scc1 .LBB57_16
.LBB57_12:                              ; =>This Inner Loop Header: Depth=1
	v_cmp_gt_f32_e64 s[0:1], v1, v0
	v_cndmask_b32_e64 v13, v0, v1, s[0:1]
	v_cndmask_b32_e64 v11, v18, v19, s[0:1]
	v_cmp_gt_f32_e64 s[0:1], v2, v13
	v_cndmask_b32_e64 v13, v13, v2, s[0:1]
	v_cndmask_b32_e64 v11, v11, v20, s[0:1]
	;; [unrolled: 3-line block ×7, first 2 shown]
	s_nop 0
	v_mov_b32_dpp v13, v15 quad_perm:[1,0,3,2] row_mask:0xf bank_mask:0xf
	v_mov_b32_dpp v29, v11 quad_perm:[1,0,3,2] row_mask:0xf bank_mask:0xf
	v_cmp_eq_f32_e64 s[2:3], v11, v29
	v_cmp_lt_i32_e64 s[4:5], v13, v15
	v_cmp_lt_f32_e64 s[0:1], v11, v29
	s_and_b64 s[2:3], s[2:3], s[4:5]
	s_or_b64 s[0:1], s[0:1], s[2:3]
	v_cndmask_b32_e64 v11, v11, v29, s[0:1]
	v_cndmask_b32_e64 v15, v15, v13, s[0:1]
	s_nop 0
	v_mov_b32_dpp v13, v11 quad_perm:[2,3,0,1] row_mask:0xf bank_mask:0xf
	v_mov_b32_dpp v29, v15 quad_perm:[2,3,0,1] row_mask:0xf bank_mask:0xf
	v_cmp_eq_f32_e64 s[2:3], v11, v13
	v_cmp_lt_i32_e64 s[4:5], v29, v15
	v_cmp_lt_f32_e64 s[0:1], v11, v13
	s_and_b64 s[2:3], s[2:3], s[4:5]
	s_or_b64 s[0:1], s[0:1], s[2:3]
	v_cndmask_b32_e64 v29, v15, v29, s[0:1]
	s_and_saveexec_b64 s[4:5], vcc
	s_cbranch_execz .LBB57_14
; %bb.13:                               ;   in Loop: Header=BB57_12 Depth=1
	v_cndmask_b32_e64 v11, v11, v13, s[0:1]
	v_sub_f32_e32 v11, v11, v26
	v_mul_f32_e32 v13, 0x3fb8aa3b, v11
	v_fma_f32 v15, v11, s7, -v13
	v_rndne_f32_e32 v30, v13
	v_fmac_f32_e32 v15, 0x32a5705f, v11
	v_sub_f32_e32 v13, v13, v30
	v_add_f32_e32 v13, v13, v15
	v_exp_f32_e32 v13, v13
	v_cvt_i32_f32_e32 v15, v30
	v_cmp_le_i32_e64 s[0:1], s9, v29
	v_cmp_gt_i32_e64 s[2:3], s10, v29
	s_and_b64 s[2:3], s[0:1], s[2:3]
	v_ldexp_f32 v13, v13, v15
	v_cmp_ngt_f32_e64 s[0:1], s11, v11
	v_ashrrev_i32_e32 v15, 31, v14
	v_cndmask_b32_e64 v13, 0, v13, s[0:1]
	v_cmp_nlt_f32_e64 s[0:1], s22, v11
	v_lshlrev_b64 v[30:31], 2, v[14:15]
	v_cndmask_b32_e64 v32, v27, v13, s[0:1]
	v_mov_b32_e32 v11, s17
	v_add_co_u32_e64 v30, s[0:1], s16, v30
	v_addc_co_u32_e64 v31, s[0:1], v11, v31, s[0:1]
	v_ashrrev_i32_e32 v13, 31, v12
	global_store_dword v[30:31], v32, off
	v_subrev_u32_e32 v11, s9, v29
	s_and_b64 s[0:1], s[18:19], s[2:3]
	v_lshlrev_b64 v[30:31], 2, v[12:13]
	v_cndmask_b32_e64 v11, 32, v11, s[0:1]
	s_waitcnt lgkmcnt(0)
	v_mov_b32_e32 v13, s13
	v_add_co_u32_e64 v30, s[0:1], s12, v30
	v_addc_co_u32_e64 v31, s[0:1], v13, v31, s[0:1]
	global_store_dword v[30:31], v11, off
	v_ashrrev_i32_e32 v11, 31, v10
	v_lshlrev_b64 v[30:31], 2, v[10:11]
	v_mov_b32_e32 v11, s15
	v_add_co_u32_e64 v30, s[0:1], s14, v30
	v_addc_co_u32_e64 v31, s[0:1], v11, v31, s[0:1]
	v_add_f32_e32 v17, v17, v32
	global_store_dword v[30:31], v9, off
.LBB57_14:                              ;   in Loop: Header=BB57_12 Depth=1
	s_or_b64 exec, exec, s[4:5]
	v_ashrrev_i32_e32 v13, 31, v29
	v_lshrrev_b32_e32 v11, 29, v13
	v_add_u32_e32 v11, v29, v11
	v_ashrrev_i32_e32 v11, 3, v11
	v_lshrrev_b32_e32 v15, 30, v11
	v_add_u32_e32 v15, v11, v15
	v_and_b32_e32 v15, -4, v15
	v_sub_u32_e32 v15, v11, v15
	v_cmp_eq_u32_e64 s[0:1], v16, v15
	s_and_saveexec_b64 s[2:3], s[0:1]
	s_cbranch_execz .LBB57_11
; %bb.15:                               ;   in Loop: Header=BB57_12 Depth=1
	v_lshrrev_b32_e32 v13, 27, v13
	v_add_u32_e32 v13, v29, v13
	v_lshlrev_b32_e32 v11, 3, v11
	v_ashrrev_i32_e32 v13, 5, v13
	v_sub_u32_e32 v11, v29, v11
	v_lshl_add_u32 v11, v13, 3, v11
	v_cmp_ne_u32_e64 s[0:1], 7, v11
	v_cndmask_b32_e64 v7, v28, v7, s[0:1]
	v_cmp_ne_u32_e64 s[0:1], 6, v11
	v_cndmask_b32_e64 v6, v28, v6, s[0:1]
	;; [unrolled: 2-line block ×8, first 2 shown]
	s_branch .LBB57_11
.LBB57_16:
	v_cmp_eq_u32_e32 vcc, 0, v16
	v_cmp_neq_f32_e64 s[0:1], 0, v17
	s_and_b64 s[0:1], vcc, s[0:1]
	s_and_b64 exec, exec, s[0:1]
	s_cbranch_execz .LBB57_27
; %bb.17:
	s_andn2_b64 vcc, exec, s[20:21]
	s_cbranch_vccnz .LBB57_27
; %bb.18:
	v_div_scale_f32 v0, s[0:1], v17, v17, 1.0
	v_rcp_f32_e32 v1, v0
	v_div_scale_f32 v2, vcc, 1.0, v17, 1.0
	s_cmp_gt_u32 s8, 3
	v_fma_f32 v3, -v0, v1, 1.0
	v_fmac_f32_e32 v1, v3, v1
	v_mul_f32_e32 v3, v2, v1
	v_fma_f32 v4, -v0, v3, v2
	v_fmac_f32_e32 v3, v4, v1
	v_fma_f32 v0, -v0, v3, v2
	v_div_fmas_f32 v0, v0, v1, v3
	v_div_fixup_f32 v0, v0, v17, 1.0
	v_ashrrev_i32_e32 v9, 31, v8
	s_cbranch_scc0 .LBB57_22
; %bb.19:
	v_lshlrev_b64 v[2:3], 2, v[8:9]
	v_mov_b32_e32 v4, s17
	v_add_co_u32_e32 v2, vcc, s16, v2
	v_addc_co_u32_e32 v3, vcc, v3, v4, vcc
	s_and_b32 s4, s8, 0x7ffffffc
	v_add_co_u32_e32 v2, vcc, 8, v2
	v_mov_b32_e32 v1, v0
	v_addc_co_u32_e32 v3, vcc, 0, v3, vcc
	s_mov_b32 s0, s4
.LBB57_20:                              ; =>This Inner Loop Header: Depth=1
	global_load_dwordx4 v[4:7], v[2:3], off offset:-8
	s_add_i32 s0, s0, -4
	s_cmp_lg_u32 s0, 0
	s_waitcnt vmcnt(0)
	v_pk_mul_f32 v[4:5], v[0:1], v[4:5]
	v_pk_mul_f32 v[6:7], v[0:1], v[6:7]
	global_store_dwordx4 v[2:3], v[4:7], off offset:-8
	v_add_co_u32_e32 v2, vcc, 16, v2
	v_addc_co_u32_e32 v3, vcc, 0, v3, vcc
	s_cbranch_scc1 .LBB57_20
; %bb.21:
	s_cmp_lg_u32 s4, s8
	s_cselect_b64 s[0:1], -1, 0
	s_branch .LBB57_24
.LBB57_22:
	s_mov_b64 s[0:1], 0
                                        ; implicit-def: $sgpr4
	s_cbranch_execz .LBB57_24
; %bb.23:
	s_mov_b64 s[0:1], -1
	s_mov_b32 s4, 0
.LBB57_24:
	s_andn2_b64 vcc, exec, s[0:1]
	s_cbranch_vccnz .LBB57_27
; %bb.25:
	v_add_co_u32_e32 v2, vcc, s4, v8
	v_addc_co_u32_e32 v3, vcc, 0, v9, vcc
	v_lshlrev_b64 v[2:3], 2, v[2:3]
	v_mov_b32_e32 v1, s17
	v_add_co_u32_e32 v2, vcc, s16, v2
	s_sub_i32 s0, s8, s4
	v_addc_co_u32_e32 v3, vcc, v1, v3, vcc
.LBB57_26:                              ; =>This Inner Loop Header: Depth=1
	global_load_dword v1, v[2:3], off
	s_add_i32 s0, s0, -1
	s_cmp_lg_u32 s0, 0
	s_waitcnt vmcnt(0)
	v_mul_f32_e32 v1, v0, v1
	global_store_dword v[2:3], v1, off
	v_add_co_u32_e32 v2, vcc, 4, v2
	v_addc_co_u32_e32 v3, vcc, 0, v3, vcc
	s_cbranch_scc1 .LBB57_26
.LBB57_27:
	s_endpgm
	.section	.rodata,"a",@progbits
	.p2align	6, 0x0
	.amdhsa_kernel _ZN4vllm3moe17topkGatingSoftmaxIfLi8ELi32ELi8ELi32ELb1ELi4ELNS0_23SharedExpertScoringFuncE1EEEvPKT_PKbPfiPiS9_iiiiii
		.amdhsa_group_segment_fixed_size 0
		.amdhsa_private_segment_fixed_size 0
		.amdhsa_kernarg_size 72
		.amdhsa_user_sgpr_count 6
		.amdhsa_user_sgpr_private_segment_buffer 1
		.amdhsa_user_sgpr_dispatch_ptr 0
		.amdhsa_user_sgpr_queue_ptr 0
		.amdhsa_user_sgpr_kernarg_segment_ptr 1
		.amdhsa_user_sgpr_dispatch_id 0
		.amdhsa_user_sgpr_flat_scratch_init 0
		.amdhsa_user_sgpr_kernarg_preload_length 0
		.amdhsa_user_sgpr_kernarg_preload_offset 0
		.amdhsa_user_sgpr_private_segment_size 0
		.amdhsa_uses_dynamic_stack 0
		.amdhsa_system_sgpr_private_segment_wavefront_offset 0
		.amdhsa_system_sgpr_workgroup_id_x 1
		.amdhsa_system_sgpr_workgroup_id_y 0
		.amdhsa_system_sgpr_workgroup_id_z 0
		.amdhsa_system_sgpr_workgroup_info 0
		.amdhsa_system_vgpr_workitem_id 1
		.amdhsa_next_free_vgpr 34
		.amdhsa_next_free_sgpr 26
		.amdhsa_accum_offset 36
		.amdhsa_reserve_vcc 1
		.amdhsa_reserve_flat_scratch 0
		.amdhsa_float_round_mode_32 0
		.amdhsa_float_round_mode_16_64 0
		.amdhsa_float_denorm_mode_32 3
		.amdhsa_float_denorm_mode_16_64 3
		.amdhsa_dx10_clamp 1
		.amdhsa_ieee_mode 1
		.amdhsa_fp16_overflow 0
		.amdhsa_tg_split 0
		.amdhsa_exception_fp_ieee_invalid_op 0
		.amdhsa_exception_fp_denorm_src 0
		.amdhsa_exception_fp_ieee_div_zero 0
		.amdhsa_exception_fp_ieee_overflow 0
		.amdhsa_exception_fp_ieee_underflow 0
		.amdhsa_exception_fp_ieee_inexact 0
		.amdhsa_exception_int_div_zero 0
	.end_amdhsa_kernel
	.section	.text._ZN4vllm3moe17topkGatingSoftmaxIfLi8ELi32ELi8ELi32ELb1ELi4ELNS0_23SharedExpertScoringFuncE1EEEvPKT_PKbPfiPiS9_iiiiii,"axG",@progbits,_ZN4vllm3moe17topkGatingSoftmaxIfLi8ELi32ELi8ELi32ELb1ELi4ELNS0_23SharedExpertScoringFuncE1EEEvPKT_PKbPfiPiS9_iiiiii,comdat
.Lfunc_end57:
	.size	_ZN4vllm3moe17topkGatingSoftmaxIfLi8ELi32ELi8ELi32ELb1ELi4ELNS0_23SharedExpertScoringFuncE1EEEvPKT_PKbPfiPiS9_iiiiii, .Lfunc_end57-_ZN4vllm3moe17topkGatingSoftmaxIfLi8ELi32ELi8ELi32ELb1ELi4ELNS0_23SharedExpertScoringFuncE1EEEvPKT_PKbPfiPiS9_iiiiii
                                        ; -- End function
	.section	.AMDGPU.csdata,"",@progbits
; Kernel info:
; codeLenInByte = 2524
; NumSgprs: 30
; NumVgprs: 34
; NumAgprs: 0
; TotalNumVgprs: 34
; ScratchSize: 0
; MemoryBound: 0
; FloatMode: 240
; IeeeMode: 1
; LDSByteSize: 0 bytes/workgroup (compile time only)
; SGPRBlocks: 3
; VGPRBlocks: 4
; NumSGPRsForWavesPerEU: 30
; NumVGPRsForWavesPerEU: 34
; AccumOffset: 36
; Occupancy: 8
; WaveLimiterHint : 0
; COMPUTE_PGM_RSRC2:SCRATCH_EN: 0
; COMPUTE_PGM_RSRC2:USER_SGPR: 6
; COMPUTE_PGM_RSRC2:TRAP_HANDLER: 0
; COMPUTE_PGM_RSRC2:TGID_X_EN: 1
; COMPUTE_PGM_RSRC2:TGID_Y_EN: 0
; COMPUTE_PGM_RSRC2:TGID_Z_EN: 0
; COMPUTE_PGM_RSRC2:TIDIG_COMP_CNT: 1
; COMPUTE_PGM_RSRC3_GFX90A:ACCUM_OFFSET: 8
; COMPUTE_PGM_RSRC3_GFX90A:TG_SPLIT: 0
	.section	.text._ZN4vllm3moe17topkGatingSoftmaxIfLi8ELi32ELi8ELi32ELb0ELi4ELNS0_23SharedExpertScoringFuncE1EEEvPKT_PKbPfiPiS9_iiiiii,"axG",@progbits,_ZN4vllm3moe17topkGatingSoftmaxIfLi8ELi32ELi8ELi32ELb0ELi4ELNS0_23SharedExpertScoringFuncE1EEEvPKT_PKbPfiPiS9_iiiiii,comdat
	.protected	_ZN4vllm3moe17topkGatingSoftmaxIfLi8ELi32ELi8ELi32ELb0ELi4ELNS0_23SharedExpertScoringFuncE1EEEvPKT_PKbPfiPiS9_iiiiii ; -- Begin function _ZN4vllm3moe17topkGatingSoftmaxIfLi8ELi32ELi8ELi32ELb0ELi4ELNS0_23SharedExpertScoringFuncE1EEEvPKT_PKbPfiPiS9_iiiiii
	.globl	_ZN4vllm3moe17topkGatingSoftmaxIfLi8ELi32ELi8ELi32ELb0ELi4ELNS0_23SharedExpertScoringFuncE1EEEvPKT_PKbPfiPiS9_iiiiii
	.p2align	8
	.type	_ZN4vllm3moe17topkGatingSoftmaxIfLi8ELi32ELi8ELi32ELb0ELi4ELNS0_23SharedExpertScoringFuncE1EEEvPKT_PKbPfiPiS9_iiiiii,@function
_ZN4vllm3moe17topkGatingSoftmaxIfLi8ELi32ELi8ELi32ELb0ELi4ELNS0_23SharedExpertScoringFuncE1EEEvPKT_PKbPfiPiS9_iiiiii: ; @_ZN4vllm3moe17topkGatingSoftmaxIfLi8ELi32ELi8ELi32ELb0ELi4ELNS0_23SharedExpertScoringFuncE1EEEvPKT_PKbPfiPiS9_iiiiii
; %bb.0:
	s_load_dword s22, s[4:5], 0x18
	v_bfe_u32 v1, v0, 10, 10
	v_and_b32_e32 v0, 0x3ff, v0
	s_lshl_b32 s23, s6, 7
	v_lshlrev_b32_e32 v14, 4, v1
	v_lshrrev_b32_e32 v15, 2, v0
	v_add3_u32 v27, s23, v14, v15
	s_waitcnt lgkmcnt(0)
	v_cmp_gt_i32_e32 vcc, s22, v27
	s_and_saveexec_b64 s[0:1], vcc
	s_cbranch_execz .LBB58_29
; %bb.1:
	s_load_dwordx4 s[0:3], s[4:5], 0x0
	s_load_dwordx2 s[16:17], s[4:5], 0x10
	s_waitcnt lgkmcnt(0)
	s_cmp_eq_u64 s[2:3], 0
	s_cbranch_scc1 .LBB58_3
; %bb.2:
	v_ashrrev_i32_e32 v1, 31, v27
	v_mov_b32_e32 v3, s3
	v_add_co_u32_e32 v2, vcc, s2, v27
	v_addc_co_u32_e32 v3, vcc, v3, v1, vcc
	global_load_ubyte v1, v[2:3], off
	s_waitcnt vmcnt(0)
	v_and_b32_e32 v1, 1, v1
	v_cmp_eq_u32_e32 vcc, 1, v1
	s_xor_b64 s[2:3], vcc, -1
	s_orn2_b64 s[18:19], s[2:3], exec
	s_branch .LBB58_4
.LBB58_3:
	s_mov_b64 s[18:19], -1
.LBB58_4:
	s_load_dwordx2 s[20:21], s[4:5], 0x40
	s_load_dwordx4 s[8:11], s[4:5], 0x30
	v_mov_b32_e32 v1, s1
	v_and_b32_e32 v16, 3, v0
	v_lshlrev_b32_e32 v0, 5, v16
	s_waitcnt lgkmcnt(0)
	v_mul_lo_u32 v2, v27, s21
	v_ashrrev_i32_e32 v3, 31, v2
	v_lshlrev_b64 v[2:3], 2, v[2:3]
	v_add_co_u32_e32 v2, vcc, s0, v2
	v_addc_co_u32_e32 v1, vcc, v1, v3, vcc
	v_add_co_u32_e32 v8, vcc, v2, v0
	v_addc_co_u32_e32 v9, vcc, 0, v1, vcc
	v_lshlrev_b32_e32 v0, 2, v16
	v_add_co_u32_e32 v10, vcc, v2, v0
	v_addc_co_u32_e32 v11, vcc, 0, v1, vcc
	global_load_dword v18, v[10:11], off offset:128
	global_load_dwordx4 v[4:7], v[8:9], off
	global_load_dwordx4 v[0:3], v[8:9], off offset:16
	v_mul_lo_u32 v8, v27, s11
	v_add3_u32 v10, v8, s8, v16
	v_ashrrev_i32_e32 v11, 31, v10
	v_lshlrev_b64 v[10:11], 2, v[10:11]
	v_mov_b32_e32 v13, s17
	v_add_co_u32_e32 v12, vcc, s16, v10
	v_addc_co_u32_e32 v13, vcc, v13, v11, vcc
	s_mov_b32 s0, 0xbfb8aa3b
	v_lshlrev_b32_e32 v19, 3, v16
	v_or_b32_e32 v20, 1, v19
	v_or_b32_e32 v21, 2, v19
	;; [unrolled: 1-line block ×3, first 2 shown]
	s_mov_b32 s1, 0x42ce8ed0
	v_or_b32_e32 v23, 4, v19
	s_mov_b32 s2, 0xc2b17218
	v_or_b32_e32 v24, 5, v19
	v_mov_b32_e32 v9, 0x7f800000
	v_or_b32_e32 v25, 6, v19
	v_or_b32_e32 v26, 7, v19
	v_mov_b32_e32 v17, 0
	s_waitcnt vmcnt(2)
	v_mul_f32_e32 v10, 0xbfb8aa3b, v18
	s_waitcnt vmcnt(1)
	v_cmp_lt_f32_e32 vcc, v4, v5
	v_fma_f32 v28, v18, s0, -v10
	v_rndne_f32_e32 v29, v10
	v_cndmask_b32_e32 v30, v4, v5, vcc
	v_cndmask_b32_e32 v11, v19, v20, vcc
	v_fmac_f32_e32 v28, 0xb2a5705f, v18
	v_sub_f32_e32 v10, v10, v29
	v_cmp_lt_f32_e32 vcc, v30, v6
	v_add_f32_e32 v10, v10, v28
	v_cndmask_b32_e32 v28, v30, v6, vcc
	v_cvt_i32_f32_e32 v29, v29
	v_cndmask_b32_e32 v11, v11, v21, vcc
	v_exp_f32_e32 v10, v10
	v_cmp_lt_f32_e32 vcc, v28, v7
	v_cndmask_b32_e32 v28, v28, v7, vcc
	v_cndmask_b32_e32 v11, v11, v22, vcc
	s_waitcnt vmcnt(0)
	v_cmp_lt_f32_e32 vcc, v28, v0
	v_cndmask_b32_e32 v28, v28, v0, vcc
	v_cndmask_b32_e32 v11, v11, v23, vcc
	v_ldexp_f32 v10, v10, v29
	v_cmp_lt_f32_e32 vcc, v28, v1
	v_cmp_nlt_f32_e64 s[0:1], s1, v18
	v_cndmask_b32_e32 v11, v11, v24, vcc
	v_cndmask_b32_e64 v10, 0, v10, s[0:1]
	v_cndmask_b32_e32 v28, v28, v1, vcc
	v_cmp_ngt_f32_e32 vcc, s2, v18
	v_cndmask_b32_e32 v9, v9, v10, vcc
	v_cmp_lt_f32_e32 vcc, v28, v2
	v_cndmask_b32_e32 v10, v11, v25, vcc
	v_add_f32_e32 v11, 1.0, v9
	v_cndmask_b32_e32 v9, v28, v2, vcc
	v_div_scale_f32 v18, s[0:1], v11, v11, 1.0
	v_cmp_lt_f32_e64 s[0:1], v9, v3
	v_cndmask_b32_e64 v10, v10, v26, s[0:1]
	v_rcp_f32_e32 v29, v18
	v_cndmask_b32_e64 v9, v9, v3, s[0:1]
	v_mov_b32_dpp v30, v10 quad_perm:[1,0,3,2] row_mask:0xf bank_mask:0xf
	v_cmp_lt_i32_e64 s[0:1], v30, v10
	v_mov_b32_dpp v31, v9 quad_perm:[1,0,3,2] row_mask:0xf bank_mask:0xf
	v_cmp_eq_f32_e64 s[6:7], v9, v31
	v_cmp_lt_f32_e64 s[2:3], v9, v31
	s_and_b64 s[0:1], s[6:7], s[0:1]
	v_fma_f32 v32, -v18, v29, 1.0
	s_or_b64 s[0:1], s[2:3], s[0:1]
	v_div_scale_f32 v28, vcc, 1.0, v11, 1.0
	v_cndmask_b32_e64 v31, v9, v31, s[0:1]
	v_fmac_f32_e32 v29, v32, v29
	v_cndmask_b32_e64 v9, v10, v30, s[0:1]
	v_mov_b32_dpp v30, v31 quad_perm:[2,3,0,1] row_mask:0xf bank_mask:0xf
	v_mul_f32_e32 v32, v28, v29
	v_mov_b32_dpp v10, v9 quad_perm:[2,3,0,1] row_mask:0xf bank_mask:0xf
	v_cmp_eq_f32_e64 s[2:3], v31, v30
	v_fma_f32 v33, -v18, v32, v28
	v_cmp_lt_i32_e64 s[6:7], v10, v9
	v_cmp_lt_f32_e64 s[0:1], v31, v30
	v_fmac_f32_e32 v32, v33, v29
	s_and_b64 s[2:3], s[2:3], s[6:7]
	v_fma_f32 v28, -v18, v32, v28
	s_or_b64 s[0:1], s[0:1], s[2:3]
	v_div_fmas_f32 v28, v28, v29, v32
	s_cmp_gt_i32 s8, 0
	v_cndmask_b32_e64 v18, v31, v30, s[0:1]
	v_div_fixup_f32 v11, v28, v11, 1.0
	s_cselect_b64 s[6:7], -1, 0
	s_cmp_lt_i32 s8, 1
	v_cmp_eq_u32_e32 vcc, 0, v16
	global_store_dword v[12:13], v11, off
	s_cbranch_scc1 .LBB58_16
; %bb.5:
	s_load_dwordx4 s[12:15], s[4:5], 0x20
	v_cndmask_b32_e64 v28, v9, v10, s[0:1]
	v_mul_lo_u32 v12, v27, s20
	v_mul_lo_u32 v10, v27, s8
	v_mov_b32_e32 v17, 0
	s_and_saveexec_b64 s[4:5], vcc
	s_cbranch_execz .LBB58_7
; %bb.6:
	v_sub_f32_e32 v9, v18, v18
	v_mul_f32_e32 v11, 0x3fb8aa3b, v9
	s_mov_b32 s0, 0x3fb8aa3b
	v_rndne_f32_e32 v13, v11
	v_sub_f32_e32 v17, v11, v13
	v_fma_f32 v11, v9, s0, -v11
	v_fmac_f32_e32 v11, 0x32a5705f, v9
	v_add_f32_e32 v11, v17, v11
	v_exp_f32_e32 v11, v11
	v_cvt_i32_f32_e32 v13, v13
	v_cmp_le_i32_e64 s[0:1], s9, v28
	v_cmp_gt_i32_e64 s[2:3], s10, v28
	s_and_b64 s[2:3], s[0:1], s[2:3]
	s_mov_b32 s0, 0xc2ce8ed0
	v_ldexp_f32 v11, v11, v13
	v_cmp_ngt_f32_e64 s[0:1], s0, v9
	v_cndmask_b32_e64 v11, 0, v11, s[0:1]
	s_mov_b32 s0, 0x42b17218
	v_cmp_nlt_f32_e64 s[0:1], s0, v9
	v_ashrrev_i32_e32 v9, 31, v8
	v_mov_b32_e32 v13, 0x7f800000
	v_lshlrev_b64 v[30:31], 2, v[8:9]
	v_cndmask_b32_e64 v17, v13, v11, s[0:1]
	v_mov_b32_e32 v9, s17
	v_add_co_u32_e64 v30, s[0:1], s16, v30
	v_addc_co_u32_e64 v31, s[0:1], v9, v31, s[0:1]
	v_ashrrev_i32_e32 v13, 31, v12
	global_store_dword v[30:31], v17, off
	v_subrev_u32_e32 v9, s9, v28
	s_and_b64 s[0:1], s[18:19], s[2:3]
	v_lshlrev_b64 v[30:31], 2, v[12:13]
	v_cndmask_b32_e64 v9, 32, v9, s[0:1]
	s_waitcnt lgkmcnt(0)
	v_mov_b32_e32 v11, s13
	v_add_co_u32_e64 v30, s[0:1], s12, v30
	v_addc_co_u32_e64 v31, s[0:1], v11, v31, s[0:1]
	v_ashrrev_i32_e32 v11, 31, v10
	global_store_dword v[30:31], v9, off
	v_lshlrev_b64 v[30:31], 2, v[10:11]
	v_mov_b32_e32 v9, s15
	v_add_co_u32_e64 v30, s[0:1], s14, v30
	v_addc_co_u32_e64 v31, s[0:1], v9, v31, s[0:1]
	global_store_dword v[30:31], v27, off
.LBB58_7:
	s_or_b64 exec, exec, s[4:5]
	v_ashrrev_i32_e32 v11, 31, v28
	v_lshrrev_b32_e32 v9, 29, v11
	v_add_u32_e32 v9, v28, v9
	v_ashrrev_i32_e32 v9, 3, v9
	v_lshrrev_b32_e32 v13, 30, v9
	v_add_u32_e32 v13, v9, v13
	v_and_b32_e32 v13, -4, v13
	v_sub_u32_e32 v13, v9, v13
	v_cmp_eq_u32_e64 s[0:1], v16, v13
	s_and_saveexec_b64 s[2:3], s[0:1]
	s_cbranch_execz .LBB58_9
; %bb.8:
	v_lshrrev_b32_e32 v11, 27, v11
	v_add_u32_e32 v11, v28, v11
	v_lshlrev_b32_e32 v9, 3, v9
	v_ashrrev_i32_e32 v11, 5, v11
	v_sub_u32_e32 v9, v28, v9
	v_lshl_add_u32 v9, v11, 3, v9
	v_mov_b32_e32 v11, 0xff800000
	v_cmp_ne_u32_e64 s[0:1], 7, v9
	v_cndmask_b32_e64 v3, v11, v3, s[0:1]
	v_cmp_ne_u32_e64 s[0:1], 6, v9
	v_cndmask_b32_e64 v2, v11, v2, s[0:1]
	;; [unrolled: 2-line block ×8, first 2 shown]
.LBB58_9:
	s_or_b64 exec, exec, s[2:3]
	s_cmp_eq_u32 s8, 1
	s_cbranch_scc1 .LBB58_16
; %bb.10:
	s_add_i32 s23, s23, s22
	s_add_i32 s11, s8, -1
	v_add3_u32 v9, s23, v15, v14
	v_add_u32_e32 v10, 1, v10
	v_add_u32_e32 v12, 1, v12
	;; [unrolled: 1-line block ×3, first 2 shown]
	s_mov_b32 s20, 0x3fb8aa3b
	s_mov_b32 s21, 0xc2ce8ed0
	;; [unrolled: 1-line block ×3, first 2 shown]
	v_mov_b32_e32 v27, 0x7f800000
	v_mov_b32_e32 v28, 0xff800000
	s_branch .LBB58_12
.LBB58_11:                              ;   in Loop: Header=BB58_12 Depth=1
	s_or_b64 exec, exec, s[2:3]
	s_add_i32 s11, s11, -1
	v_add_u32_e32 v9, s22, v9
	v_add_u32_e32 v10, 1, v10
	;; [unrolled: 1-line block ×3, first 2 shown]
	s_cmp_eq_u32 s11, 0
	v_add_u32_e32 v14, 1, v14
	s_cbranch_scc1 .LBB58_16
.LBB58_12:                              ; =>This Inner Loop Header: Depth=1
	v_cmp_gt_f32_e64 s[0:1], v5, v4
	v_cndmask_b32_e64 v13, v4, v5, s[0:1]
	v_cndmask_b32_e64 v11, v19, v20, s[0:1]
	v_cmp_gt_f32_e64 s[0:1], v6, v13
	v_cndmask_b32_e64 v13, v13, v6, s[0:1]
	v_cndmask_b32_e64 v11, v11, v21, s[0:1]
	;; [unrolled: 3-line block ×7, first 2 shown]
	s_nop 0
	v_mov_b32_dpp v13, v15 quad_perm:[1,0,3,2] row_mask:0xf bank_mask:0xf
	v_mov_b32_dpp v29, v11 quad_perm:[1,0,3,2] row_mask:0xf bank_mask:0xf
	v_cmp_eq_f32_e64 s[2:3], v11, v29
	v_cmp_lt_i32_e64 s[4:5], v13, v15
	v_cmp_lt_f32_e64 s[0:1], v11, v29
	s_and_b64 s[2:3], s[2:3], s[4:5]
	s_or_b64 s[0:1], s[0:1], s[2:3]
	v_cndmask_b32_e64 v11, v11, v29, s[0:1]
	v_cndmask_b32_e64 v15, v15, v13, s[0:1]
	s_nop 0
	v_mov_b32_dpp v13, v11 quad_perm:[2,3,0,1] row_mask:0xf bank_mask:0xf
	v_mov_b32_dpp v29, v15 quad_perm:[2,3,0,1] row_mask:0xf bank_mask:0xf
	v_cmp_eq_f32_e64 s[2:3], v11, v13
	v_cmp_lt_i32_e64 s[4:5], v29, v15
	v_cmp_lt_f32_e64 s[0:1], v11, v13
	s_and_b64 s[2:3], s[2:3], s[4:5]
	s_or_b64 s[0:1], s[0:1], s[2:3]
	v_cndmask_b32_e64 v29, v15, v29, s[0:1]
	s_and_saveexec_b64 s[4:5], vcc
	s_cbranch_execz .LBB58_14
; %bb.13:                               ;   in Loop: Header=BB58_12 Depth=1
	v_cndmask_b32_e64 v11, v11, v13, s[0:1]
	v_sub_f32_e32 v11, v11, v18
	v_mul_f32_e32 v13, 0x3fb8aa3b, v11
	v_fma_f32 v15, v11, s20, -v13
	v_rndne_f32_e32 v30, v13
	v_fmac_f32_e32 v15, 0x32a5705f, v11
	v_sub_f32_e32 v13, v13, v30
	v_add_f32_e32 v13, v13, v15
	v_exp_f32_e32 v13, v13
	v_cvt_i32_f32_e32 v15, v30
	v_cmp_le_i32_e64 s[0:1], s9, v29
	v_cmp_gt_i32_e64 s[2:3], s10, v29
	s_and_b64 s[2:3], s[0:1], s[2:3]
	v_ldexp_f32 v13, v13, v15
	v_cmp_ngt_f32_e64 s[0:1], s21, v11
	v_ashrrev_i32_e32 v15, 31, v14
	v_cndmask_b32_e64 v13, 0, v13, s[0:1]
	v_cmp_nlt_f32_e64 s[0:1], s23, v11
	v_lshlrev_b64 v[30:31], 2, v[14:15]
	v_cndmask_b32_e64 v32, v27, v13, s[0:1]
	v_mov_b32_e32 v11, s17
	v_add_co_u32_e64 v30, s[0:1], s16, v30
	v_addc_co_u32_e64 v31, s[0:1], v11, v31, s[0:1]
	v_ashrrev_i32_e32 v13, 31, v12
	global_store_dword v[30:31], v32, off
	v_subrev_u32_e32 v11, s9, v29
	s_and_b64 s[0:1], s[18:19], s[2:3]
	v_lshlrev_b64 v[30:31], 2, v[12:13]
	v_cndmask_b32_e64 v11, 32, v11, s[0:1]
	s_waitcnt lgkmcnt(0)
	v_mov_b32_e32 v13, s13
	v_add_co_u32_e64 v30, s[0:1], s12, v30
	v_addc_co_u32_e64 v31, s[0:1], v13, v31, s[0:1]
	global_store_dword v[30:31], v11, off
	v_ashrrev_i32_e32 v11, 31, v10
	v_lshlrev_b64 v[30:31], 2, v[10:11]
	v_mov_b32_e32 v11, s15
	v_add_co_u32_e64 v30, s[0:1], s14, v30
	v_addc_co_u32_e64 v31, s[0:1], v11, v31, s[0:1]
	v_add_f32_e32 v17, v17, v32
	global_store_dword v[30:31], v9, off
.LBB58_14:                              ;   in Loop: Header=BB58_12 Depth=1
	s_or_b64 exec, exec, s[4:5]
	v_ashrrev_i32_e32 v13, 31, v29
	v_lshrrev_b32_e32 v11, 29, v13
	v_add_u32_e32 v11, v29, v11
	v_ashrrev_i32_e32 v11, 3, v11
	v_lshrrev_b32_e32 v15, 30, v11
	v_add_u32_e32 v15, v11, v15
	v_and_b32_e32 v15, -4, v15
	v_sub_u32_e32 v15, v11, v15
	v_cmp_eq_u32_e64 s[0:1], v16, v15
	s_and_saveexec_b64 s[2:3], s[0:1]
	s_cbranch_execz .LBB58_11
; %bb.15:                               ;   in Loop: Header=BB58_12 Depth=1
	v_lshrrev_b32_e32 v13, 27, v13
	v_add_u32_e32 v13, v29, v13
	v_lshlrev_b32_e32 v11, 3, v11
	v_ashrrev_i32_e32 v13, 5, v13
	v_sub_u32_e32 v11, v29, v11
	v_lshl_add_u32 v11, v13, 3, v11
	v_cmp_ne_u32_e64 s[0:1], 7, v11
	v_cndmask_b32_e64 v3, v28, v3, s[0:1]
	v_cmp_ne_u32_e64 s[0:1], 6, v11
	v_cndmask_b32_e64 v2, v28, v2, s[0:1]
	;; [unrolled: 2-line block ×8, first 2 shown]
	s_branch .LBB58_11
.LBB58_16:
	v_sub_f32_e32 v4, v4, v18
	s_mov_b32 s0, 0x3fb8aa3b
	v_mul_f32_e32 v9, 0x3fb8aa3b, v4
	v_fma_f32 v10, v4, s0, -v9
	v_rndne_f32_e32 v11, v9
	v_fmac_f32_e32 v10, 0x32a5705f, v4
	v_sub_f32_e32 v9, v9, v11
	v_add_f32_e32 v9, v9, v10
	v_exp_f32_e32 v9, v9
	v_cvt_i32_f32_e32 v10, v11
	v_sub_f32_e32 v5, v5, v18
	s_mov_b32 s1, 0xc2ce8ed0
	v_cmp_ngt_f32_e32 vcc, s1, v4
	v_ldexp_f32 v9, v9, v10
	v_mul_f32_e32 v10, 0x3fb8aa3b, v5
	v_fma_f32 v11, v5, s0, -v10
	v_rndne_f32_e32 v12, v10
	v_fmac_f32_e32 v11, 0x32a5705f, v5
	v_sub_f32_e32 v10, v10, v12
	v_add_f32_e32 v10, v10, v11
	v_exp_f32_e32 v10, v10
	v_cvt_i32_f32_e32 v11, v12
	s_mov_b32 s2, 0x42b17218
	v_cndmask_b32_e32 v9, 0, v9, vcc
	v_mov_b32_e32 v12, 0x7f800000
	v_cmp_nlt_f32_e32 vcc, s2, v4
	v_sub_f32_e32 v6, v6, v18
	v_cndmask_b32_e32 v4, v12, v9, vcc
	v_ldexp_f32 v9, v10, v11
	v_mul_f32_e32 v10, 0x3fb8aa3b, v6
	v_fma_f32 v11, v6, s0, -v10
	v_rndne_f32_e32 v13, v10
	v_fmac_f32_e32 v11, 0x32a5705f, v6
	v_sub_f32_e32 v10, v10, v13
	v_add_f32_e32 v10, v10, v11
	v_exp_f32_e32 v10, v10
	v_cvt_i32_f32_e32 v11, v13
	v_cmp_ngt_f32_e32 vcc, s1, v5
	v_cndmask_b32_e32 v9, 0, v9, vcc
	v_cmp_nlt_f32_e32 vcc, s2, v5
	v_sub_f32_e32 v7, v7, v18
	v_cndmask_b32_e32 v5, v12, v9, vcc
	v_mul_f32_e32 v9, 0x3fb8aa3b, v7
	v_add_f32_e32 v4, v4, v5
	v_ldexp_f32 v5, v10, v11
	v_fma_f32 v10, v7, s0, -v9
	v_rndne_f32_e32 v11, v9
	v_fmac_f32_e32 v10, 0x32a5705f, v7
	v_sub_f32_e32 v9, v9, v11
	v_add_f32_e32 v9, v9, v10
	v_exp_f32_e32 v9, v9
	v_cvt_i32_f32_e32 v10, v11
	v_cmp_ngt_f32_e32 vcc, s1, v6
	v_cndmask_b32_e32 v5, 0, v5, vcc
	v_cmp_nlt_f32_e32 vcc, s2, v6
	v_sub_f32_e32 v0, v0, v18
	v_cndmask_b32_e32 v5, v12, v5, vcc
	v_mul_f32_e32 v6, 0x3fb8aa3b, v0
	v_add_f32_e32 v4, v4, v5
	v_ldexp_f32 v5, v9, v10
	v_fma_f32 v9, v0, s0, -v6
	v_rndne_f32_e32 v10, v6
	v_fmac_f32_e32 v9, 0x32a5705f, v0
	v_sub_f32_e32 v6, v6, v10
	v_add_f32_e32 v6, v6, v9
	v_exp_f32_e32 v6, v6
	v_cvt_i32_f32_e32 v9, v10
	v_cmp_ngt_f32_e32 vcc, s1, v7
	v_cndmask_b32_e32 v5, 0, v5, vcc
	v_cmp_nlt_f32_e32 vcc, s2, v7
	v_cndmask_b32_e32 v5, v12, v5, vcc
	v_sub_f32_e32 v1, v1, v18
	v_add_f32_e32 v4, v4, v5
	v_ldexp_f32 v5, v6, v9
	v_mul_f32_e32 v6, 0x3fb8aa3b, v1
	v_fma_f32 v7, v1, s0, -v6
	v_rndne_f32_e32 v9, v6
	v_fmac_f32_e32 v7, 0x32a5705f, v1
	v_sub_f32_e32 v6, v6, v9
	v_add_f32_e32 v6, v6, v7
	v_exp_f32_e32 v6, v6
	v_cvt_i32_f32_e32 v7, v9
	v_cmp_ngt_f32_e32 vcc, s1, v0
	v_cndmask_b32_e32 v5, 0, v5, vcc
	v_cmp_nlt_f32_e32 vcc, s2, v0
	v_sub_f32_e32 v2, v2, v18
	v_cndmask_b32_e32 v0, v12, v5, vcc
	v_mul_f32_e32 v5, 0x3fb8aa3b, v2
	v_add_f32_e32 v0, v4, v0
	v_ldexp_f32 v4, v6, v7
	v_fma_f32 v6, v2, s0, -v5
	v_rndne_f32_e32 v7, v5
	v_fmac_f32_e32 v6, 0x32a5705f, v2
	v_sub_f32_e32 v5, v5, v7
	v_add_f32_e32 v5, v5, v6
	v_exp_f32_e32 v5, v5
	v_cvt_i32_f32_e32 v6, v7
	v_cmp_ngt_f32_e32 vcc, s1, v1
	v_cndmask_b32_e32 v4, 0, v4, vcc
	v_cmp_nlt_f32_e32 vcc, s2, v1
	v_sub_f32_e32 v3, v3, v18
	v_cndmask_b32_e32 v1, v12, v4, vcc
	v_mul_f32_e32 v4, 0x3fb8aa3b, v3
	v_add_f32_e32 v0, v0, v1
	v_ldexp_f32 v1, v5, v6
	v_fma_f32 v5, v3, s0, -v4
	v_rndne_f32_e32 v6, v4
	v_fmac_f32_e32 v5, 0x32a5705f, v3
	v_sub_f32_e32 v4, v4, v6
	v_add_f32_e32 v4, v4, v5
	v_exp_f32_e32 v4, v4
	v_cvt_i32_f32_e32 v5, v6
	v_cmp_ngt_f32_e32 vcc, s1, v2
	v_cndmask_b32_e32 v1, 0, v1, vcc
	v_cmp_nlt_f32_e32 vcc, s2, v2
	v_cndmask_b32_e32 v1, v12, v1, vcc
	v_add_f32_e32 v0, v0, v1
	v_ldexp_f32 v1, v4, v5
	v_cmp_ngt_f32_e32 vcc, s1, v3
	v_cndmask_b32_e32 v1, 0, v1, vcc
	v_cmp_nlt_f32_e32 vcc, s2, v3
	v_cndmask_b32_e32 v1, v12, v1, vcc
	v_add_f32_e32 v0, v0, v1
	v_cmp_eq_u32_e32 vcc, 0, v16
	s_nop 0
	v_mov_b32_dpp v1, v0 quad_perm:[1,0,3,2] row_mask:0xf bank_mask:0xf
	v_add_f32_e32 v0, v0, v1
	s_nop 1
	v_mov_b32_dpp v1, v0 quad_perm:[2,3,0,1] row_mask:0xf bank_mask:0xf
	s_and_b64 exec, exec, vcc
	s_cbranch_execz .LBB58_29
; %bb.17:
	v_add_f32_e32 v0, v0, v1
	v_add_f32_e32 v0, v17, v0
	v_cmp_neq_f32_e32 vcc, 0, v0
	s_and_b64 exec, exec, vcc
	s_cbranch_execz .LBB58_29
; %bb.18:
	s_andn2_b64 vcc, exec, s[6:7]
	s_cbranch_vccnz .LBB58_29
; %bb.19:
	v_div_scale_f32 v1, s[0:1], v0, v0, 1.0
	v_rcp_f32_e32 v2, v1
	v_div_scale_f32 v3, vcc, 1.0, v0, 1.0
	s_cmp_gt_u32 s8, 3
	v_fma_f32 v4, -v1, v2, 1.0
	v_fmac_f32_e32 v2, v4, v2
	v_mul_f32_e32 v4, v3, v2
	v_fma_f32 v5, -v1, v4, v3
	v_fmac_f32_e32 v4, v5, v2
	v_fma_f32 v1, -v1, v4, v3
	v_div_fmas_f32 v1, v1, v2, v4
	v_div_fixup_f32 v0, v1, v0, 1.0
	v_ashrrev_i32_e32 v9, 31, v8
	s_cbranch_scc0 .LBB58_23
; %bb.20:
	v_lshlrev_b64 v[2:3], 2, v[8:9]
	v_mov_b32_e32 v4, s17
	v_add_co_u32_e32 v2, vcc, s16, v2
	v_addc_co_u32_e32 v3, vcc, v3, v4, vcc
	s_and_b32 s4, s8, 0x7ffffffc
	v_add_co_u32_e32 v2, vcc, 8, v2
	v_mov_b32_e32 v1, v0
	v_addc_co_u32_e32 v3, vcc, 0, v3, vcc
	s_mov_b32 s0, s4
.LBB58_21:                              ; =>This Inner Loop Header: Depth=1
	global_load_dwordx4 v[4:7], v[2:3], off offset:-8
	s_add_i32 s0, s0, -4
	s_cmp_lg_u32 s0, 0
	s_waitcnt vmcnt(0)
	v_pk_mul_f32 v[4:5], v[0:1], v[4:5]
	v_pk_mul_f32 v[6:7], v[0:1], v[6:7]
	global_store_dwordx4 v[2:3], v[4:7], off offset:-8
	v_add_co_u32_e32 v2, vcc, 16, v2
	v_addc_co_u32_e32 v3, vcc, 0, v3, vcc
	s_cbranch_scc1 .LBB58_21
; %bb.22:
	s_cmp_lg_u32 s4, s8
	s_mov_b64 s[2:3], 0
	s_cselect_b64 s[0:1], -1, 0
	s_branch .LBB58_24
.LBB58_23:
	s_mov_b64 s[2:3], -1
	s_mov_b64 s[0:1], 0
                                        ; implicit-def: $sgpr4
.LBB58_24:
	s_and_b64 vcc, exec, s[2:3]
	s_cbranch_vccz .LBB58_26
; %bb.25:
	s_mov_b64 s[0:1], -1
	s_mov_b32 s4, 0
.LBB58_26:
	s_andn2_b64 vcc, exec, s[0:1]
	s_cbranch_vccnz .LBB58_29
; %bb.27:
	v_add_co_u32_e32 v2, vcc, s4, v8
	v_addc_co_u32_e32 v3, vcc, 0, v9, vcc
	v_lshlrev_b64 v[2:3], 2, v[2:3]
	v_mov_b32_e32 v1, s17
	v_add_co_u32_e32 v2, vcc, s16, v2
	s_sub_i32 s0, s8, s4
	v_addc_co_u32_e32 v3, vcc, v1, v3, vcc
.LBB58_28:                              ; =>This Inner Loop Header: Depth=1
	global_load_dword v1, v[2:3], off
	s_add_i32 s0, s0, -1
	s_cmp_lg_u32 s0, 0
	s_waitcnt vmcnt(0)
	v_mul_f32_e32 v1, v0, v1
	global_store_dword v[2:3], v1, off
	v_add_co_u32_e32 v2, vcc, 4, v2
	v_addc_co_u32_e32 v3, vcc, 0, v3, vcc
	s_cbranch_scc1 .LBB58_28
.LBB58_29:
	s_endpgm
	.section	.rodata,"a",@progbits
	.p2align	6, 0x0
	.amdhsa_kernel _ZN4vllm3moe17topkGatingSoftmaxIfLi8ELi32ELi8ELi32ELb0ELi4ELNS0_23SharedExpertScoringFuncE1EEEvPKT_PKbPfiPiS9_iiiiii
		.amdhsa_group_segment_fixed_size 0
		.amdhsa_private_segment_fixed_size 0
		.amdhsa_kernarg_size 72
		.amdhsa_user_sgpr_count 6
		.amdhsa_user_sgpr_private_segment_buffer 1
		.amdhsa_user_sgpr_dispatch_ptr 0
		.amdhsa_user_sgpr_queue_ptr 0
		.amdhsa_user_sgpr_kernarg_segment_ptr 1
		.amdhsa_user_sgpr_dispatch_id 0
		.amdhsa_user_sgpr_flat_scratch_init 0
		.amdhsa_user_sgpr_kernarg_preload_length 0
		.amdhsa_user_sgpr_kernarg_preload_offset 0
		.amdhsa_user_sgpr_private_segment_size 0
		.amdhsa_uses_dynamic_stack 0
		.amdhsa_system_sgpr_private_segment_wavefront_offset 0
		.amdhsa_system_sgpr_workgroup_id_x 1
		.amdhsa_system_sgpr_workgroup_id_y 0
		.amdhsa_system_sgpr_workgroup_id_z 0
		.amdhsa_system_sgpr_workgroup_info 0
		.amdhsa_system_vgpr_workitem_id 1
		.amdhsa_next_free_vgpr 34
		.amdhsa_next_free_sgpr 24
		.amdhsa_accum_offset 36
		.amdhsa_reserve_vcc 1
		.amdhsa_reserve_flat_scratch 0
		.amdhsa_float_round_mode_32 0
		.amdhsa_float_round_mode_16_64 0
		.amdhsa_float_denorm_mode_32 3
		.amdhsa_float_denorm_mode_16_64 3
		.amdhsa_dx10_clamp 1
		.amdhsa_ieee_mode 1
		.amdhsa_fp16_overflow 0
		.amdhsa_tg_split 0
		.amdhsa_exception_fp_ieee_invalid_op 0
		.amdhsa_exception_fp_denorm_src 0
		.amdhsa_exception_fp_ieee_div_zero 0
		.amdhsa_exception_fp_ieee_overflow 0
		.amdhsa_exception_fp_ieee_underflow 0
		.amdhsa_exception_fp_ieee_inexact 0
		.amdhsa_exception_int_div_zero 0
	.end_amdhsa_kernel
	.section	.text._ZN4vllm3moe17topkGatingSoftmaxIfLi8ELi32ELi8ELi32ELb0ELi4ELNS0_23SharedExpertScoringFuncE1EEEvPKT_PKbPfiPiS9_iiiiii,"axG",@progbits,_ZN4vllm3moe17topkGatingSoftmaxIfLi8ELi32ELi8ELi32ELb0ELi4ELNS0_23SharedExpertScoringFuncE1EEEvPKT_PKbPfiPiS9_iiiiii,comdat
.Lfunc_end58:
	.size	_ZN4vllm3moe17topkGatingSoftmaxIfLi8ELi32ELi8ELi32ELb0ELi4ELNS0_23SharedExpertScoringFuncE1EEEvPKT_PKbPfiPiS9_iiiiii, .Lfunc_end58-_ZN4vllm3moe17topkGatingSoftmaxIfLi8ELi32ELi8ELi32ELb0ELi4ELNS0_23SharedExpertScoringFuncE1EEEvPKT_PKbPfiPiS9_iiiiii
                                        ; -- End function
	.section	.AMDGPU.csdata,"",@progbits
; Kernel info:
; codeLenInByte = 3208
; NumSgprs: 28
; NumVgprs: 34
; NumAgprs: 0
; TotalNumVgprs: 34
; ScratchSize: 0
; MemoryBound: 0
; FloatMode: 240
; IeeeMode: 1
; LDSByteSize: 0 bytes/workgroup (compile time only)
; SGPRBlocks: 3
; VGPRBlocks: 4
; NumSGPRsForWavesPerEU: 28
; NumVGPRsForWavesPerEU: 34
; AccumOffset: 36
; Occupancy: 8
; WaveLimiterHint : 0
; COMPUTE_PGM_RSRC2:SCRATCH_EN: 0
; COMPUTE_PGM_RSRC2:USER_SGPR: 6
; COMPUTE_PGM_RSRC2:TRAP_HANDLER: 0
; COMPUTE_PGM_RSRC2:TGID_X_EN: 1
; COMPUTE_PGM_RSRC2:TGID_Y_EN: 0
; COMPUTE_PGM_RSRC2:TGID_Z_EN: 0
; COMPUTE_PGM_RSRC2:TIDIG_COMP_CNT: 1
; COMPUTE_PGM_RSRC3_GFX90A:ACCUM_OFFSET: 8
; COMPUTE_PGM_RSRC3_GFX90A:TG_SPLIT: 0
	.section	.text._ZN4vllm3moe17topkGatingSoftmaxIfLi8ELi32ELi8ELi32ELb1ELi8ELNS0_23SharedExpertScoringFuncE1EEEvPKT_PKbPfiPiS9_iiiiii,"axG",@progbits,_ZN4vllm3moe17topkGatingSoftmaxIfLi8ELi32ELi8ELi32ELb1ELi8ELNS0_23SharedExpertScoringFuncE1EEEvPKT_PKbPfiPiS9_iiiiii,comdat
	.protected	_ZN4vllm3moe17topkGatingSoftmaxIfLi8ELi32ELi8ELi32ELb1ELi8ELNS0_23SharedExpertScoringFuncE1EEEvPKT_PKbPfiPiS9_iiiiii ; -- Begin function _ZN4vllm3moe17topkGatingSoftmaxIfLi8ELi32ELi8ELi32ELb1ELi8ELNS0_23SharedExpertScoringFuncE1EEEvPKT_PKbPfiPiS9_iiiiii
	.globl	_ZN4vllm3moe17topkGatingSoftmaxIfLi8ELi32ELi8ELi32ELb1ELi8ELNS0_23SharedExpertScoringFuncE1EEEvPKT_PKbPfiPiS9_iiiiii
	.p2align	8
	.type	_ZN4vllm3moe17topkGatingSoftmaxIfLi8ELi32ELi8ELi32ELb1ELi8ELNS0_23SharedExpertScoringFuncE1EEEvPKT_PKbPfiPiS9_iiiiii,@function
_ZN4vllm3moe17topkGatingSoftmaxIfLi8ELi32ELi8ELi32ELb1ELi8ELNS0_23SharedExpertScoringFuncE1EEEvPKT_PKbPfiPiS9_iiiiii: ; @_ZN4vllm3moe17topkGatingSoftmaxIfLi8ELi32ELi8ELi32ELb1ELi8ELNS0_23SharedExpertScoringFuncE1EEEvPKT_PKbPfiPiS9_iiiiii
; %bb.0:
	s_load_dword s24, s[4:5], 0x18
	v_bfe_u32 v1, v0, 10, 10
	v_and_b32_e32 v0, 0x3ff, v0
	s_lshl_b32 s25, s6, 7
	v_lshlrev_b32_e32 v14, 4, v1
	v_lshrrev_b32_e32 v15, 2, v0
	v_add3_u32 v26, s25, v14, v15
	s_waitcnt lgkmcnt(0)
	v_cmp_gt_i32_e32 vcc, s24, v26
	s_and_saveexec_b64 s[0:1], vcc
	s_cbranch_execz .LBB59_30
; %bb.1:
	s_load_dwordx4 s[0:3], s[4:5], 0x0
	s_load_dwordx2 s[16:17], s[4:5], 0x10
	s_mov_b64 s[6:7], 0
	s_waitcnt lgkmcnt(0)
	s_cmp_eq_u64 s[2:3], 0
	s_cbranch_scc1 .LBB59_3
; %bb.2:
	v_ashrrev_i32_e32 v1, 31, v26
	v_mov_b32_e32 v3, s3
	v_add_co_u32_e32 v2, vcc, s2, v26
	v_addc_co_u32_e32 v3, vcc, v3, v1, vcc
	global_load_ubyte v1, v[2:3], off
	s_waitcnt vmcnt(0)
	v_and_b32_e32 v1, 1, v1
	v_cmp_eq_u32_e32 vcc, 1, v1
	s_xor_b64 s[2:3], vcc, -1
	s_orn2_b64 s[18:19], s[2:3], exec
	s_branch .LBB59_4
.LBB59_3:
	s_mov_b64 s[18:19], -1
.LBB59_4:
	s_load_dwordx2 s[22:23], s[4:5], 0x40
	s_load_dwordx4 s[8:11], s[4:5], 0x30
	v_mov_b32_e32 v1, s1
	v_and_b32_e32 v16, 3, v0
	v_lshlrev_b32_e32 v0, 5, v16
	s_waitcnt lgkmcnt(0)
	v_mul_lo_u32 v2, v26, s23
	v_ashrrev_i32_e32 v3, 31, v2
	v_lshlrev_b64 v[10:11], 2, v[2:3]
	v_add_co_u32_e32 v2, vcc, s0, v10
	v_addc_co_u32_e32 v1, vcc, v1, v11, vcc
	v_add_co_u32_e32 v8, vcc, v2, v0
	v_addc_co_u32_e32 v9, vcc, 0, v1, vcc
	global_load_dwordx4 v[0:3], v[8:9], off offset:16
	global_load_dwordx4 v[4:7], v[8:9], off
	v_lshlrev_b32_e32 v12, 2, v16
	v_add_co_u32_e32 v10, vcc, v10, v12
	v_addc_co_u32_e32 v11, vcc, 0, v11, vcc
	v_mov_b32_e32 v12, s1
	v_add_co_u32_e32 v10, vcc, s0, v10
	v_addc_co_u32_e32 v11, vcc, v11, v12, vcc
	s_movk_i32 s0, 0x80
	v_mul_lo_u32 v8, v26, s11
	v_add_co_u32_e32 v10, vcc, s0, v10
	v_lshlrev_b32_e32 v17, 3, v16
	v_add_u32_e32 v9, s8, v8
	v_addc_co_u32_e32 v11, vcc, 0, v11, vcc
	s_mov_b32 s0, 0xbfb8aa3b
	s_mov_b32 s1, 0x42ce8ed0
	;; [unrolled: 1-line block ×3, first 2 shown]
	v_mov_b32_e32 v12, 0x7f800000
	v_mov_b32_e32 v13, s17
	;; [unrolled: 1-line block ×3, first 2 shown]
.LBB59_5:                               ; =>This Inner Loop Header: Depth=1
	global_load_dword v19, v[10:11], off
	v_add_co_u32_e32 v10, vcc, 16, v10
	v_add_u32_e32 v22, 4, v18
	v_addc_co_u32_e32 v11, vcc, 0, v11, vcc
	v_add_u32_e32 v20, v9, v18
	v_cmp_lt_u32_e32 vcc, 3, v18
	v_mov_b32_e32 v18, v22
	v_ashrrev_i32_e32 v21, 31, v20
	v_lshlrev_b64 v[20:21], 2, v[20:21]
	s_or_b64 s[6:7], vcc, s[6:7]
	v_add_co_u32_e32 v20, vcc, s16, v20
	v_addc_co_u32_e32 v21, vcc, v13, v21, vcc
	s_waitcnt vmcnt(0)
	v_mul_f32_e32 v22, 0xbfb8aa3b, v19
	v_rndne_f32_e32 v23, v22
	v_fma_f32 v24, v19, s0, -v22
	v_sub_f32_e32 v22, v22, v23
	v_fmac_f32_e32 v24, 0xb2a5705f, v19
	v_add_f32_e32 v22, v22, v24
	v_cvt_i32_f32_e32 v23, v23
	v_exp_f32_e32 v22, v22
	v_cmp_nlt_f32_e32 vcc, s1, v19
	v_ldexp_f32 v22, v22, v23
	v_cndmask_b32_e32 v22, 0, v22, vcc
	v_cmp_ngt_f32_e32 vcc, s2, v19
	v_cndmask_b32_e32 v19, v12, v22, vcc
	v_add_f32_e32 v19, 1.0, v19
	v_div_scale_f32 v22, s[12:13], v19, v19, 1.0
	v_rcp_f32_e32 v23, v22
	v_div_scale_f32 v24, vcc, 1.0, v19, 1.0
	v_fma_f32 v25, -v22, v23, 1.0
	v_fmac_f32_e32 v23, v25, v23
	v_mul_f32_e32 v25, v24, v23
	v_fma_f32 v27, -v22, v25, v24
	v_fmac_f32_e32 v25, v27, v23
	v_fma_f32 v22, -v22, v25, v24
	v_div_fmas_f32 v22, v22, v23, v25
	v_div_fixup_f32 v19, v22, v19, 1.0
	global_store_dword v[20:21], v19, off
	s_andn2_b64 exec, exec, s[6:7]
	s_cbranch_execnz .LBB59_5
; %bb.6:
	s_or_b64 exec, exec, s[6:7]
	v_cmp_lt_f32_e32 vcc, v4, v5
	v_or_b32_e32 v18, 1, v17
	v_cndmask_b32_e32 v10, v4, v5, vcc
	v_cndmask_b32_e32 v9, v17, v18, vcc
	v_cmp_lt_f32_e32 vcc, v10, v6
	v_or_b32_e32 v19, 2, v17
	v_cndmask_b32_e32 v10, v10, v6, vcc
	v_cndmask_b32_e32 v9, v9, v19, vcc
	;; [unrolled: 4-line block ×6, first 2 shown]
	v_or_b32_e32 v24, 7, v17
	v_cmp_lt_f32_e32 vcc, v10, v3
	v_cndmask_b32_e32 v11, v9, v24, vcc
	v_cndmask_b32_e32 v9, v10, v3, vcc
	s_nop 0
	v_mov_b32_dpp v10, v11 quad_perm:[1,0,3,2] row_mask:0xf bank_mask:0xf
	v_mov_b32_dpp v12, v9 quad_perm:[1,0,3,2] row_mask:0xf bank_mask:0xf
	v_cmp_eq_f32_e64 s[0:1], v9, v12
	v_cmp_lt_i32_e64 s[2:3], v10, v11
	v_cmp_lt_f32_e32 vcc, v9, v12
	s_and_b64 s[0:1], s[0:1], s[2:3]
	s_or_b64 vcc, vcc, s[0:1]
	s_cmp_gt_i32 s8, 0
	v_cndmask_b32_e32 v9, v9, v12, vcc
	v_cndmask_b32_e32 v11, v11, v10, vcc
	s_cselect_b64 s[20:21], -1, 0
	v_mov_b32_dpp v10, v9 quad_perm:[2,3,0,1] row_mask:0xf bank_mask:0xf
	v_mov_b32_dpp v12, v11 quad_perm:[2,3,0,1] row_mask:0xf bank_mask:0xf
	s_and_b64 vcc, exec, s[20:21]
	v_cmp_eq_u32_e64 s[0:1], 0, v16
	s_cbranch_vccz .LBB59_18
; %bb.7:
	s_load_dwordx4 s[12:15], s[4:5], 0x20
	v_cmp_eq_f32_e64 s[2:3], v9, v10
	v_cmp_lt_i32_e64 s[6:7], v12, v11
	v_cmp_lt_f32_e32 vcc, v9, v10
	s_and_b64 s[2:3], s[2:3], s[6:7]
	s_or_b64 vcc, vcc, s[2:3]
	v_cndmask_b32_e32 v28, v11, v12, vcc
	v_cndmask_b32_e32 v27, v9, v10, vcc
	v_mul_lo_u32 v12, v26, s22
	v_mul_lo_u32 v10, v26, s8
	v_mov_b32_e32 v25, 0
	s_and_saveexec_b64 s[4:5], s[0:1]
	s_cbranch_execz .LBB59_9
; %bb.8:
	v_sub_f32_e32 v9, v27, v27
	v_mul_f32_e32 v11, 0x3fb8aa3b, v9
	s_mov_b32 s2, 0x3fb8aa3b
	v_rndne_f32_e32 v13, v11
	v_sub_f32_e32 v25, v11, v13
	v_fma_f32 v11, v9, s2, -v11
	v_fmac_f32_e32 v11, 0x32a5705f, v9
	v_add_f32_e32 v11, v25, v11
	v_exp_f32_e32 v11, v11
	v_cvt_i32_f32_e32 v13, v13
	v_cmp_le_i32_e32 vcc, s9, v28
	v_cmp_gt_i32_e64 s[2:3], s10, v28
	s_mov_b32 s6, 0xc2ce8ed0
	s_and_b64 s[2:3], vcc, s[2:3]
	v_ldexp_f32 v11, v11, v13
	v_cmp_ngt_f32_e32 vcc, s6, v9
	s_mov_b32 s6, 0x42b17218
	v_cndmask_b32_e32 v11, 0, v11, vcc
	v_cmp_nlt_f32_e32 vcc, s6, v9
	v_ashrrev_i32_e32 v9, 31, v8
	v_mov_b32_e32 v13, 0x7f800000
	v_lshlrev_b64 v[30:31], 2, v[8:9]
	v_cndmask_b32_e32 v25, v13, v11, vcc
	v_mov_b32_e32 v9, s17
	v_add_co_u32_e32 v30, vcc, s16, v30
	v_addc_co_u32_e32 v31, vcc, v9, v31, vcc
	v_ashrrev_i32_e32 v13, 31, v12
	global_store_dword v[30:31], v25, off
	v_subrev_u32_e32 v9, s9, v28
	s_and_b64 vcc, s[18:19], s[2:3]
	v_lshlrev_b64 v[30:31], 2, v[12:13]
	v_cndmask_b32_e32 v9, 32, v9, vcc
	s_waitcnt lgkmcnt(0)
	v_mov_b32_e32 v11, s13
	v_add_co_u32_e32 v30, vcc, s12, v30
	v_addc_co_u32_e32 v31, vcc, v11, v31, vcc
	v_ashrrev_i32_e32 v11, 31, v10
	global_store_dword v[30:31], v9, off
	v_lshlrev_b64 v[30:31], 2, v[10:11]
	v_mov_b32_e32 v9, s15
	v_add_co_u32_e32 v30, vcc, s14, v30
	v_addc_co_u32_e32 v31, vcc, v9, v31, vcc
	global_store_dword v[30:31], v26, off
.LBB59_9:
	s_or_b64 exec, exec, s[4:5]
	v_ashrrev_i32_e32 v11, 31, v28
	v_lshrrev_b32_e32 v9, 29, v11
	v_add_u32_e32 v9, v28, v9
	v_ashrrev_i32_e32 v9, 3, v9
	v_lshrrev_b32_e32 v13, 30, v9
	v_add_u32_e32 v13, v9, v13
	v_and_b32_e32 v13, -4, v13
	v_sub_u32_e32 v13, v9, v13
	v_cmp_eq_u32_e32 vcc, v16, v13
	s_and_saveexec_b64 s[2:3], vcc
	s_cbranch_execz .LBB59_11
; %bb.10:
	v_lshrrev_b32_e32 v11, 27, v11
	v_add_u32_e32 v11, v28, v11
	v_lshlrev_b32_e32 v9, 3, v9
	v_ashrrev_i32_e32 v11, 5, v11
	v_sub_u32_e32 v9, v28, v9
	v_lshl_add_u32 v9, v11, 3, v9
	v_mov_b32_e32 v11, 0xff800000
	v_cmp_ne_u32_e32 vcc, 7, v9
	v_cndmask_b32_e32 v3, v11, v3, vcc
	v_cmp_ne_u32_e32 vcc, 6, v9
	v_cndmask_b32_e32 v2, v11, v2, vcc
	v_cmp_ne_u32_e32 vcc, 5, v9
	v_cndmask_b32_e32 v1, v11, v1, vcc
	v_cmp_ne_u32_e32 vcc, 4, v9
	v_cndmask_b32_e32 v0, v11, v0, vcc
	v_cmp_ne_u32_e32 vcc, 3, v9
	v_cndmask_b32_e32 v7, v11, v7, vcc
	v_cmp_ne_u32_e32 vcc, 2, v9
	v_cndmask_b32_e32 v6, v11, v6, vcc
	v_cmp_ne_u32_e32 vcc, 1, v9
	v_cndmask_b32_e32 v5, v11, v5, vcc
	v_cmp_ne_u32_e32 vcc, 0, v9
	v_cndmask_b32_e32 v4, v11, v4, vcc
.LBB59_11:
	s_or_b64 exec, exec, s[2:3]
	s_cmp_eq_u32 s8, 1
	s_cbranch_scc1 .LBB59_19
; %bb.12:
	s_add_i32 s25, s25, s24
	s_add_i32 s6, s8, -1
	v_add3_u32 v9, s25, v15, v14
	v_add_u32_e32 v10, 1, v10
	v_add_u32_e32 v12, 1, v12
	;; [unrolled: 1-line block ×3, first 2 shown]
	s_mov_b32 s7, 0x3fb8aa3b
	s_mov_b32 s11, 0xc2ce8ed0
	;; [unrolled: 1-line block ×3, first 2 shown]
	v_mov_b32_e32 v26, 0x7f800000
	v_mov_b32_e32 v28, 0xff800000
	s_branch .LBB59_14
.LBB59_13:                              ;   in Loop: Header=BB59_14 Depth=1
	s_or_b64 exec, exec, s[2:3]
	s_add_i32 s6, s6, -1
	v_add_u32_e32 v9, s24, v9
	v_add_u32_e32 v10, 1, v10
	;; [unrolled: 1-line block ×3, first 2 shown]
	s_cmp_eq_u32 s6, 0
	v_add_u32_e32 v14, 1, v14
	s_cbranch_scc1 .LBB59_19
.LBB59_14:                              ; =>This Inner Loop Header: Depth=1
	v_cmp_gt_f32_e32 vcc, v5, v4
	v_cndmask_b32_e32 v13, v4, v5, vcc
	v_cndmask_b32_e32 v11, v17, v18, vcc
	v_cmp_gt_f32_e32 vcc, v6, v13
	v_cndmask_b32_e32 v13, v13, v6, vcc
	v_cndmask_b32_e32 v11, v11, v19, vcc
	;; [unrolled: 3-line block ×7, first 2 shown]
	s_nop 0
	v_mov_b32_dpp v13, v15 quad_perm:[1,0,3,2] row_mask:0xf bank_mask:0xf
	v_mov_b32_dpp v29, v11 quad_perm:[1,0,3,2] row_mask:0xf bank_mask:0xf
	v_cmp_eq_f32_e64 s[2:3], v11, v29
	v_cmp_lt_i32_e64 s[4:5], v13, v15
	v_cmp_lt_f32_e32 vcc, v11, v29
	s_and_b64 s[2:3], s[2:3], s[4:5]
	s_or_b64 vcc, vcc, s[2:3]
	v_cndmask_b32_e32 v11, v11, v29, vcc
	v_cndmask_b32_e32 v15, v15, v13, vcc
	s_nop 0
	v_mov_b32_dpp v13, v11 quad_perm:[2,3,0,1] row_mask:0xf bank_mask:0xf
	v_mov_b32_dpp v29, v15 quad_perm:[2,3,0,1] row_mask:0xf bank_mask:0xf
	v_cmp_eq_f32_e64 s[2:3], v11, v13
	v_cmp_lt_i32_e64 s[4:5], v29, v15
	v_cmp_lt_f32_e32 vcc, v11, v13
	s_and_b64 s[2:3], s[2:3], s[4:5]
	s_or_b64 vcc, vcc, s[2:3]
	v_cndmask_b32_e32 v29, v15, v29, vcc
	s_and_saveexec_b64 s[4:5], s[0:1]
	s_cbranch_execz .LBB59_16
; %bb.15:                               ;   in Loop: Header=BB59_14 Depth=1
	v_cndmask_b32_e32 v11, v11, v13, vcc
	v_sub_f32_e32 v11, v11, v27
	v_mul_f32_e32 v13, 0x3fb8aa3b, v11
	v_fma_f32 v15, v11, s7, -v13
	v_rndne_f32_e32 v30, v13
	v_fmac_f32_e32 v15, 0x32a5705f, v11
	v_sub_f32_e32 v13, v13, v30
	v_add_f32_e32 v13, v13, v15
	v_exp_f32_e32 v13, v13
	v_cvt_i32_f32_e32 v15, v30
	v_cmp_le_i32_e32 vcc, s9, v29
	v_cmp_gt_i32_e64 s[2:3], s10, v29
	s_and_b64 s[2:3], vcc, s[2:3]
	v_ldexp_f32 v13, v13, v15
	v_cmp_ngt_f32_e32 vcc, s11, v11
	v_ashrrev_i32_e32 v15, 31, v14
	v_cndmask_b32_e32 v13, 0, v13, vcc
	v_cmp_nlt_f32_e32 vcc, s22, v11
	v_lshlrev_b64 v[30:31], 2, v[14:15]
	v_cndmask_b32_e32 v32, v26, v13, vcc
	v_mov_b32_e32 v11, s17
	v_add_co_u32_e32 v30, vcc, s16, v30
	v_addc_co_u32_e32 v31, vcc, v11, v31, vcc
	v_ashrrev_i32_e32 v13, 31, v12
	global_store_dword v[30:31], v32, off
	v_subrev_u32_e32 v11, s9, v29
	s_and_b64 vcc, s[18:19], s[2:3]
	v_lshlrev_b64 v[30:31], 2, v[12:13]
	v_cndmask_b32_e32 v11, 32, v11, vcc
	s_waitcnt lgkmcnt(0)
	v_mov_b32_e32 v13, s13
	v_add_co_u32_e32 v30, vcc, s12, v30
	v_addc_co_u32_e32 v31, vcc, v13, v31, vcc
	global_store_dword v[30:31], v11, off
	v_ashrrev_i32_e32 v11, 31, v10
	v_lshlrev_b64 v[30:31], 2, v[10:11]
	v_mov_b32_e32 v11, s15
	v_add_co_u32_e32 v30, vcc, s14, v30
	v_addc_co_u32_e32 v31, vcc, v11, v31, vcc
	v_add_f32_e32 v25, v25, v32
	global_store_dword v[30:31], v9, off
.LBB59_16:                              ;   in Loop: Header=BB59_14 Depth=1
	s_or_b64 exec, exec, s[4:5]
	v_ashrrev_i32_e32 v13, 31, v29
	v_lshrrev_b32_e32 v11, 29, v13
	v_add_u32_e32 v11, v29, v11
	v_ashrrev_i32_e32 v11, 3, v11
	v_lshrrev_b32_e32 v15, 30, v11
	v_add_u32_e32 v15, v11, v15
	v_and_b32_e32 v15, -4, v15
	v_sub_u32_e32 v15, v11, v15
	v_cmp_eq_u32_e32 vcc, v16, v15
	s_and_saveexec_b64 s[2:3], vcc
	s_cbranch_execz .LBB59_13
; %bb.17:                               ;   in Loop: Header=BB59_14 Depth=1
	v_lshrrev_b32_e32 v13, 27, v13
	v_add_u32_e32 v13, v29, v13
	v_lshlrev_b32_e32 v11, 3, v11
	v_ashrrev_i32_e32 v13, 5, v13
	v_sub_u32_e32 v11, v29, v11
	v_lshl_add_u32 v11, v13, 3, v11
	v_cmp_ne_u32_e32 vcc, 7, v11
	v_cndmask_b32_e32 v3, v28, v3, vcc
	v_cmp_ne_u32_e32 vcc, 6, v11
	v_cndmask_b32_e32 v2, v28, v2, vcc
	;; [unrolled: 2-line block ×8, first 2 shown]
	s_branch .LBB59_13
.LBB59_18:
	v_mov_b32_e32 v25, 0
.LBB59_19:
	v_cmp_eq_u32_e32 vcc, 0, v16
	v_cmp_neq_f32_e64 s[0:1], 0, v25
	s_and_b64 s[0:1], vcc, s[0:1]
	s_and_b64 exec, exec, s[0:1]
	s_cbranch_execz .LBB59_30
; %bb.20:
	s_andn2_b64 vcc, exec, s[20:21]
	s_cbranch_vccnz .LBB59_30
; %bb.21:
	v_div_scale_f32 v0, s[0:1], v25, v25, 1.0
	v_rcp_f32_e32 v1, v0
	v_div_scale_f32 v2, vcc, 1.0, v25, 1.0
	s_cmp_gt_u32 s8, 3
	v_fma_f32 v3, -v0, v1, 1.0
	v_fmac_f32_e32 v1, v3, v1
	v_mul_f32_e32 v3, v2, v1
	v_fma_f32 v4, -v0, v3, v2
	v_fmac_f32_e32 v3, v4, v1
	v_fma_f32 v0, -v0, v3, v2
	v_div_fmas_f32 v0, v0, v1, v3
	v_div_fixup_f32 v0, v0, v25, 1.0
	v_ashrrev_i32_e32 v9, 31, v8
	s_cbranch_scc0 .LBB59_25
; %bb.22:
	v_lshlrev_b64 v[2:3], 2, v[8:9]
	v_mov_b32_e32 v4, s17
	v_add_co_u32_e32 v2, vcc, s16, v2
	v_addc_co_u32_e32 v3, vcc, v3, v4, vcc
	s_and_b32 s4, s8, 0x7ffffffc
	v_add_co_u32_e32 v2, vcc, 8, v2
	v_mov_b32_e32 v1, v0
	v_addc_co_u32_e32 v3, vcc, 0, v3, vcc
	s_mov_b32 s0, s4
.LBB59_23:                              ; =>This Inner Loop Header: Depth=1
	global_load_dwordx4 v[4:7], v[2:3], off offset:-8
	s_add_i32 s0, s0, -4
	s_cmp_lg_u32 s0, 0
	s_waitcnt vmcnt(0)
	v_pk_mul_f32 v[4:5], v[0:1], v[4:5]
	v_pk_mul_f32 v[6:7], v[0:1], v[6:7]
	global_store_dwordx4 v[2:3], v[4:7], off offset:-8
	v_add_co_u32_e32 v2, vcc, 16, v2
	v_addc_co_u32_e32 v3, vcc, 0, v3, vcc
	s_cbranch_scc1 .LBB59_23
; %bb.24:
	s_cmp_lg_u32 s4, s8
	s_cselect_b64 s[0:1], -1, 0
	s_branch .LBB59_27
.LBB59_25:
	s_mov_b64 s[0:1], 0
                                        ; implicit-def: $sgpr4
	s_cbranch_execz .LBB59_27
; %bb.26:
	s_mov_b64 s[0:1], -1
	s_mov_b32 s4, 0
.LBB59_27:
	s_andn2_b64 vcc, exec, s[0:1]
	s_cbranch_vccnz .LBB59_30
; %bb.28:
	v_add_co_u32_e32 v2, vcc, s4, v8
	v_addc_co_u32_e32 v3, vcc, 0, v9, vcc
	v_lshlrev_b64 v[2:3], 2, v[2:3]
	v_mov_b32_e32 v1, s17
	v_add_co_u32_e32 v2, vcc, s16, v2
	s_sub_i32 s0, s8, s4
	v_addc_co_u32_e32 v3, vcc, v1, v3, vcc
.LBB59_29:                              ; =>This Inner Loop Header: Depth=1
	global_load_dword v1, v[2:3], off
	s_add_i32 s0, s0, -1
	s_cmp_lg_u32 s0, 0
	s_waitcnt vmcnt(0)
	v_mul_f32_e32 v1, v0, v1
	global_store_dword v[2:3], v1, off
	v_add_co_u32_e32 v2, vcc, 4, v2
	v_addc_co_u32_e32 v3, vcc, 0, v3, vcc
	s_cbranch_scc1 .LBB59_29
.LBB59_30:
	s_endpgm
	.section	.rodata,"a",@progbits
	.p2align	6, 0x0
	.amdhsa_kernel _ZN4vllm3moe17topkGatingSoftmaxIfLi8ELi32ELi8ELi32ELb1ELi8ELNS0_23SharedExpertScoringFuncE1EEEvPKT_PKbPfiPiS9_iiiiii
		.amdhsa_group_segment_fixed_size 0
		.amdhsa_private_segment_fixed_size 0
		.amdhsa_kernarg_size 72
		.amdhsa_user_sgpr_count 6
		.amdhsa_user_sgpr_private_segment_buffer 1
		.amdhsa_user_sgpr_dispatch_ptr 0
		.amdhsa_user_sgpr_queue_ptr 0
		.amdhsa_user_sgpr_kernarg_segment_ptr 1
		.amdhsa_user_sgpr_dispatch_id 0
		.amdhsa_user_sgpr_flat_scratch_init 0
		.amdhsa_user_sgpr_kernarg_preload_length 0
		.amdhsa_user_sgpr_kernarg_preload_offset 0
		.amdhsa_user_sgpr_private_segment_size 0
		.amdhsa_uses_dynamic_stack 0
		.amdhsa_system_sgpr_private_segment_wavefront_offset 0
		.amdhsa_system_sgpr_workgroup_id_x 1
		.amdhsa_system_sgpr_workgroup_id_y 0
		.amdhsa_system_sgpr_workgroup_id_z 0
		.amdhsa_system_sgpr_workgroup_info 0
		.amdhsa_system_vgpr_workitem_id 1
		.amdhsa_next_free_vgpr 33
		.amdhsa_next_free_sgpr 26
		.amdhsa_accum_offset 36
		.amdhsa_reserve_vcc 1
		.amdhsa_reserve_flat_scratch 0
		.amdhsa_float_round_mode_32 0
		.amdhsa_float_round_mode_16_64 0
		.amdhsa_float_denorm_mode_32 3
		.amdhsa_float_denorm_mode_16_64 3
		.amdhsa_dx10_clamp 1
		.amdhsa_ieee_mode 1
		.amdhsa_fp16_overflow 0
		.amdhsa_tg_split 0
		.amdhsa_exception_fp_ieee_invalid_op 0
		.amdhsa_exception_fp_denorm_src 0
		.amdhsa_exception_fp_ieee_div_zero 0
		.amdhsa_exception_fp_ieee_overflow 0
		.amdhsa_exception_fp_ieee_underflow 0
		.amdhsa_exception_fp_ieee_inexact 0
		.amdhsa_exception_int_div_zero 0
	.end_amdhsa_kernel
	.section	.text._ZN4vllm3moe17topkGatingSoftmaxIfLi8ELi32ELi8ELi32ELb1ELi8ELNS0_23SharedExpertScoringFuncE1EEEvPKT_PKbPfiPiS9_iiiiii,"axG",@progbits,_ZN4vllm3moe17topkGatingSoftmaxIfLi8ELi32ELi8ELi32ELb1ELi8ELNS0_23SharedExpertScoringFuncE1EEEvPKT_PKbPfiPiS9_iiiiii,comdat
.Lfunc_end59:
	.size	_ZN4vllm3moe17topkGatingSoftmaxIfLi8ELi32ELi8ELi32ELb1ELi8ELNS0_23SharedExpertScoringFuncE1EEEvPKT_PKbPfiPiS9_iiiiii, .Lfunc_end59-_ZN4vllm3moe17topkGatingSoftmaxIfLi8ELi32ELi8ELi32ELb1ELi8ELNS0_23SharedExpertScoringFuncE1EEEvPKT_PKbPfiPiS9_iiiiii
                                        ; -- End function
	.section	.AMDGPU.csdata,"",@progbits
; Kernel info:
; codeLenInByte = 2208
; NumSgprs: 30
; NumVgprs: 33
; NumAgprs: 0
; TotalNumVgprs: 33
; ScratchSize: 0
; MemoryBound: 0
; FloatMode: 240
; IeeeMode: 1
; LDSByteSize: 0 bytes/workgroup (compile time only)
; SGPRBlocks: 3
; VGPRBlocks: 4
; NumSGPRsForWavesPerEU: 30
; NumVGPRsForWavesPerEU: 33
; AccumOffset: 36
; Occupancy: 8
; WaveLimiterHint : 0
; COMPUTE_PGM_RSRC2:SCRATCH_EN: 0
; COMPUTE_PGM_RSRC2:USER_SGPR: 6
; COMPUTE_PGM_RSRC2:TRAP_HANDLER: 0
; COMPUTE_PGM_RSRC2:TGID_X_EN: 1
; COMPUTE_PGM_RSRC2:TGID_Y_EN: 0
; COMPUTE_PGM_RSRC2:TGID_Z_EN: 0
; COMPUTE_PGM_RSRC2:TIDIG_COMP_CNT: 1
; COMPUTE_PGM_RSRC3_GFX90A:ACCUM_OFFSET: 8
; COMPUTE_PGM_RSRC3_GFX90A:TG_SPLIT: 0
	.section	.text._ZN4vllm3moe17topkGatingSoftmaxIfLi8ELi32ELi8ELi32ELb0ELi8ELNS0_23SharedExpertScoringFuncE1EEEvPKT_PKbPfiPiS9_iiiiii,"axG",@progbits,_ZN4vllm3moe17topkGatingSoftmaxIfLi8ELi32ELi8ELi32ELb0ELi8ELNS0_23SharedExpertScoringFuncE1EEEvPKT_PKbPfiPiS9_iiiiii,comdat
	.protected	_ZN4vllm3moe17topkGatingSoftmaxIfLi8ELi32ELi8ELi32ELb0ELi8ELNS0_23SharedExpertScoringFuncE1EEEvPKT_PKbPfiPiS9_iiiiii ; -- Begin function _ZN4vllm3moe17topkGatingSoftmaxIfLi8ELi32ELi8ELi32ELb0ELi8ELNS0_23SharedExpertScoringFuncE1EEEvPKT_PKbPfiPiS9_iiiiii
	.globl	_ZN4vllm3moe17topkGatingSoftmaxIfLi8ELi32ELi8ELi32ELb0ELi8ELNS0_23SharedExpertScoringFuncE1EEEvPKT_PKbPfiPiS9_iiiiii
	.p2align	8
	.type	_ZN4vllm3moe17topkGatingSoftmaxIfLi8ELi32ELi8ELi32ELb0ELi8ELNS0_23SharedExpertScoringFuncE1EEEvPKT_PKbPfiPiS9_iiiiii,@function
_ZN4vllm3moe17topkGatingSoftmaxIfLi8ELi32ELi8ELi32ELb0ELi8ELNS0_23SharedExpertScoringFuncE1EEEvPKT_PKbPfiPiS9_iiiiii: ; @_ZN4vllm3moe17topkGatingSoftmaxIfLi8ELi32ELi8ELi32ELb0ELi8ELNS0_23SharedExpertScoringFuncE1EEEvPKT_PKbPfiPiS9_iiiiii
; %bb.0:
	s_load_dword s22, s[4:5], 0x18
	v_bfe_u32 v1, v0, 10, 10
	v_and_b32_e32 v0, 0x3ff, v0
	s_lshl_b32 s23, s6, 7
	v_lshlrev_b32_e32 v14, 4, v1
	v_lshrrev_b32_e32 v15, 2, v0
	v_add3_u32 v27, s23, v14, v15
	s_waitcnt lgkmcnt(0)
	v_cmp_gt_i32_e32 vcc, s22, v27
	s_and_saveexec_b64 s[0:1], vcc
	s_cbranch_execz .LBB60_32
; %bb.1:
	s_load_dwordx4 s[0:3], s[4:5], 0x0
	s_load_dwordx2 s[6:7], s[4:5], 0x10
	s_mov_b64 s[12:13], 0
	s_waitcnt lgkmcnt(0)
	s_cmp_eq_u64 s[2:3], 0
	s_cbranch_scc1 .LBB60_3
; %bb.2:
	v_ashrrev_i32_e32 v1, 31, v27
	v_mov_b32_e32 v3, s3
	v_add_co_u32_e32 v2, vcc, s2, v27
	v_addc_co_u32_e32 v3, vcc, v3, v1, vcc
	global_load_ubyte v1, v[2:3], off
	s_waitcnt vmcnt(0)
	v_and_b32_e32 v1, 1, v1
	v_cmp_eq_u32_e32 vcc, 1, v1
	s_xor_b64 s[2:3], vcc, -1
	s_orn2_b64 s[16:17], s[2:3], exec
	s_branch .LBB60_4
.LBB60_3:
	s_mov_b64 s[16:17], -1
.LBB60_4:
	s_load_dwordx2 s[20:21], s[4:5], 0x40
	s_load_dwordx4 s[8:11], s[4:5], 0x30
	v_mov_b32_e32 v1, s1
	v_and_b32_e32 v16, 3, v0
	v_lshlrev_b32_e32 v0, 5, v16
	s_waitcnt lgkmcnt(0)
	v_mul_lo_u32 v2, v27, s21
	v_ashrrev_i32_e32 v3, 31, v2
	v_lshlrev_b64 v[10:11], 2, v[2:3]
	v_add_co_u32_e32 v2, vcc, s0, v10
	v_addc_co_u32_e32 v1, vcc, v1, v11, vcc
	v_add_co_u32_e32 v8, vcc, v2, v0
	v_addc_co_u32_e32 v9, vcc, 0, v1, vcc
	global_load_dwordx4 v[0:3], v[8:9], off offset:16
	global_load_dwordx4 v[4:7], v[8:9], off
	v_lshlrev_b32_e32 v12, 2, v16
	v_add_co_u32_e32 v10, vcc, v10, v12
	v_addc_co_u32_e32 v11, vcc, 0, v11, vcc
	v_mov_b32_e32 v12, s1
	v_add_co_u32_e32 v10, vcc, s0, v10
	v_addc_co_u32_e32 v11, vcc, v11, v12, vcc
	s_movk_i32 s0, 0x80
	v_mul_lo_u32 v8, v27, s11
	v_add_co_u32_e32 v10, vcc, s0, v10
	v_lshlrev_b32_e32 v17, 3, v16
	v_add_u32_e32 v9, s8, v8
	v_addc_co_u32_e32 v11, vcc, 0, v11, vcc
	s_mov_b32 s0, 0xbfb8aa3b
	s_mov_b32 s1, 0x42ce8ed0
	;; [unrolled: 1-line block ×3, first 2 shown]
	v_mov_b32_e32 v12, 0x7f800000
	v_mov_b32_e32 v13, s7
	;; [unrolled: 1-line block ×3, first 2 shown]
.LBB60_5:                               ; =>This Inner Loop Header: Depth=1
	global_load_dword v19, v[10:11], off
	v_add_co_u32_e32 v10, vcc, 16, v10
	v_add_u32_e32 v22, 4, v18
	v_addc_co_u32_e32 v11, vcc, 0, v11, vcc
	v_add_u32_e32 v20, v9, v18
	v_cmp_lt_u32_e32 vcc, 3, v18
	v_mov_b32_e32 v18, v22
	v_ashrrev_i32_e32 v21, 31, v20
	v_lshlrev_b64 v[20:21], 2, v[20:21]
	s_or_b64 s[12:13], vcc, s[12:13]
	v_add_co_u32_e32 v20, vcc, s6, v20
	v_addc_co_u32_e32 v21, vcc, v13, v21, vcc
	s_waitcnt vmcnt(0)
	v_mul_f32_e32 v22, 0xbfb8aa3b, v19
	v_rndne_f32_e32 v23, v22
	v_fma_f32 v24, v19, s0, -v22
	v_sub_f32_e32 v22, v22, v23
	v_fmac_f32_e32 v24, 0xb2a5705f, v19
	v_add_f32_e32 v22, v22, v24
	v_cvt_i32_f32_e32 v23, v23
	v_exp_f32_e32 v22, v22
	v_cmp_nlt_f32_e32 vcc, s1, v19
	v_ldexp_f32 v22, v22, v23
	v_cndmask_b32_e32 v22, 0, v22, vcc
	v_cmp_ngt_f32_e32 vcc, s2, v19
	v_cndmask_b32_e32 v19, v12, v22, vcc
	v_add_f32_e32 v19, 1.0, v19
	v_div_scale_f32 v22, s[14:15], v19, v19, 1.0
	v_rcp_f32_e32 v23, v22
	v_div_scale_f32 v24, vcc, 1.0, v19, 1.0
	v_fma_f32 v25, -v22, v23, 1.0
	v_fmac_f32_e32 v23, v25, v23
	v_mul_f32_e32 v25, v24, v23
	v_fma_f32 v26, -v22, v25, v24
	v_fmac_f32_e32 v25, v26, v23
	v_fma_f32 v22, -v22, v25, v24
	v_div_fmas_f32 v22, v22, v23, v25
	v_div_fixup_f32 v19, v22, v19, 1.0
	global_store_dword v[20:21], v19, off
	s_andn2_b64 exec, exec, s[12:13]
	s_cbranch_execnz .LBB60_5
; %bb.6:
	s_or_b64 exec, exec, s[12:13]
	v_cmp_lt_f32_e32 vcc, v4, v5
	v_or_b32_e32 v20, 1, v17
	v_cndmask_b32_e32 v10, v4, v5, vcc
	v_cndmask_b32_e32 v9, v17, v20, vcc
	v_cmp_lt_f32_e32 vcc, v10, v6
	v_or_b32_e32 v21, 2, v17
	v_cndmask_b32_e32 v10, v10, v6, vcc
	v_cndmask_b32_e32 v9, v9, v21, vcc
	;; [unrolled: 4-line block ×6, first 2 shown]
	v_or_b32_e32 v26, 7, v17
	v_cmp_lt_f32_e32 vcc, v10, v3
	v_cndmask_b32_e32 v9, v9, v26, vcc
	v_cndmask_b32_e32 v10, v10, v3, vcc
	s_nop 0
	v_mov_b32_dpp v11, v9 quad_perm:[1,0,3,2] row_mask:0xf bank_mask:0xf
	v_mov_b32_dpp v12, v10 quad_perm:[1,0,3,2] row_mask:0xf bank_mask:0xf
	v_cmp_eq_f32_e64 s[0:1], v10, v12
	v_cmp_lt_i32_e64 s[2:3], v11, v9
	v_cmp_lt_f32_e32 vcc, v10, v12
	s_and_b64 s[0:1], s[0:1], s[2:3]
	s_or_b64 vcc, vcc, s[0:1]
	v_cndmask_b32_e32 v12, v10, v12, vcc
	v_cndmask_b32_e32 v9, v9, v11, vcc
	s_nop 0
	v_mov_b32_dpp v11, v12 quad_perm:[2,3,0,1] row_mask:0xf bank_mask:0xf
	v_mov_b32_dpp v10, v9 quad_perm:[2,3,0,1] row_mask:0xf bank_mask:0xf
	v_cmp_eq_f32_e64 s[0:1], v12, v11
	v_cmp_lt_i32_e64 s[2:3], v10, v9
	v_cmp_lt_f32_e32 vcc, v12, v11
	s_and_b64 s[0:1], s[0:1], s[2:3]
	s_or_b64 s[2:3], vcc, s[0:1]
	s_cmp_gt_i32 s8, 0
	s_cselect_b64 s[18:19], -1, 0
	v_cndmask_b32_e64 v18, v12, v11, s[2:3]
	s_and_b64 vcc, exec, s[18:19]
	v_cmp_eq_u32_e64 s[0:1], 0, v16
	s_cbranch_vccz .LBB60_18
; %bb.7:
	s_load_dwordx4 s[12:15], s[4:5], 0x20
	v_cndmask_b32_e64 v28, v9, v10, s[2:3]
	v_mul_lo_u32 v12, v27, s20
	v_mul_lo_u32 v10, v27, s8
	v_mov_b32_e32 v19, 0
	s_and_saveexec_b64 s[4:5], s[0:1]
	s_cbranch_execz .LBB60_9
; %bb.8:
	v_sub_f32_e32 v9, v18, v18
	v_mul_f32_e32 v11, 0x3fb8aa3b, v9
	s_mov_b32 s2, 0x3fb8aa3b
	v_rndne_f32_e32 v13, v11
	v_sub_f32_e32 v19, v11, v13
	v_fma_f32 v11, v9, s2, -v11
	v_fmac_f32_e32 v11, 0x32a5705f, v9
	v_add_f32_e32 v11, v19, v11
	v_exp_f32_e32 v11, v11
	v_cvt_i32_f32_e32 v13, v13
	v_cmp_le_i32_e32 vcc, s9, v28
	v_cmp_gt_i32_e64 s[2:3], s10, v28
	s_mov_b32 s11, 0xc2ce8ed0
	s_and_b64 s[2:3], vcc, s[2:3]
	v_ldexp_f32 v11, v11, v13
	v_cmp_ngt_f32_e32 vcc, s11, v9
	s_mov_b32 s11, 0x42b17218
	v_cndmask_b32_e32 v11, 0, v11, vcc
	v_cmp_nlt_f32_e32 vcc, s11, v9
	v_ashrrev_i32_e32 v9, 31, v8
	v_mov_b32_e32 v13, 0x7f800000
	v_lshlrev_b64 v[30:31], 2, v[8:9]
	v_cndmask_b32_e32 v19, v13, v11, vcc
	v_mov_b32_e32 v9, s7
	v_add_co_u32_e32 v30, vcc, s6, v30
	v_addc_co_u32_e32 v31, vcc, v9, v31, vcc
	v_ashrrev_i32_e32 v13, 31, v12
	global_store_dword v[30:31], v19, off
	v_subrev_u32_e32 v9, s9, v28
	s_and_b64 vcc, s[16:17], s[2:3]
	v_lshlrev_b64 v[30:31], 2, v[12:13]
	v_cndmask_b32_e32 v9, 32, v9, vcc
	s_waitcnt lgkmcnt(0)
	v_mov_b32_e32 v11, s13
	v_add_co_u32_e32 v30, vcc, s12, v30
	v_addc_co_u32_e32 v31, vcc, v11, v31, vcc
	v_ashrrev_i32_e32 v11, 31, v10
	global_store_dword v[30:31], v9, off
	v_lshlrev_b64 v[30:31], 2, v[10:11]
	v_mov_b32_e32 v9, s15
	v_add_co_u32_e32 v30, vcc, s14, v30
	v_addc_co_u32_e32 v31, vcc, v9, v31, vcc
	global_store_dword v[30:31], v27, off
.LBB60_9:
	s_or_b64 exec, exec, s[4:5]
	v_ashrrev_i32_e32 v11, 31, v28
	v_lshrrev_b32_e32 v9, 29, v11
	v_add_u32_e32 v9, v28, v9
	v_ashrrev_i32_e32 v9, 3, v9
	v_lshrrev_b32_e32 v13, 30, v9
	v_add_u32_e32 v13, v9, v13
	v_and_b32_e32 v13, -4, v13
	v_sub_u32_e32 v13, v9, v13
	v_cmp_eq_u32_e32 vcc, v16, v13
	s_and_saveexec_b64 s[2:3], vcc
	s_cbranch_execz .LBB60_11
; %bb.10:
	v_lshrrev_b32_e32 v11, 27, v11
	v_add_u32_e32 v11, v28, v11
	v_lshlrev_b32_e32 v9, 3, v9
	v_ashrrev_i32_e32 v11, 5, v11
	v_sub_u32_e32 v9, v28, v9
	v_lshl_add_u32 v9, v11, 3, v9
	v_mov_b32_e32 v11, 0xff800000
	v_cmp_ne_u32_e32 vcc, 7, v9
	v_cndmask_b32_e32 v3, v11, v3, vcc
	v_cmp_ne_u32_e32 vcc, 6, v9
	v_cndmask_b32_e32 v2, v11, v2, vcc
	;; [unrolled: 2-line block ×8, first 2 shown]
.LBB60_11:
	s_or_b64 exec, exec, s[2:3]
	s_cmp_eq_u32 s8, 1
	s_cbranch_scc1 .LBB60_19
; %bb.12:
	s_add_i32 s23, s23, s22
	s_add_i32 s11, s8, -1
	v_add3_u32 v9, s23, v15, v14
	v_add_u32_e32 v10, 1, v10
	v_add_u32_e32 v12, 1, v12
	;; [unrolled: 1-line block ×3, first 2 shown]
	s_mov_b32 s20, 0x3fb8aa3b
	s_mov_b32 s21, 0xc2ce8ed0
	;; [unrolled: 1-line block ×3, first 2 shown]
	v_mov_b32_e32 v27, 0x7f800000
	v_mov_b32_e32 v28, 0xff800000
	s_branch .LBB60_14
.LBB60_13:                              ;   in Loop: Header=BB60_14 Depth=1
	s_or_b64 exec, exec, s[2:3]
	s_add_i32 s11, s11, -1
	v_add_u32_e32 v9, s22, v9
	v_add_u32_e32 v10, 1, v10
	;; [unrolled: 1-line block ×3, first 2 shown]
	s_cmp_eq_u32 s11, 0
	v_add_u32_e32 v14, 1, v14
	s_cbranch_scc1 .LBB60_19
.LBB60_14:                              ; =>This Inner Loop Header: Depth=1
	v_cmp_gt_f32_e32 vcc, v5, v4
	v_cndmask_b32_e32 v13, v4, v5, vcc
	v_cndmask_b32_e32 v11, v17, v20, vcc
	v_cmp_gt_f32_e32 vcc, v6, v13
	v_cndmask_b32_e32 v13, v13, v6, vcc
	v_cndmask_b32_e32 v11, v11, v21, vcc
	;; [unrolled: 3-line block ×7, first 2 shown]
	s_nop 0
	v_mov_b32_dpp v13, v15 quad_perm:[1,0,3,2] row_mask:0xf bank_mask:0xf
	v_mov_b32_dpp v29, v11 quad_perm:[1,0,3,2] row_mask:0xf bank_mask:0xf
	v_cmp_eq_f32_e64 s[2:3], v11, v29
	v_cmp_lt_i32_e64 s[4:5], v13, v15
	v_cmp_lt_f32_e32 vcc, v11, v29
	s_and_b64 s[2:3], s[2:3], s[4:5]
	s_or_b64 vcc, vcc, s[2:3]
	v_cndmask_b32_e32 v11, v11, v29, vcc
	v_cndmask_b32_e32 v15, v15, v13, vcc
	s_nop 0
	v_mov_b32_dpp v13, v11 quad_perm:[2,3,0,1] row_mask:0xf bank_mask:0xf
	v_mov_b32_dpp v29, v15 quad_perm:[2,3,0,1] row_mask:0xf bank_mask:0xf
	v_cmp_eq_f32_e64 s[2:3], v11, v13
	v_cmp_lt_i32_e64 s[4:5], v29, v15
	v_cmp_lt_f32_e32 vcc, v11, v13
	s_and_b64 s[2:3], s[2:3], s[4:5]
	s_or_b64 vcc, vcc, s[2:3]
	v_cndmask_b32_e32 v29, v15, v29, vcc
	s_and_saveexec_b64 s[4:5], s[0:1]
	s_cbranch_execz .LBB60_16
; %bb.15:                               ;   in Loop: Header=BB60_14 Depth=1
	v_cndmask_b32_e32 v11, v11, v13, vcc
	v_sub_f32_e32 v11, v11, v18
	v_mul_f32_e32 v13, 0x3fb8aa3b, v11
	v_fma_f32 v15, v11, s20, -v13
	v_rndne_f32_e32 v30, v13
	v_fmac_f32_e32 v15, 0x32a5705f, v11
	v_sub_f32_e32 v13, v13, v30
	v_add_f32_e32 v13, v13, v15
	v_exp_f32_e32 v13, v13
	v_cvt_i32_f32_e32 v15, v30
	v_cmp_le_i32_e32 vcc, s9, v29
	v_cmp_gt_i32_e64 s[2:3], s10, v29
	s_and_b64 s[2:3], vcc, s[2:3]
	v_ldexp_f32 v13, v13, v15
	v_cmp_ngt_f32_e32 vcc, s21, v11
	v_ashrrev_i32_e32 v15, 31, v14
	v_cndmask_b32_e32 v13, 0, v13, vcc
	v_cmp_nlt_f32_e32 vcc, s23, v11
	v_lshlrev_b64 v[30:31], 2, v[14:15]
	v_cndmask_b32_e32 v32, v27, v13, vcc
	v_mov_b32_e32 v11, s7
	v_add_co_u32_e32 v30, vcc, s6, v30
	v_addc_co_u32_e32 v31, vcc, v11, v31, vcc
	v_ashrrev_i32_e32 v13, 31, v12
	global_store_dword v[30:31], v32, off
	v_subrev_u32_e32 v11, s9, v29
	s_and_b64 vcc, s[16:17], s[2:3]
	v_lshlrev_b64 v[30:31], 2, v[12:13]
	v_cndmask_b32_e32 v11, 32, v11, vcc
	s_waitcnt lgkmcnt(0)
	v_mov_b32_e32 v13, s13
	v_add_co_u32_e32 v30, vcc, s12, v30
	v_addc_co_u32_e32 v31, vcc, v13, v31, vcc
	global_store_dword v[30:31], v11, off
	v_ashrrev_i32_e32 v11, 31, v10
	v_lshlrev_b64 v[30:31], 2, v[10:11]
	v_mov_b32_e32 v11, s15
	v_add_co_u32_e32 v30, vcc, s14, v30
	v_addc_co_u32_e32 v31, vcc, v11, v31, vcc
	v_add_f32_e32 v19, v19, v32
	global_store_dword v[30:31], v9, off
.LBB60_16:                              ;   in Loop: Header=BB60_14 Depth=1
	s_or_b64 exec, exec, s[4:5]
	v_ashrrev_i32_e32 v13, 31, v29
	v_lshrrev_b32_e32 v11, 29, v13
	v_add_u32_e32 v11, v29, v11
	v_ashrrev_i32_e32 v11, 3, v11
	v_lshrrev_b32_e32 v15, 30, v11
	v_add_u32_e32 v15, v11, v15
	v_and_b32_e32 v15, -4, v15
	v_sub_u32_e32 v15, v11, v15
	v_cmp_eq_u32_e32 vcc, v16, v15
	s_and_saveexec_b64 s[2:3], vcc
	s_cbranch_execz .LBB60_13
; %bb.17:                               ;   in Loop: Header=BB60_14 Depth=1
	v_lshrrev_b32_e32 v13, 27, v13
	v_add_u32_e32 v13, v29, v13
	v_lshlrev_b32_e32 v11, 3, v11
	v_ashrrev_i32_e32 v13, 5, v13
	v_sub_u32_e32 v11, v29, v11
	v_lshl_add_u32 v11, v13, 3, v11
	v_cmp_ne_u32_e32 vcc, 7, v11
	v_cndmask_b32_e32 v3, v28, v3, vcc
	v_cmp_ne_u32_e32 vcc, 6, v11
	v_cndmask_b32_e32 v2, v28, v2, vcc
	;; [unrolled: 2-line block ×8, first 2 shown]
	s_branch .LBB60_13
.LBB60_18:
	v_mov_b32_e32 v19, 0
.LBB60_19:
	v_sub_f32_e32 v4, v4, v18
	s_mov_b32 s0, 0x3fb8aa3b
	v_mul_f32_e32 v9, 0x3fb8aa3b, v4
	v_fma_f32 v10, v4, s0, -v9
	v_rndne_f32_e32 v11, v9
	v_fmac_f32_e32 v10, 0x32a5705f, v4
	v_sub_f32_e32 v9, v9, v11
	v_add_f32_e32 v9, v9, v10
	v_exp_f32_e32 v9, v9
	v_cvt_i32_f32_e32 v10, v11
	v_sub_f32_e32 v5, v5, v18
	s_mov_b32 s1, 0xc2ce8ed0
	v_cmp_ngt_f32_e32 vcc, s1, v4
	v_ldexp_f32 v9, v9, v10
	v_mul_f32_e32 v10, 0x3fb8aa3b, v5
	v_fma_f32 v11, v5, s0, -v10
	v_rndne_f32_e32 v12, v10
	v_fmac_f32_e32 v11, 0x32a5705f, v5
	v_sub_f32_e32 v10, v10, v12
	v_add_f32_e32 v10, v10, v11
	v_exp_f32_e32 v10, v10
	v_cvt_i32_f32_e32 v11, v12
	s_mov_b32 s2, 0x42b17218
	v_cndmask_b32_e32 v9, 0, v9, vcc
	v_mov_b32_e32 v12, 0x7f800000
	v_cmp_nlt_f32_e32 vcc, s2, v4
	v_sub_f32_e32 v6, v6, v18
	v_cndmask_b32_e32 v4, v12, v9, vcc
	v_ldexp_f32 v9, v10, v11
	v_mul_f32_e32 v10, 0x3fb8aa3b, v6
	v_fma_f32 v11, v6, s0, -v10
	v_rndne_f32_e32 v13, v10
	v_fmac_f32_e32 v11, 0x32a5705f, v6
	v_sub_f32_e32 v10, v10, v13
	v_add_f32_e32 v10, v10, v11
	v_exp_f32_e32 v10, v10
	v_cvt_i32_f32_e32 v11, v13
	v_cmp_ngt_f32_e32 vcc, s1, v5
	v_cndmask_b32_e32 v9, 0, v9, vcc
	v_cmp_nlt_f32_e32 vcc, s2, v5
	v_sub_f32_e32 v7, v7, v18
	v_cndmask_b32_e32 v5, v12, v9, vcc
	v_mul_f32_e32 v9, 0x3fb8aa3b, v7
	v_add_f32_e32 v4, v4, v5
	v_ldexp_f32 v5, v10, v11
	v_fma_f32 v10, v7, s0, -v9
	v_rndne_f32_e32 v11, v9
	v_fmac_f32_e32 v10, 0x32a5705f, v7
	v_sub_f32_e32 v9, v9, v11
	v_add_f32_e32 v9, v9, v10
	v_exp_f32_e32 v9, v9
	v_cvt_i32_f32_e32 v10, v11
	v_cmp_ngt_f32_e32 vcc, s1, v6
	v_cndmask_b32_e32 v5, 0, v5, vcc
	v_cmp_nlt_f32_e32 vcc, s2, v6
	v_sub_f32_e32 v0, v0, v18
	v_cndmask_b32_e32 v5, v12, v5, vcc
	v_mul_f32_e32 v6, 0x3fb8aa3b, v0
	v_add_f32_e32 v4, v4, v5
	v_ldexp_f32 v5, v9, v10
	v_fma_f32 v9, v0, s0, -v6
	v_rndne_f32_e32 v10, v6
	v_fmac_f32_e32 v9, 0x32a5705f, v0
	v_sub_f32_e32 v6, v6, v10
	v_add_f32_e32 v6, v6, v9
	v_exp_f32_e32 v6, v6
	v_cvt_i32_f32_e32 v9, v10
	v_cmp_ngt_f32_e32 vcc, s1, v7
	v_cndmask_b32_e32 v5, 0, v5, vcc
	v_cmp_nlt_f32_e32 vcc, s2, v7
	v_cndmask_b32_e32 v5, v12, v5, vcc
	v_sub_f32_e32 v1, v1, v18
	v_add_f32_e32 v4, v4, v5
	v_ldexp_f32 v5, v6, v9
	v_mul_f32_e32 v6, 0x3fb8aa3b, v1
	v_fma_f32 v7, v1, s0, -v6
	v_rndne_f32_e32 v9, v6
	v_fmac_f32_e32 v7, 0x32a5705f, v1
	v_sub_f32_e32 v6, v6, v9
	v_add_f32_e32 v6, v6, v7
	v_exp_f32_e32 v6, v6
	v_cvt_i32_f32_e32 v7, v9
	v_cmp_ngt_f32_e32 vcc, s1, v0
	v_cndmask_b32_e32 v5, 0, v5, vcc
	v_cmp_nlt_f32_e32 vcc, s2, v0
	v_sub_f32_e32 v2, v2, v18
	v_cndmask_b32_e32 v0, v12, v5, vcc
	v_mul_f32_e32 v5, 0x3fb8aa3b, v2
	v_add_f32_e32 v0, v4, v0
	v_ldexp_f32 v4, v6, v7
	v_fma_f32 v6, v2, s0, -v5
	v_rndne_f32_e32 v7, v5
	v_fmac_f32_e32 v6, 0x32a5705f, v2
	v_sub_f32_e32 v5, v5, v7
	v_add_f32_e32 v5, v5, v6
	v_exp_f32_e32 v5, v5
	v_cvt_i32_f32_e32 v6, v7
	v_cmp_ngt_f32_e32 vcc, s1, v1
	v_cndmask_b32_e32 v4, 0, v4, vcc
	v_cmp_nlt_f32_e32 vcc, s2, v1
	v_sub_f32_e32 v3, v3, v18
	v_cndmask_b32_e32 v1, v12, v4, vcc
	v_mul_f32_e32 v4, 0x3fb8aa3b, v3
	v_add_f32_e32 v0, v0, v1
	v_ldexp_f32 v1, v5, v6
	v_fma_f32 v5, v3, s0, -v4
	v_rndne_f32_e32 v6, v4
	v_fmac_f32_e32 v5, 0x32a5705f, v3
	v_sub_f32_e32 v4, v4, v6
	v_add_f32_e32 v4, v4, v5
	v_exp_f32_e32 v4, v4
	v_cvt_i32_f32_e32 v5, v6
	v_cmp_ngt_f32_e32 vcc, s1, v2
	v_cndmask_b32_e32 v1, 0, v1, vcc
	v_cmp_nlt_f32_e32 vcc, s2, v2
	v_cndmask_b32_e32 v1, v12, v1, vcc
	v_add_f32_e32 v0, v0, v1
	v_ldexp_f32 v1, v4, v5
	v_cmp_ngt_f32_e32 vcc, s1, v3
	v_cndmask_b32_e32 v1, 0, v1, vcc
	v_cmp_nlt_f32_e32 vcc, s2, v3
	v_cndmask_b32_e32 v1, v12, v1, vcc
	v_add_f32_e32 v0, v0, v1
	v_cmp_eq_u32_e32 vcc, 0, v16
	s_nop 0
	v_mov_b32_dpp v1, v0 quad_perm:[1,0,3,2] row_mask:0xf bank_mask:0xf
	v_add_f32_e32 v0, v0, v1
	s_nop 1
	v_mov_b32_dpp v1, v0 quad_perm:[2,3,0,1] row_mask:0xf bank_mask:0xf
	s_and_b64 exec, exec, vcc
	s_cbranch_execz .LBB60_32
; %bb.20:
	v_add_f32_e32 v0, v0, v1
	v_add_f32_e32 v0, v19, v0
	v_cmp_neq_f32_e32 vcc, 0, v0
	s_and_b64 exec, exec, vcc
	s_cbranch_execz .LBB60_32
; %bb.21:
	s_andn2_b64 vcc, exec, s[18:19]
	s_cbranch_vccnz .LBB60_32
; %bb.22:
	v_div_scale_f32 v1, s[0:1], v0, v0, 1.0
	v_rcp_f32_e32 v2, v1
	v_div_scale_f32 v3, vcc, 1.0, v0, 1.0
	s_cmp_gt_u32 s8, 3
	v_fma_f32 v4, -v1, v2, 1.0
	v_fmac_f32_e32 v2, v4, v2
	v_mul_f32_e32 v4, v3, v2
	v_fma_f32 v5, -v1, v4, v3
	v_fmac_f32_e32 v4, v5, v2
	v_fma_f32 v1, -v1, v4, v3
	v_div_fmas_f32 v1, v1, v2, v4
	v_div_fixup_f32 v0, v1, v0, 1.0
	v_ashrrev_i32_e32 v9, 31, v8
	s_cbranch_scc0 .LBB60_26
; %bb.23:
	v_lshlrev_b64 v[2:3], 2, v[8:9]
	v_mov_b32_e32 v4, s7
	v_add_co_u32_e32 v2, vcc, s6, v2
	v_addc_co_u32_e32 v3, vcc, v3, v4, vcc
	s_and_b32 s4, s8, 0x7ffffffc
	v_add_co_u32_e32 v2, vcc, 8, v2
	v_mov_b32_e32 v1, v0
	v_addc_co_u32_e32 v3, vcc, 0, v3, vcc
	s_mov_b32 s0, s4
.LBB60_24:                              ; =>This Inner Loop Header: Depth=1
	global_load_dwordx4 v[4:7], v[2:3], off offset:-8
	s_add_i32 s0, s0, -4
	s_cmp_lg_u32 s0, 0
	s_waitcnt vmcnt(0)
	v_pk_mul_f32 v[4:5], v[0:1], v[4:5]
	v_pk_mul_f32 v[6:7], v[0:1], v[6:7]
	global_store_dwordx4 v[2:3], v[4:7], off offset:-8
	v_add_co_u32_e32 v2, vcc, 16, v2
	v_addc_co_u32_e32 v3, vcc, 0, v3, vcc
	s_cbranch_scc1 .LBB60_24
; %bb.25:
	s_cmp_lg_u32 s4, s8
	s_mov_b64 s[2:3], 0
	s_cselect_b64 s[0:1], -1, 0
	s_branch .LBB60_27
.LBB60_26:
	s_mov_b64 s[2:3], -1
	s_mov_b64 s[0:1], 0
                                        ; implicit-def: $sgpr4
.LBB60_27:
	s_and_b64 vcc, exec, s[2:3]
	s_cbranch_vccz .LBB60_29
; %bb.28:
	s_mov_b64 s[0:1], -1
	s_mov_b32 s4, 0
.LBB60_29:
	s_andn2_b64 vcc, exec, s[0:1]
	s_cbranch_vccnz .LBB60_32
; %bb.30:
	v_add_co_u32_e32 v2, vcc, s4, v8
	v_addc_co_u32_e32 v3, vcc, 0, v9, vcc
	v_lshlrev_b64 v[2:3], 2, v[2:3]
	v_mov_b32_e32 v1, s7
	v_add_co_u32_e32 v2, vcc, s6, v2
	s_sub_i32 s0, s8, s4
	v_addc_co_u32_e32 v3, vcc, v1, v3, vcc
.LBB60_31:                              ; =>This Inner Loop Header: Depth=1
	global_load_dword v1, v[2:3], off
	s_add_i32 s0, s0, -1
	s_cmp_lg_u32 s0, 0
	s_waitcnt vmcnt(0)
	v_mul_f32_e32 v1, v0, v1
	global_store_dword v[2:3], v1, off
	v_add_co_u32_e32 v2, vcc, 4, v2
	v_addc_co_u32_e32 v3, vcc, 0, v3, vcc
	s_cbranch_scc1 .LBB60_31
.LBB60_32:
	s_endpgm
	.section	.rodata,"a",@progbits
	.p2align	6, 0x0
	.amdhsa_kernel _ZN4vllm3moe17topkGatingSoftmaxIfLi8ELi32ELi8ELi32ELb0ELi8ELNS0_23SharedExpertScoringFuncE1EEEvPKT_PKbPfiPiS9_iiiiii
		.amdhsa_group_segment_fixed_size 0
		.amdhsa_private_segment_fixed_size 0
		.amdhsa_kernarg_size 72
		.amdhsa_user_sgpr_count 6
		.amdhsa_user_sgpr_private_segment_buffer 1
		.amdhsa_user_sgpr_dispatch_ptr 0
		.amdhsa_user_sgpr_queue_ptr 0
		.amdhsa_user_sgpr_kernarg_segment_ptr 1
		.amdhsa_user_sgpr_dispatch_id 0
		.amdhsa_user_sgpr_flat_scratch_init 0
		.amdhsa_user_sgpr_kernarg_preload_length 0
		.amdhsa_user_sgpr_kernarg_preload_offset 0
		.amdhsa_user_sgpr_private_segment_size 0
		.amdhsa_uses_dynamic_stack 0
		.amdhsa_system_sgpr_private_segment_wavefront_offset 0
		.amdhsa_system_sgpr_workgroup_id_x 1
		.amdhsa_system_sgpr_workgroup_id_y 0
		.amdhsa_system_sgpr_workgroup_id_z 0
		.amdhsa_system_sgpr_workgroup_info 0
		.amdhsa_system_vgpr_workitem_id 1
		.amdhsa_next_free_vgpr 33
		.amdhsa_next_free_sgpr 24
		.amdhsa_accum_offset 36
		.amdhsa_reserve_vcc 1
		.amdhsa_reserve_flat_scratch 0
		.amdhsa_float_round_mode_32 0
		.amdhsa_float_round_mode_16_64 0
		.amdhsa_float_denorm_mode_32 3
		.amdhsa_float_denorm_mode_16_64 3
		.amdhsa_dx10_clamp 1
		.amdhsa_ieee_mode 1
		.amdhsa_fp16_overflow 0
		.amdhsa_tg_split 0
		.amdhsa_exception_fp_ieee_invalid_op 0
		.amdhsa_exception_fp_denorm_src 0
		.amdhsa_exception_fp_ieee_div_zero 0
		.amdhsa_exception_fp_ieee_overflow 0
		.amdhsa_exception_fp_ieee_underflow 0
		.amdhsa_exception_fp_ieee_inexact 0
		.amdhsa_exception_int_div_zero 0
	.end_amdhsa_kernel
	.section	.text._ZN4vllm3moe17topkGatingSoftmaxIfLi8ELi32ELi8ELi32ELb0ELi8ELNS0_23SharedExpertScoringFuncE1EEEvPKT_PKbPfiPiS9_iiiiii,"axG",@progbits,_ZN4vllm3moe17topkGatingSoftmaxIfLi8ELi32ELi8ELi32ELb0ELi8ELNS0_23SharedExpertScoringFuncE1EEEvPKT_PKbPfiPiS9_iiiiii,comdat
.Lfunc_end60:
	.size	_ZN4vllm3moe17topkGatingSoftmaxIfLi8ELi32ELi8ELi32ELb0ELi8ELNS0_23SharedExpertScoringFuncE1EEEvPKT_PKbPfiPiS9_iiiiii, .Lfunc_end60-_ZN4vllm3moe17topkGatingSoftmaxIfLi8ELi32ELi8ELi32ELb0ELi8ELNS0_23SharedExpertScoringFuncE1EEEvPKT_PKbPfiPiS9_iiiiii
                                        ; -- End function
	.section	.AMDGPU.csdata,"",@progbits
; Kernel info:
; codeLenInByte = 2904
; NumSgprs: 28
; NumVgprs: 33
; NumAgprs: 0
; TotalNumVgprs: 33
; ScratchSize: 0
; MemoryBound: 0
; FloatMode: 240
; IeeeMode: 1
; LDSByteSize: 0 bytes/workgroup (compile time only)
; SGPRBlocks: 3
; VGPRBlocks: 4
; NumSGPRsForWavesPerEU: 28
; NumVGPRsForWavesPerEU: 33
; AccumOffset: 36
; Occupancy: 8
; WaveLimiterHint : 0
; COMPUTE_PGM_RSRC2:SCRATCH_EN: 0
; COMPUTE_PGM_RSRC2:USER_SGPR: 6
; COMPUTE_PGM_RSRC2:TRAP_HANDLER: 0
; COMPUTE_PGM_RSRC2:TGID_X_EN: 1
; COMPUTE_PGM_RSRC2:TGID_Y_EN: 0
; COMPUTE_PGM_RSRC2:TGID_Z_EN: 0
; COMPUTE_PGM_RSRC2:TIDIG_COMP_CNT: 1
; COMPUTE_PGM_RSRC3_GFX90A:ACCUM_OFFSET: 8
; COMPUTE_PGM_RSRC3_GFX90A:TG_SPLIT: 0
	.section	.text._ZN4vllm3moe17topkGatingSoftmaxIfLi8ELi64ELi8ELi32ELb1ELi0ELNS0_23SharedExpertScoringFuncE0EEEvPKT_PKbPfiPiS9_iiiiii,"axG",@progbits,_ZN4vllm3moe17topkGatingSoftmaxIfLi8ELi64ELi8ELi32ELb1ELi0ELNS0_23SharedExpertScoringFuncE0EEEvPKT_PKbPfiPiS9_iiiiii,comdat
	.protected	_ZN4vllm3moe17topkGatingSoftmaxIfLi8ELi64ELi8ELi32ELb1ELi0ELNS0_23SharedExpertScoringFuncE0EEEvPKT_PKbPfiPiS9_iiiiii ; -- Begin function _ZN4vllm3moe17topkGatingSoftmaxIfLi8ELi64ELi8ELi32ELb1ELi0ELNS0_23SharedExpertScoringFuncE0EEEvPKT_PKbPfiPiS9_iiiiii
	.globl	_ZN4vllm3moe17topkGatingSoftmaxIfLi8ELi64ELi8ELi32ELb1ELi0ELNS0_23SharedExpertScoringFuncE0EEEvPKT_PKbPfiPiS9_iiiiii
	.p2align	8
	.type	_ZN4vllm3moe17topkGatingSoftmaxIfLi8ELi64ELi8ELi32ELb1ELi0ELNS0_23SharedExpertScoringFuncE0EEEvPKT_PKbPfiPiS9_iiiiii,@function
_ZN4vllm3moe17topkGatingSoftmaxIfLi8ELi64ELi8ELi32ELb1ELi0ELNS0_23SharedExpertScoringFuncE0EEEvPKT_PKbPfiPiS9_iiiiii: ; @_ZN4vllm3moe17topkGatingSoftmaxIfLi8ELi64ELi8ELi32ELb1ELi0ELNS0_23SharedExpertScoringFuncE0EEEvPKT_PKbPfiPiS9_iiiiii
; %bb.0:
	s_load_dword s24, s[4:5], 0x18
	v_bfe_u32 v1, v0, 10, 10
	v_and_b32_e32 v0, 0x3ff, v0
	s_lshl_b32 s25, s6, 6
	v_lshlrev_b32_e32 v26, 3, v1
	v_lshrrev_b32_e32 v27, 3, v0
	v_add3_u32 v14, s25, v26, v27
	s_waitcnt lgkmcnt(0)
	v_cmp_gt_i32_e32 vcc, s24, v14
	s_and_saveexec_b64 s[0:1], vcc
	s_cbranch_execz .LBB61_27
; %bb.1:
	s_load_dwordx4 s[0:3], s[4:5], 0x0
	s_load_dwordx2 s[16:17], s[4:5], 0x10
	s_waitcnt lgkmcnt(0)
	s_cmp_eq_u64 s[2:3], 0
	s_cbranch_scc1 .LBB61_3
; %bb.2:
	v_ashrrev_i32_e32 v1, 31, v14
	v_mov_b32_e32 v3, s3
	v_add_co_u32_e32 v2, vcc, s2, v14
	v_addc_co_u32_e32 v3, vcc, v3, v1, vcc
	global_load_ubyte v1, v[2:3], off
	s_waitcnt vmcnt(0)
	v_and_b32_e32 v1, 1, v1
	v_cmp_eq_u32_e32 vcc, 1, v1
	s_xor_b64 s[2:3], vcc, -1
	s_orn2_b64 s[18:19], s[2:3], exec
	s_branch .LBB61_4
.LBB61_3:
	s_mov_b64 s[18:19], -1
.LBB61_4:
	s_load_dwordx2 s[22:23], s[4:5], 0x40
	s_load_dwordx4 s[8:11], s[4:5], 0x30
	v_mov_b32_e32 v1, s1
	v_and_b32_e32 v15, 7, v0
	v_lshlrev_b32_e32 v0, 5, v15
	s_waitcnt lgkmcnt(0)
	v_mul_lo_u32 v2, v14, s23
	v_ashrrev_i32_e32 v3, 31, v2
	v_lshlrev_b64 v[2:3], 2, v[2:3]
	v_add_co_u32_e32 v2, vcc, s0, v2
	v_addc_co_u32_e32 v1, vcc, v1, v3, vcc
	v_add_co_u32_e32 v8, vcc, v2, v0
	v_addc_co_u32_e32 v9, vcc, 0, v1, vcc
	global_load_dwordx4 v[0:3], v[8:9], off
	global_load_dwordx4 v[4:7], v[8:9], off offset:16
	v_lshlrev_b32_e32 v17, 3, v15
	v_or_b32_e32 v18, 1, v17
	v_or_b32_e32 v19, 2, v17
	;; [unrolled: 1-line block ×7, first 2 shown]
	v_mov_b32_e32 v16, 0
	s_waitcnt vmcnt(1)
	v_cmp_lt_f32_e32 vcc, v0, v1
	v_cndmask_b32_e32 v9, v0, v1, vcc
	v_cndmask_b32_e32 v8, v17, v18, vcc
	v_cmp_lt_f32_e32 vcc, v9, v2
	v_cndmask_b32_e32 v9, v9, v2, vcc
	v_cndmask_b32_e32 v8, v8, v19, vcc
	;; [unrolled: 3-line block ×3, first 2 shown]
	s_waitcnt vmcnt(0)
	v_cmp_lt_f32_e32 vcc, v9, v4
	v_cndmask_b32_e32 v9, v9, v4, vcc
	v_cndmask_b32_e32 v8, v8, v21, vcc
	v_cmp_lt_f32_e32 vcc, v9, v5
	v_cndmask_b32_e32 v9, v9, v5, vcc
	v_cndmask_b32_e32 v8, v8, v22, vcc
	;; [unrolled: 3-line block ×4, first 2 shown]
	s_nop 0
	v_mov_b32_dpp v10, v8 quad_perm:[1,0,3,2] row_mask:0xf bank_mask:0xf
	v_mov_b32_dpp v11, v9 quad_perm:[1,0,3,2] row_mask:0xf bank_mask:0xf
	v_cmp_lt_i32_e32 vcc, v10, v8
	v_cmp_eq_f32_e64 s[2:3], v9, v11
	v_cmp_lt_f32_e64 s[0:1], v9, v11
	s_and_b64 s[2:3], s[2:3], vcc
	s_or_b64 vcc, s[0:1], s[2:3]
	v_cndmask_b32_e32 v9, v9, v11, vcc
	v_cndmask_b32_e32 v10, v8, v10, vcc
	s_nop 0
	v_mov_b32_dpp v8, v9 quad_perm:[2,3,0,1] row_mask:0xf bank_mask:0xf
	v_mov_b32_dpp v11, v10 quad_perm:[2,3,0,1] row_mask:0xf bank_mask:0xf
	v_cmp_eq_f32_e64 s[0:1], v9, v8
	v_cmp_lt_i32_e64 s[2:3], v11, v10
	v_cmp_lt_f32_e32 vcc, v9, v8
	s_and_b64 s[0:1], s[0:1], s[2:3]
	s_or_b64 vcc, vcc, s[0:1]
	v_cndmask_b32_e32 v8, v9, v8, vcc
	v_cndmask_b32_e32 v9, v10, v11, vcc
	s_cmp_gt_i32 s8, 0
	v_mov_b32_dpp v10, v8 row_half_mirror row_mask:0xf bank_mask:0xf
	v_mov_b32_dpp v11, v9 row_half_mirror row_mask:0xf bank_mask:0xf
	s_cselect_b64 s[20:21], -1, 0
	s_cmp_lt_i32 s8, 1
	v_cmp_eq_u32_e32 vcc, 0, v15
	s_cbranch_scc1 .LBB61_16
; %bb.5:
	s_load_dwordx4 s[12:15], s[4:5], 0x20
	v_cmp_eq_f32_e64 s[2:3], v8, v10
	v_cmp_lt_i32_e64 s[6:7], v11, v9
	v_cmp_lt_f32_e64 s[0:1], v8, v10
	s_and_b64 s[2:3], s[2:3], s[6:7]
	s_or_b64 s[0:1], s[0:1], s[2:3]
	v_cndmask_b32_e64 v28, v9, v11, s[0:1]
	v_cndmask_b32_e64 v25, v8, v10, s[0:1]
	v_mul_lo_u32 v12, v14, s11
	v_mul_lo_u32 v10, v14, s22
	;; [unrolled: 1-line block ×3, first 2 shown]
	v_mov_b32_e32 v16, 0
	s_and_saveexec_b64 s[4:5], vcc
	s_cbranch_execz .LBB61_7
; %bb.6:
	v_sub_f32_e32 v9, v25, v25
	v_mul_f32_e32 v11, 0x3fb8aa3b, v9
	s_mov_b32 s0, 0x3fb8aa3b
	v_rndne_f32_e32 v13, v11
	v_sub_f32_e32 v16, v11, v13
	v_fma_f32 v11, v9, s0, -v11
	v_fmac_f32_e32 v11, 0x32a5705f, v9
	v_add_f32_e32 v11, v16, v11
	v_exp_f32_e32 v11, v11
	v_cvt_i32_f32_e32 v13, v13
	v_cmp_le_i32_e64 s[0:1], s9, v28
	v_cmp_gt_i32_e64 s[2:3], s10, v28
	s_and_b64 s[2:3], s[0:1], s[2:3]
	s_mov_b32 s0, 0xc2ce8ed0
	v_ldexp_f32 v11, v11, v13
	v_cmp_ngt_f32_e64 s[0:1], s0, v9
	v_cndmask_b32_e64 v11, 0, v11, s[0:1]
	s_mov_b32 s0, 0x42b17218
	v_mov_b32_e32 v13, 0x7f800000
	v_cmp_nlt_f32_e64 s[0:1], s0, v9
	v_cndmask_b32_e64 v16, v13, v11, s[0:1]
	v_ashrrev_i32_e32 v13, 31, v12
	v_lshlrev_b64 v[30:31], 2, v[12:13]
	v_mov_b32_e32 v9, s17
	v_add_co_u32_e64 v30, s[0:1], s16, v30
	v_addc_co_u32_e64 v31, s[0:1], v9, v31, s[0:1]
	v_ashrrev_i32_e32 v11, 31, v10
	global_store_dword v[30:31], v16, off
	v_subrev_u32_e32 v9, s9, v28
	s_and_b64 s[0:1], s[18:19], s[2:3]
	v_lshlrev_b64 v[30:31], 2, v[10:11]
	v_cndmask_b32_e64 v9, 64, v9, s[0:1]
	s_waitcnt lgkmcnt(0)
	v_mov_b32_e32 v11, s13
	v_add_co_u32_e64 v30, s[0:1], s12, v30
	v_addc_co_u32_e64 v31, s[0:1], v11, v31, s[0:1]
	global_store_dword v[30:31], v9, off
	v_ashrrev_i32_e32 v9, 31, v8
	v_lshlrev_b64 v[30:31], 2, v[8:9]
	v_mov_b32_e32 v9, s15
	v_add_co_u32_e64 v30, s[0:1], s14, v30
	v_addc_co_u32_e64 v31, s[0:1], v9, v31, s[0:1]
	global_store_dword v[30:31], v14, off
.LBB61_7:
	s_or_b64 exec, exec, s[4:5]
	v_ashrrev_i32_e32 v11, 31, v28
	v_lshrrev_b32_e32 v9, 29, v11
	v_add_u32_e32 v9, v28, v9
	v_ashrrev_i32_e32 v9, 3, v9
	v_lshrrev_b32_e32 v13, 29, v9
	v_add_u32_e32 v13, v9, v13
	v_and_b32_e32 v13, -8, v13
	v_sub_u32_e32 v13, v9, v13
	v_cmp_eq_u32_e64 s[0:1], v15, v13
	s_and_saveexec_b64 s[2:3], s[0:1]
	s_cbranch_execz .LBB61_9
; %bb.8:
	v_lshrrev_b32_e32 v11, 26, v11
	v_add_u32_e32 v11, v28, v11
	v_lshlrev_b32_e32 v9, 3, v9
	v_ashrrev_i32_e32 v11, 6, v11
	v_sub_u32_e32 v9, v28, v9
	v_lshl_add_u32 v9, v11, 3, v9
	v_mov_b32_e32 v11, 0xff800000
	v_cmp_ne_u32_e64 s[0:1], 7, v9
	v_cndmask_b32_e64 v7, v11, v7, s[0:1]
	v_cmp_ne_u32_e64 s[0:1], 6, v9
	v_cndmask_b32_e64 v6, v11, v6, s[0:1]
	;; [unrolled: 2-line block ×8, first 2 shown]
.LBB61_9:
	s_or_b64 exec, exec, s[2:3]
	s_cmp_eq_u32 s8, 1
	s_cbranch_scc1 .LBB61_16
; %bb.10:
	s_add_i32 s25, s25, s24
	s_add_i32 s6, s8, -1
	v_add3_u32 v26, s25, v27, v26
	v_add_u32_e32 v8, 1, v8
	v_add_u32_e32 v10, 1, v10
	;; [unrolled: 1-line block ×3, first 2 shown]
	s_mov_b32 s7, 0x3fb8aa3b
	s_mov_b32 s22, 0xc2ce8ed0
	;; [unrolled: 1-line block ×3, first 2 shown]
	v_mov_b32_e32 v27, 0x7f800000
	v_mov_b32_e32 v28, 0xff800000
	s_branch .LBB61_12
.LBB61_11:                              ;   in Loop: Header=BB61_12 Depth=1
	s_or_b64 exec, exec, s[2:3]
	s_add_i32 s6, s6, -1
	v_add_u32_e32 v26, s24, v26
	v_add_u32_e32 v8, 1, v8
	;; [unrolled: 1-line block ×3, first 2 shown]
	s_cmp_eq_u32 s6, 0
	v_add_u32_e32 v12, 1, v12
	s_cbranch_scc1 .LBB61_16
.LBB61_12:                              ; =>This Inner Loop Header: Depth=1
	v_cmp_gt_f32_e64 s[0:1], v1, v0
	v_cndmask_b32_e64 v11, v0, v1, s[0:1]
	v_cndmask_b32_e64 v9, v17, v18, s[0:1]
	v_cmp_gt_f32_e64 s[0:1], v2, v11
	v_cndmask_b32_e64 v11, v11, v2, s[0:1]
	v_cndmask_b32_e64 v9, v9, v19, s[0:1]
	;; [unrolled: 3-line block ×7, first 2 shown]
	s_nop 0
	v_mov_b32_dpp v13, v9 quad_perm:[1,0,3,2] row_mask:0xf bank_mask:0xf
	v_mov_b32_dpp v29, v11 quad_perm:[1,0,3,2] row_mask:0xf bank_mask:0xf
	v_cmp_eq_f32_e64 s[2:3], v11, v29
	v_cmp_lt_i32_e64 s[4:5], v13, v9
	v_cmp_lt_f32_e64 s[0:1], v11, v29
	s_and_b64 s[2:3], s[2:3], s[4:5]
	s_or_b64 s[0:1], s[0:1], s[2:3]
	v_cndmask_b32_e64 v11, v11, v29, s[0:1]
	v_cndmask_b32_e64 v13, v9, v13, s[0:1]
	s_nop 0
	v_mov_b32_dpp v9, v11 quad_perm:[2,3,0,1] row_mask:0xf bank_mask:0xf
	v_mov_b32_dpp v29, v13 quad_perm:[2,3,0,1] row_mask:0xf bank_mask:0xf
	v_cmp_eq_f32_e64 s[2:3], v11, v9
	v_cmp_lt_i32_e64 s[4:5], v29, v13
	v_cmp_lt_f32_e64 s[0:1], v11, v9
	s_and_b64 s[2:3], s[2:3], s[4:5]
	s_or_b64 s[0:1], s[0:1], s[2:3]
	v_cndmask_b32_e64 v9, v11, v9, s[0:1]
	v_cndmask_b32_e64 v13, v13, v29, s[0:1]
	s_nop 0
	v_mov_b32_dpp v11, v9 row_half_mirror row_mask:0xf bank_mask:0xf
	v_mov_b32_dpp v29, v13 row_half_mirror row_mask:0xf bank_mask:0xf
	v_cmp_eq_f32_e64 s[2:3], v9, v11
	v_cmp_lt_i32_e64 s[4:5], v29, v13
	v_cmp_lt_f32_e64 s[0:1], v9, v11
	s_and_b64 s[2:3], s[2:3], s[4:5]
	s_or_b64 s[0:1], s[0:1], s[2:3]
	v_cndmask_b32_e64 v29, v13, v29, s[0:1]
	s_and_saveexec_b64 s[4:5], vcc
	s_cbranch_execz .LBB61_14
; %bb.13:                               ;   in Loop: Header=BB61_12 Depth=1
	v_cndmask_b32_e64 v9, v9, v11, s[0:1]
	v_sub_f32_e32 v9, v9, v25
	v_mul_f32_e32 v11, 0x3fb8aa3b, v9
	v_fma_f32 v13, v9, s7, -v11
	v_rndne_f32_e32 v30, v11
	v_fmac_f32_e32 v13, 0x32a5705f, v9
	v_sub_f32_e32 v11, v11, v30
	v_add_f32_e32 v11, v11, v13
	v_exp_f32_e32 v11, v11
	v_cvt_i32_f32_e32 v13, v30
	v_cmp_le_i32_e64 s[0:1], s9, v29
	v_cmp_gt_i32_e64 s[2:3], s10, v29
	s_and_b64 s[2:3], s[0:1], s[2:3]
	v_ldexp_f32 v11, v11, v13
	v_cmp_ngt_f32_e64 s[0:1], s22, v9
	v_ashrrev_i32_e32 v13, 31, v12
	v_cndmask_b32_e64 v11, 0, v11, s[0:1]
	v_cmp_nlt_f32_e64 s[0:1], s23, v9
	v_lshlrev_b64 v[30:31], 2, v[12:13]
	v_cndmask_b32_e64 v32, v27, v11, s[0:1]
	v_mov_b32_e32 v9, s17
	v_add_co_u32_e64 v30, s[0:1], s16, v30
	v_addc_co_u32_e64 v31, s[0:1], v9, v31, s[0:1]
	v_ashrrev_i32_e32 v11, 31, v10
	global_store_dword v[30:31], v32, off
	v_subrev_u32_e32 v9, s9, v29
	s_and_b64 s[0:1], s[18:19], s[2:3]
	v_lshlrev_b64 v[30:31], 2, v[10:11]
	v_cndmask_b32_e64 v9, 64, v9, s[0:1]
	s_waitcnt lgkmcnt(0)
	v_mov_b32_e32 v11, s13
	v_add_co_u32_e64 v30, s[0:1], s12, v30
	v_addc_co_u32_e64 v31, s[0:1], v11, v31, s[0:1]
	global_store_dword v[30:31], v9, off
	v_ashrrev_i32_e32 v9, 31, v8
	v_lshlrev_b64 v[30:31], 2, v[8:9]
	v_mov_b32_e32 v9, s15
	v_add_co_u32_e64 v30, s[0:1], s14, v30
	v_addc_co_u32_e64 v31, s[0:1], v9, v31, s[0:1]
	v_add_f32_e32 v16, v16, v32
	global_store_dword v[30:31], v26, off
.LBB61_14:                              ;   in Loop: Header=BB61_12 Depth=1
	s_or_b64 exec, exec, s[4:5]
	v_ashrrev_i32_e32 v11, 31, v29
	v_lshrrev_b32_e32 v9, 29, v11
	v_add_u32_e32 v9, v29, v9
	v_ashrrev_i32_e32 v9, 3, v9
	v_lshrrev_b32_e32 v13, 29, v9
	v_add_u32_e32 v13, v9, v13
	v_and_b32_e32 v13, -8, v13
	v_sub_u32_e32 v13, v9, v13
	v_cmp_eq_u32_e64 s[0:1], v15, v13
	s_and_saveexec_b64 s[2:3], s[0:1]
	s_cbranch_execz .LBB61_11
; %bb.15:                               ;   in Loop: Header=BB61_12 Depth=1
	v_lshrrev_b32_e32 v11, 26, v11
	v_add_u32_e32 v11, v29, v11
	v_lshlrev_b32_e32 v9, 3, v9
	v_ashrrev_i32_e32 v11, 6, v11
	v_sub_u32_e32 v9, v29, v9
	v_lshl_add_u32 v9, v11, 3, v9
	v_cmp_ne_u32_e64 s[0:1], 7, v9
	v_cndmask_b32_e64 v7, v28, v7, s[0:1]
	v_cmp_ne_u32_e64 s[0:1], 6, v9
	v_cndmask_b32_e64 v6, v28, v6, s[0:1]
	;; [unrolled: 2-line block ×8, first 2 shown]
	s_branch .LBB61_11
.LBB61_16:
	v_cmp_eq_u32_e32 vcc, 0, v15
	v_cmp_neq_f32_e64 s[0:1], 0, v16
	s_and_b64 s[0:1], vcc, s[0:1]
	s_and_b64 exec, exec, s[0:1]
	s_cbranch_execz .LBB61_27
; %bb.17:
	s_andn2_b64 vcc, exec, s[20:21]
	s_cbranch_vccnz .LBB61_27
; %bb.18:
	v_div_scale_f32 v0, s[0:1], v16, v16, 1.0
	v_rcp_f32_e32 v1, v0
	v_div_scale_f32 v2, vcc, 1.0, v16, 1.0
	s_cmp_gt_u32 s8, 3
	v_fma_f32 v3, -v0, v1, 1.0
	v_fmac_f32_e32 v1, v3, v1
	v_mul_f32_e32 v3, v2, v1
	v_fma_f32 v4, -v0, v3, v2
	v_fmac_f32_e32 v3, v4, v1
	v_fma_f32 v0, -v0, v3, v2
	v_div_fmas_f32 v0, v0, v1, v3
	v_mul_lo_u32 v2, v14, s11
	v_div_fixup_f32 v0, v0, v16, 1.0
	v_ashrrev_i32_e32 v3, 31, v2
	s_cbranch_scc0 .LBB61_22
; %bb.19:
	v_lshlrev_b64 v[4:5], 2, v[2:3]
	v_mov_b32_e32 v6, s17
	v_add_co_u32_e32 v4, vcc, s16, v4
	v_addc_co_u32_e32 v5, vcc, v5, v6, vcc
	s_and_b32 s4, s8, 0x7ffffffc
	v_add_co_u32_e32 v4, vcc, 8, v4
	v_mov_b32_e32 v1, v0
	v_addc_co_u32_e32 v5, vcc, 0, v5, vcc
	s_mov_b32 s0, s4
.LBB61_20:                              ; =>This Inner Loop Header: Depth=1
	global_load_dwordx4 v[6:9], v[4:5], off offset:-8
	s_add_i32 s0, s0, -4
	s_cmp_lg_u32 s0, 0
	s_waitcnt vmcnt(0)
	v_pk_mul_f32 v[6:7], v[0:1], v[6:7]
	v_pk_mul_f32 v[8:9], v[0:1], v[8:9]
	global_store_dwordx4 v[4:5], v[6:9], off offset:-8
	v_add_co_u32_e32 v4, vcc, 16, v4
	v_addc_co_u32_e32 v5, vcc, 0, v5, vcc
	s_cbranch_scc1 .LBB61_20
; %bb.21:
	s_cmp_lg_u32 s4, s8
	s_cselect_b64 s[0:1], -1, 0
	s_branch .LBB61_24
.LBB61_22:
	s_mov_b64 s[0:1], 0
                                        ; implicit-def: $sgpr4
	s_cbranch_execz .LBB61_24
; %bb.23:
	s_mov_b64 s[0:1], -1
	s_mov_b32 s4, 0
.LBB61_24:
	s_andn2_b64 vcc, exec, s[0:1]
	s_cbranch_vccnz .LBB61_27
; %bb.25:
	v_add_co_u32_e32 v2, vcc, s4, v2
	v_addc_co_u32_e32 v3, vcc, 0, v3, vcc
	v_lshlrev_b64 v[2:3], 2, v[2:3]
	v_mov_b32_e32 v1, s17
	v_add_co_u32_e32 v2, vcc, s16, v2
	s_sub_i32 s0, s8, s4
	v_addc_co_u32_e32 v3, vcc, v1, v3, vcc
.LBB61_26:                              ; =>This Inner Loop Header: Depth=1
	global_load_dword v1, v[2:3], off
	s_add_i32 s0, s0, -1
	s_cmp_lg_u32 s0, 0
	s_waitcnt vmcnt(0)
	v_mul_f32_e32 v1, v0, v1
	global_store_dword v[2:3], v1, off
	v_add_co_u32_e32 v2, vcc, 4, v2
	v_addc_co_u32_e32 v3, vcc, 0, v3, vcc
	s_cbranch_scc1 .LBB61_26
.LBB61_27:
	s_endpgm
	.section	.rodata,"a",@progbits
	.p2align	6, 0x0
	.amdhsa_kernel _ZN4vllm3moe17topkGatingSoftmaxIfLi8ELi64ELi8ELi32ELb1ELi0ELNS0_23SharedExpertScoringFuncE0EEEvPKT_PKbPfiPiS9_iiiiii
		.amdhsa_group_segment_fixed_size 0
		.amdhsa_private_segment_fixed_size 0
		.amdhsa_kernarg_size 72
		.amdhsa_user_sgpr_count 6
		.amdhsa_user_sgpr_private_segment_buffer 1
		.amdhsa_user_sgpr_dispatch_ptr 0
		.amdhsa_user_sgpr_queue_ptr 0
		.amdhsa_user_sgpr_kernarg_segment_ptr 1
		.amdhsa_user_sgpr_dispatch_id 0
		.amdhsa_user_sgpr_flat_scratch_init 0
		.amdhsa_user_sgpr_kernarg_preload_length 0
		.amdhsa_user_sgpr_kernarg_preload_offset 0
		.amdhsa_user_sgpr_private_segment_size 0
		.amdhsa_uses_dynamic_stack 0
		.amdhsa_system_sgpr_private_segment_wavefront_offset 0
		.amdhsa_system_sgpr_workgroup_id_x 1
		.amdhsa_system_sgpr_workgroup_id_y 0
		.amdhsa_system_sgpr_workgroup_id_z 0
		.amdhsa_system_sgpr_workgroup_info 0
		.amdhsa_system_vgpr_workitem_id 1
		.amdhsa_next_free_vgpr 33
		.amdhsa_next_free_sgpr 26
		.amdhsa_accum_offset 36
		.amdhsa_reserve_vcc 1
		.amdhsa_reserve_flat_scratch 0
		.amdhsa_float_round_mode_32 0
		.amdhsa_float_round_mode_16_64 0
		.amdhsa_float_denorm_mode_32 3
		.amdhsa_float_denorm_mode_16_64 3
		.amdhsa_dx10_clamp 1
		.amdhsa_ieee_mode 1
		.amdhsa_fp16_overflow 0
		.amdhsa_tg_split 0
		.amdhsa_exception_fp_ieee_invalid_op 0
		.amdhsa_exception_fp_denorm_src 0
		.amdhsa_exception_fp_ieee_div_zero 0
		.amdhsa_exception_fp_ieee_overflow 0
		.amdhsa_exception_fp_ieee_underflow 0
		.amdhsa_exception_fp_ieee_inexact 0
		.amdhsa_exception_int_div_zero 0
	.end_amdhsa_kernel
	.section	.text._ZN4vllm3moe17topkGatingSoftmaxIfLi8ELi64ELi8ELi32ELb1ELi0ELNS0_23SharedExpertScoringFuncE0EEEvPKT_PKbPfiPiS9_iiiiii,"axG",@progbits,_ZN4vllm3moe17topkGatingSoftmaxIfLi8ELi64ELi8ELi32ELb1ELi0ELNS0_23SharedExpertScoringFuncE0EEEvPKT_PKbPfiPiS9_iiiiii,comdat
.Lfunc_end61:
	.size	_ZN4vllm3moe17topkGatingSoftmaxIfLi8ELi64ELi8ELi32ELb1ELi0ELNS0_23SharedExpertScoringFuncE0EEEvPKT_PKbPfiPiS9_iiiiii, .Lfunc_end61-_ZN4vllm3moe17topkGatingSoftmaxIfLi8ELi64ELi8ELi32ELb1ELi0ELNS0_23SharedExpertScoringFuncE0EEEvPKT_PKbPfiPiS9_iiiiii
                                        ; -- End function
	.section	.AMDGPU.csdata,"",@progbits
; Kernel info:
; codeLenInByte = 2388
; NumSgprs: 30
; NumVgprs: 33
; NumAgprs: 0
; TotalNumVgprs: 33
; ScratchSize: 0
; MemoryBound: 0
; FloatMode: 240
; IeeeMode: 1
; LDSByteSize: 0 bytes/workgroup (compile time only)
; SGPRBlocks: 3
; VGPRBlocks: 4
; NumSGPRsForWavesPerEU: 30
; NumVGPRsForWavesPerEU: 33
; AccumOffset: 36
; Occupancy: 8
; WaveLimiterHint : 0
; COMPUTE_PGM_RSRC2:SCRATCH_EN: 0
; COMPUTE_PGM_RSRC2:USER_SGPR: 6
; COMPUTE_PGM_RSRC2:TRAP_HANDLER: 0
; COMPUTE_PGM_RSRC2:TGID_X_EN: 1
; COMPUTE_PGM_RSRC2:TGID_Y_EN: 0
; COMPUTE_PGM_RSRC2:TGID_Z_EN: 0
; COMPUTE_PGM_RSRC2:TIDIG_COMP_CNT: 1
; COMPUTE_PGM_RSRC3_GFX90A:ACCUM_OFFSET: 8
; COMPUTE_PGM_RSRC3_GFX90A:TG_SPLIT: 0
	.section	.text._ZN4vllm3moe17topkGatingSoftmaxIfLi8ELi64ELi8ELi32ELb0ELi0ELNS0_23SharedExpertScoringFuncE0EEEvPKT_PKbPfiPiS9_iiiiii,"axG",@progbits,_ZN4vllm3moe17topkGatingSoftmaxIfLi8ELi64ELi8ELi32ELb0ELi0ELNS0_23SharedExpertScoringFuncE0EEEvPKT_PKbPfiPiS9_iiiiii,comdat
	.protected	_ZN4vllm3moe17topkGatingSoftmaxIfLi8ELi64ELi8ELi32ELb0ELi0ELNS0_23SharedExpertScoringFuncE0EEEvPKT_PKbPfiPiS9_iiiiii ; -- Begin function _ZN4vllm3moe17topkGatingSoftmaxIfLi8ELi64ELi8ELi32ELb0ELi0ELNS0_23SharedExpertScoringFuncE0EEEvPKT_PKbPfiPiS9_iiiiii
	.globl	_ZN4vllm3moe17topkGatingSoftmaxIfLi8ELi64ELi8ELi32ELb0ELi0ELNS0_23SharedExpertScoringFuncE0EEEvPKT_PKbPfiPiS9_iiiiii
	.p2align	8
	.type	_ZN4vllm3moe17topkGatingSoftmaxIfLi8ELi64ELi8ELi32ELb0ELi0ELNS0_23SharedExpertScoringFuncE0EEEvPKT_PKbPfiPiS9_iiiiii,@function
_ZN4vllm3moe17topkGatingSoftmaxIfLi8ELi64ELi8ELi32ELb0ELi0ELNS0_23SharedExpertScoringFuncE0EEEvPKT_PKbPfiPiS9_iiiiii: ; @_ZN4vllm3moe17topkGatingSoftmaxIfLi8ELi64ELi8ELi32ELb0ELi0ELNS0_23SharedExpertScoringFuncE0EEEvPKT_PKbPfiPiS9_iiiiii
; %bb.0:
	s_load_dword s22, s[4:5], 0x18
	v_bfe_u32 v1, v0, 10, 10
	v_and_b32_e32 v0, 0x3ff, v0
	s_lshl_b32 s23, s6, 6
	v_lshlrev_b32_e32 v26, 3, v1
	v_lshrrev_b32_e32 v27, 3, v0
	v_add3_u32 v14, s23, v26, v27
	s_waitcnt lgkmcnt(0)
	v_cmp_gt_i32_e32 vcc, s22, v14
	s_and_saveexec_b64 s[0:1], vcc
	s_cbranch_execz .LBB62_29
; %bb.1:
	s_load_dwordx4 s[0:3], s[4:5], 0x0
	s_load_dwordx2 s[6:7], s[4:5], 0x10
	s_waitcnt lgkmcnt(0)
	s_cmp_eq_u64 s[2:3], 0
	s_cbranch_scc1 .LBB62_3
; %bb.2:
	v_ashrrev_i32_e32 v1, 31, v14
	v_mov_b32_e32 v3, s3
	v_add_co_u32_e32 v2, vcc, s2, v14
	v_addc_co_u32_e32 v3, vcc, v3, v1, vcc
	global_load_ubyte v1, v[2:3], off
	s_waitcnt vmcnt(0)
	v_and_b32_e32 v1, 1, v1
	v_cmp_eq_u32_e32 vcc, 1, v1
	s_xor_b64 s[2:3], vcc, -1
	s_orn2_b64 s[18:19], s[2:3], exec
	s_branch .LBB62_4
.LBB62_3:
	s_mov_b64 s[18:19], -1
.LBB62_4:
	s_load_dwordx2 s[20:21], s[4:5], 0x40
	s_load_dwordx4 s[8:11], s[4:5], 0x30
	v_mov_b32_e32 v1, s1
	v_and_b32_e32 v15, 7, v0
	v_lshlrev_b32_e32 v0, 5, v15
	s_waitcnt lgkmcnt(0)
	v_mul_lo_u32 v2, v14, s21
	v_ashrrev_i32_e32 v3, 31, v2
	v_lshlrev_b64 v[2:3], 2, v[2:3]
	v_add_co_u32_e32 v2, vcc, s0, v2
	v_addc_co_u32_e32 v1, vcc, v1, v3, vcc
	v_add_co_u32_e32 v8, vcc, v2, v0
	v_addc_co_u32_e32 v9, vcc, 0, v1, vcc
	global_load_dwordx4 v[4:7], v[8:9], off
	global_load_dwordx4 v[0:3], v[8:9], off offset:16
	v_lshlrev_b32_e32 v18, 3, v15
	v_or_b32_e32 v19, 1, v18
	v_or_b32_e32 v20, 2, v18
	;; [unrolled: 1-line block ×7, first 2 shown]
	v_mov_b32_e32 v16, 0
	s_waitcnt vmcnt(1)
	v_cmp_lt_f32_e32 vcc, v4, v5
	v_cndmask_b32_e32 v9, v4, v5, vcc
	v_cndmask_b32_e32 v8, v18, v19, vcc
	v_cmp_lt_f32_e32 vcc, v9, v6
	v_cndmask_b32_e32 v9, v9, v6, vcc
	v_cndmask_b32_e32 v8, v8, v20, vcc
	;; [unrolled: 3-line block ×3, first 2 shown]
	s_waitcnt vmcnt(0)
	v_cmp_lt_f32_e32 vcc, v9, v0
	v_cndmask_b32_e32 v9, v9, v0, vcc
	v_cndmask_b32_e32 v8, v8, v22, vcc
	v_cmp_lt_f32_e32 vcc, v9, v1
	v_cndmask_b32_e32 v9, v9, v1, vcc
	v_cndmask_b32_e32 v8, v8, v23, vcc
	;; [unrolled: 3-line block ×4, first 2 shown]
	s_nop 0
	v_mov_b32_dpp v10, v8 quad_perm:[1,0,3,2] row_mask:0xf bank_mask:0xf
	v_mov_b32_dpp v11, v9 quad_perm:[1,0,3,2] row_mask:0xf bank_mask:0xf
	v_cmp_lt_i32_e32 vcc, v10, v8
	v_cmp_eq_f32_e64 s[2:3], v9, v11
	v_cmp_lt_f32_e64 s[0:1], v9, v11
	s_and_b64 s[2:3], s[2:3], vcc
	s_or_b64 vcc, s[0:1], s[2:3]
	v_cndmask_b32_e32 v9, v9, v11, vcc
	v_cndmask_b32_e32 v8, v8, v10, vcc
	s_nop 0
	v_mov_b32_dpp v10, v9 quad_perm:[2,3,0,1] row_mask:0xf bank_mask:0xf
	v_mov_b32_dpp v11, v8 quad_perm:[2,3,0,1] row_mask:0xf bank_mask:0xf
	v_cmp_eq_f32_e64 s[0:1], v9, v10
	v_cmp_lt_i32_e64 s[2:3], v11, v8
	v_cmp_lt_f32_e32 vcc, v9, v10
	s_and_b64 s[0:1], s[0:1], s[2:3]
	s_or_b64 vcc, vcc, s[0:1]
	v_cndmask_b32_e32 v10, v9, v10, vcc
	v_cndmask_b32_e32 v8, v8, v11, vcc
	s_nop 0
	v_mov_b32_dpp v11, v10 row_half_mirror row_mask:0xf bank_mask:0xf
	v_mov_b32_dpp v9, v8 row_half_mirror row_mask:0xf bank_mask:0xf
	v_cmp_eq_f32_e64 s[0:1], v10, v11
	v_cmp_lt_i32_e64 s[2:3], v9, v8
	v_cmp_lt_f32_e32 vcc, v10, v11
	s_and_b64 s[0:1], s[0:1], s[2:3]
	s_or_b64 s[0:1], vcc, s[0:1]
	s_cmp_gt_i32 s8, 0
	v_cndmask_b32_e64 v17, v10, v11, s[0:1]
	s_cselect_b64 s[16:17], -1, 0
	s_cmp_lt_i32 s8, 1
	v_cmp_eq_u32_e32 vcc, 0, v15
	s_cbranch_scc1 .LBB62_16
; %bb.5:
	s_load_dwordx4 s[12:15], s[4:5], 0x20
	v_cndmask_b32_e64 v28, v8, v9, s[0:1]
	v_mul_lo_u32 v12, v14, s11
	v_mul_lo_u32 v10, v14, s20
	;; [unrolled: 1-line block ×3, first 2 shown]
	v_mov_b32_e32 v16, 0
	s_and_saveexec_b64 s[4:5], vcc
	s_cbranch_execz .LBB62_7
; %bb.6:
	v_sub_f32_e32 v9, v17, v17
	v_mul_f32_e32 v11, 0x3fb8aa3b, v9
	s_mov_b32 s0, 0x3fb8aa3b
	v_rndne_f32_e32 v13, v11
	v_sub_f32_e32 v16, v11, v13
	v_fma_f32 v11, v9, s0, -v11
	v_fmac_f32_e32 v11, 0x32a5705f, v9
	v_add_f32_e32 v11, v16, v11
	v_exp_f32_e32 v11, v11
	v_cvt_i32_f32_e32 v13, v13
	v_cmp_le_i32_e64 s[0:1], s9, v28
	v_cmp_gt_i32_e64 s[2:3], s10, v28
	s_and_b64 s[2:3], s[0:1], s[2:3]
	s_mov_b32 s0, 0xc2ce8ed0
	v_ldexp_f32 v11, v11, v13
	v_cmp_ngt_f32_e64 s[0:1], s0, v9
	v_cndmask_b32_e64 v11, 0, v11, s[0:1]
	s_mov_b32 s0, 0x42b17218
	v_mov_b32_e32 v13, 0x7f800000
	v_cmp_nlt_f32_e64 s[0:1], s0, v9
	v_cndmask_b32_e64 v16, v13, v11, s[0:1]
	v_ashrrev_i32_e32 v13, 31, v12
	v_lshlrev_b64 v[30:31], 2, v[12:13]
	v_mov_b32_e32 v9, s7
	v_add_co_u32_e64 v30, s[0:1], s6, v30
	v_addc_co_u32_e64 v31, s[0:1], v9, v31, s[0:1]
	v_ashrrev_i32_e32 v11, 31, v10
	global_store_dword v[30:31], v16, off
	v_subrev_u32_e32 v9, s9, v28
	s_and_b64 s[0:1], s[18:19], s[2:3]
	v_lshlrev_b64 v[30:31], 2, v[10:11]
	v_cndmask_b32_e64 v9, 64, v9, s[0:1]
	s_waitcnt lgkmcnt(0)
	v_mov_b32_e32 v11, s13
	v_add_co_u32_e64 v30, s[0:1], s12, v30
	v_addc_co_u32_e64 v31, s[0:1], v11, v31, s[0:1]
	global_store_dword v[30:31], v9, off
	v_ashrrev_i32_e32 v9, 31, v8
	v_lshlrev_b64 v[30:31], 2, v[8:9]
	v_mov_b32_e32 v9, s15
	v_add_co_u32_e64 v30, s[0:1], s14, v30
	v_addc_co_u32_e64 v31, s[0:1], v9, v31, s[0:1]
	global_store_dword v[30:31], v14, off
.LBB62_7:
	s_or_b64 exec, exec, s[4:5]
	v_ashrrev_i32_e32 v11, 31, v28
	v_lshrrev_b32_e32 v9, 29, v11
	v_add_u32_e32 v9, v28, v9
	v_ashrrev_i32_e32 v9, 3, v9
	v_lshrrev_b32_e32 v13, 29, v9
	v_add_u32_e32 v13, v9, v13
	v_and_b32_e32 v13, -8, v13
	v_sub_u32_e32 v13, v9, v13
	v_cmp_eq_u32_e64 s[0:1], v15, v13
	s_and_saveexec_b64 s[2:3], s[0:1]
	s_cbranch_execz .LBB62_9
; %bb.8:
	v_lshrrev_b32_e32 v11, 26, v11
	v_add_u32_e32 v11, v28, v11
	v_lshlrev_b32_e32 v9, 3, v9
	v_ashrrev_i32_e32 v11, 6, v11
	v_sub_u32_e32 v9, v28, v9
	v_lshl_add_u32 v9, v11, 3, v9
	v_mov_b32_e32 v11, 0xff800000
	v_cmp_ne_u32_e64 s[0:1], 7, v9
	v_cndmask_b32_e64 v3, v11, v3, s[0:1]
	v_cmp_ne_u32_e64 s[0:1], 6, v9
	v_cndmask_b32_e64 v2, v11, v2, s[0:1]
	;; [unrolled: 2-line block ×8, first 2 shown]
.LBB62_9:
	s_or_b64 exec, exec, s[2:3]
	s_cmp_eq_u32 s8, 1
	s_cbranch_scc1 .LBB62_16
; %bb.10:
	s_add_i32 s23, s23, s22
	s_add_i32 s20, s8, -1
	v_add3_u32 v26, s23, v27, v26
	v_add_u32_e32 v8, 1, v8
	v_add_u32_e32 v10, 1, v10
	;; [unrolled: 1-line block ×3, first 2 shown]
	s_mov_b32 s21, 0x3fb8aa3b
	s_mov_b32 s23, 0xc2ce8ed0
	;; [unrolled: 1-line block ×3, first 2 shown]
	v_mov_b32_e32 v27, 0x7f800000
	v_mov_b32_e32 v28, 0xff800000
	s_branch .LBB62_12
.LBB62_11:                              ;   in Loop: Header=BB62_12 Depth=1
	s_or_b64 exec, exec, s[2:3]
	s_add_i32 s20, s20, -1
	v_add_u32_e32 v26, s22, v26
	v_add_u32_e32 v8, 1, v8
	;; [unrolled: 1-line block ×3, first 2 shown]
	s_cmp_eq_u32 s20, 0
	v_add_u32_e32 v12, 1, v12
	s_cbranch_scc1 .LBB62_16
.LBB62_12:                              ; =>This Inner Loop Header: Depth=1
	v_cmp_gt_f32_e64 s[0:1], v5, v4
	v_cndmask_b32_e64 v11, v4, v5, s[0:1]
	v_cndmask_b32_e64 v9, v18, v19, s[0:1]
	v_cmp_gt_f32_e64 s[0:1], v6, v11
	v_cndmask_b32_e64 v11, v11, v6, s[0:1]
	v_cndmask_b32_e64 v9, v9, v20, s[0:1]
	;; [unrolled: 3-line block ×7, first 2 shown]
	s_nop 0
	v_mov_b32_dpp v13, v9 quad_perm:[1,0,3,2] row_mask:0xf bank_mask:0xf
	v_mov_b32_dpp v29, v11 quad_perm:[1,0,3,2] row_mask:0xf bank_mask:0xf
	v_cmp_eq_f32_e64 s[2:3], v11, v29
	v_cmp_lt_i32_e64 s[4:5], v13, v9
	v_cmp_lt_f32_e64 s[0:1], v11, v29
	s_and_b64 s[2:3], s[2:3], s[4:5]
	s_or_b64 s[0:1], s[0:1], s[2:3]
	v_cndmask_b32_e64 v11, v11, v29, s[0:1]
	v_cndmask_b32_e64 v13, v9, v13, s[0:1]
	s_nop 0
	v_mov_b32_dpp v9, v11 quad_perm:[2,3,0,1] row_mask:0xf bank_mask:0xf
	v_mov_b32_dpp v29, v13 quad_perm:[2,3,0,1] row_mask:0xf bank_mask:0xf
	v_cmp_eq_f32_e64 s[2:3], v11, v9
	v_cmp_lt_i32_e64 s[4:5], v29, v13
	v_cmp_lt_f32_e64 s[0:1], v11, v9
	s_and_b64 s[2:3], s[2:3], s[4:5]
	s_or_b64 s[0:1], s[0:1], s[2:3]
	v_cndmask_b32_e64 v9, v11, v9, s[0:1]
	v_cndmask_b32_e64 v13, v13, v29, s[0:1]
	s_nop 0
	v_mov_b32_dpp v11, v9 row_half_mirror row_mask:0xf bank_mask:0xf
	v_mov_b32_dpp v29, v13 row_half_mirror row_mask:0xf bank_mask:0xf
	v_cmp_eq_f32_e64 s[2:3], v9, v11
	v_cmp_lt_i32_e64 s[4:5], v29, v13
	v_cmp_lt_f32_e64 s[0:1], v9, v11
	s_and_b64 s[2:3], s[2:3], s[4:5]
	s_or_b64 s[0:1], s[0:1], s[2:3]
	v_cndmask_b32_e64 v29, v13, v29, s[0:1]
	s_and_saveexec_b64 s[4:5], vcc
	s_cbranch_execz .LBB62_14
; %bb.13:                               ;   in Loop: Header=BB62_12 Depth=1
	v_cndmask_b32_e64 v9, v9, v11, s[0:1]
	v_sub_f32_e32 v9, v9, v17
	v_mul_f32_e32 v11, 0x3fb8aa3b, v9
	v_fma_f32 v13, v9, s21, -v11
	v_rndne_f32_e32 v30, v11
	v_fmac_f32_e32 v13, 0x32a5705f, v9
	v_sub_f32_e32 v11, v11, v30
	v_add_f32_e32 v11, v11, v13
	v_exp_f32_e32 v11, v11
	v_cvt_i32_f32_e32 v13, v30
	v_cmp_le_i32_e64 s[0:1], s9, v29
	v_cmp_gt_i32_e64 s[2:3], s10, v29
	s_and_b64 s[2:3], s[0:1], s[2:3]
	v_ldexp_f32 v11, v11, v13
	v_cmp_ngt_f32_e64 s[0:1], s23, v9
	v_ashrrev_i32_e32 v13, 31, v12
	v_cndmask_b32_e64 v11, 0, v11, s[0:1]
	v_cmp_nlt_f32_e64 s[0:1], s24, v9
	v_lshlrev_b64 v[30:31], 2, v[12:13]
	v_cndmask_b32_e64 v32, v27, v11, s[0:1]
	v_mov_b32_e32 v9, s7
	v_add_co_u32_e64 v30, s[0:1], s6, v30
	v_addc_co_u32_e64 v31, s[0:1], v9, v31, s[0:1]
	v_ashrrev_i32_e32 v11, 31, v10
	global_store_dword v[30:31], v32, off
	v_subrev_u32_e32 v9, s9, v29
	s_and_b64 s[0:1], s[18:19], s[2:3]
	v_lshlrev_b64 v[30:31], 2, v[10:11]
	v_cndmask_b32_e64 v9, 64, v9, s[0:1]
	s_waitcnt lgkmcnt(0)
	v_mov_b32_e32 v11, s13
	v_add_co_u32_e64 v30, s[0:1], s12, v30
	v_addc_co_u32_e64 v31, s[0:1], v11, v31, s[0:1]
	global_store_dword v[30:31], v9, off
	v_ashrrev_i32_e32 v9, 31, v8
	v_lshlrev_b64 v[30:31], 2, v[8:9]
	v_mov_b32_e32 v9, s15
	v_add_co_u32_e64 v30, s[0:1], s14, v30
	v_addc_co_u32_e64 v31, s[0:1], v9, v31, s[0:1]
	v_add_f32_e32 v16, v16, v32
	global_store_dword v[30:31], v26, off
.LBB62_14:                              ;   in Loop: Header=BB62_12 Depth=1
	s_or_b64 exec, exec, s[4:5]
	v_ashrrev_i32_e32 v11, 31, v29
	v_lshrrev_b32_e32 v9, 29, v11
	v_add_u32_e32 v9, v29, v9
	v_ashrrev_i32_e32 v9, 3, v9
	v_lshrrev_b32_e32 v13, 29, v9
	v_add_u32_e32 v13, v9, v13
	v_and_b32_e32 v13, -8, v13
	v_sub_u32_e32 v13, v9, v13
	v_cmp_eq_u32_e64 s[0:1], v15, v13
	s_and_saveexec_b64 s[2:3], s[0:1]
	s_cbranch_execz .LBB62_11
; %bb.15:                               ;   in Loop: Header=BB62_12 Depth=1
	v_lshrrev_b32_e32 v11, 26, v11
	v_add_u32_e32 v11, v29, v11
	v_lshlrev_b32_e32 v9, 3, v9
	v_ashrrev_i32_e32 v11, 6, v11
	v_sub_u32_e32 v9, v29, v9
	v_lshl_add_u32 v9, v11, 3, v9
	v_cmp_ne_u32_e64 s[0:1], 7, v9
	v_cndmask_b32_e64 v3, v28, v3, s[0:1]
	v_cmp_ne_u32_e64 s[0:1], 6, v9
	v_cndmask_b32_e64 v2, v28, v2, s[0:1]
	;; [unrolled: 2-line block ×8, first 2 shown]
	s_branch .LBB62_11
.LBB62_16:
	v_sub_f32_e32 v4, v4, v17
	s_mov_b32 s0, 0x3fb8aa3b
	v_mul_f32_e32 v8, 0x3fb8aa3b, v4
	v_fma_f32 v9, v4, s0, -v8
	v_rndne_f32_e32 v10, v8
	v_fmac_f32_e32 v9, 0x32a5705f, v4
	v_sub_f32_e32 v8, v8, v10
	v_add_f32_e32 v8, v8, v9
	v_exp_f32_e32 v8, v8
	v_cvt_i32_f32_e32 v9, v10
	v_sub_f32_e32 v5, v5, v17
	s_mov_b32 s1, 0xc2ce8ed0
	v_cmp_ngt_f32_e32 vcc, s1, v4
	v_ldexp_f32 v8, v8, v9
	v_mul_f32_e32 v9, 0x3fb8aa3b, v5
	v_fma_f32 v10, v5, s0, -v9
	v_rndne_f32_e32 v11, v9
	v_fmac_f32_e32 v10, 0x32a5705f, v5
	v_sub_f32_e32 v9, v9, v11
	v_add_f32_e32 v9, v9, v10
	v_exp_f32_e32 v9, v9
	v_cvt_i32_f32_e32 v10, v11
	s_mov_b32 s2, 0x42b17218
	v_cndmask_b32_e32 v8, 0, v8, vcc
	v_mov_b32_e32 v11, 0x7f800000
	v_cmp_nlt_f32_e32 vcc, s2, v4
	v_sub_f32_e32 v6, v6, v17
	v_cndmask_b32_e32 v4, v11, v8, vcc
	v_ldexp_f32 v8, v9, v10
	v_mul_f32_e32 v9, 0x3fb8aa3b, v6
	v_fma_f32 v10, v6, s0, -v9
	v_rndne_f32_e32 v12, v9
	v_fmac_f32_e32 v10, 0x32a5705f, v6
	v_sub_f32_e32 v9, v9, v12
	v_add_f32_e32 v9, v9, v10
	v_exp_f32_e32 v9, v9
	v_cvt_i32_f32_e32 v10, v12
	v_cmp_ngt_f32_e32 vcc, s1, v5
	v_cndmask_b32_e32 v8, 0, v8, vcc
	v_cmp_nlt_f32_e32 vcc, s2, v5
	v_sub_f32_e32 v7, v7, v17
	v_cndmask_b32_e32 v5, v11, v8, vcc
	v_mul_f32_e32 v8, 0x3fb8aa3b, v7
	v_add_f32_e32 v4, v4, v5
	v_ldexp_f32 v5, v9, v10
	v_fma_f32 v9, v7, s0, -v8
	v_rndne_f32_e32 v10, v8
	v_fmac_f32_e32 v9, 0x32a5705f, v7
	v_sub_f32_e32 v8, v8, v10
	v_add_f32_e32 v8, v8, v9
	v_exp_f32_e32 v8, v8
	v_cvt_i32_f32_e32 v9, v10
	v_cmp_ngt_f32_e32 vcc, s1, v6
	v_cndmask_b32_e32 v5, 0, v5, vcc
	v_cmp_nlt_f32_e32 vcc, s2, v6
	v_sub_f32_e32 v0, v0, v17
	v_cndmask_b32_e32 v5, v11, v5, vcc
	v_mul_f32_e32 v6, 0x3fb8aa3b, v0
	v_add_f32_e32 v4, v4, v5
	v_ldexp_f32 v5, v8, v9
	v_fma_f32 v8, v0, s0, -v6
	v_rndne_f32_e32 v9, v6
	v_fmac_f32_e32 v8, 0x32a5705f, v0
	v_sub_f32_e32 v6, v6, v9
	v_add_f32_e32 v6, v6, v8
	v_exp_f32_e32 v6, v6
	v_cvt_i32_f32_e32 v8, v9
	v_cmp_ngt_f32_e32 vcc, s1, v7
	v_cndmask_b32_e32 v5, 0, v5, vcc
	v_cmp_nlt_f32_e32 vcc, s2, v7
	v_cndmask_b32_e32 v5, v11, v5, vcc
	v_sub_f32_e32 v1, v1, v17
	v_add_f32_e32 v4, v4, v5
	v_ldexp_f32 v5, v6, v8
	v_mul_f32_e32 v6, 0x3fb8aa3b, v1
	v_fma_f32 v7, v1, s0, -v6
	v_rndne_f32_e32 v8, v6
	v_fmac_f32_e32 v7, 0x32a5705f, v1
	v_sub_f32_e32 v6, v6, v8
	v_add_f32_e32 v6, v6, v7
	v_exp_f32_e32 v6, v6
	v_cvt_i32_f32_e32 v7, v8
	v_cmp_ngt_f32_e32 vcc, s1, v0
	v_cndmask_b32_e32 v5, 0, v5, vcc
	v_cmp_nlt_f32_e32 vcc, s2, v0
	v_sub_f32_e32 v2, v2, v17
	v_cndmask_b32_e32 v0, v11, v5, vcc
	v_mul_f32_e32 v5, 0x3fb8aa3b, v2
	v_add_f32_e32 v0, v4, v0
	v_ldexp_f32 v4, v6, v7
	v_fma_f32 v6, v2, s0, -v5
	v_rndne_f32_e32 v7, v5
	v_fmac_f32_e32 v6, 0x32a5705f, v2
	v_sub_f32_e32 v5, v5, v7
	v_add_f32_e32 v5, v5, v6
	v_exp_f32_e32 v5, v5
	v_cvt_i32_f32_e32 v6, v7
	v_cmp_ngt_f32_e32 vcc, s1, v1
	v_cndmask_b32_e32 v4, 0, v4, vcc
	v_cmp_nlt_f32_e32 vcc, s2, v1
	v_sub_f32_e32 v3, v3, v17
	v_cndmask_b32_e32 v1, v11, v4, vcc
	v_mul_f32_e32 v4, 0x3fb8aa3b, v3
	v_add_f32_e32 v0, v0, v1
	v_ldexp_f32 v1, v5, v6
	v_fma_f32 v5, v3, s0, -v4
	v_rndne_f32_e32 v6, v4
	v_fmac_f32_e32 v5, 0x32a5705f, v3
	v_sub_f32_e32 v4, v4, v6
	v_add_f32_e32 v4, v4, v5
	v_exp_f32_e32 v4, v4
	v_cvt_i32_f32_e32 v5, v6
	v_cmp_ngt_f32_e32 vcc, s1, v2
	v_cndmask_b32_e32 v1, 0, v1, vcc
	v_cmp_nlt_f32_e32 vcc, s2, v2
	v_cndmask_b32_e32 v1, v11, v1, vcc
	v_add_f32_e32 v0, v0, v1
	v_ldexp_f32 v1, v4, v5
	v_cmp_ngt_f32_e32 vcc, s1, v3
	v_cndmask_b32_e32 v1, 0, v1, vcc
	v_cmp_nlt_f32_e32 vcc, s2, v3
	v_cndmask_b32_e32 v1, v11, v1, vcc
	v_add_f32_e32 v0, v0, v1
	v_cmp_eq_u32_e32 vcc, 0, v15
	s_nop 0
	v_mov_b32_dpp v1, v0 quad_perm:[1,0,3,2] row_mask:0xf bank_mask:0xf
	v_add_f32_e32 v0, v0, v1
	s_nop 1
	v_mov_b32_dpp v1, v0 quad_perm:[2,3,0,1] row_mask:0xf bank_mask:0xf
	v_add_f32_e32 v0, v0, v1
	s_nop 1
	v_mov_b32_dpp v1, v0 row_half_mirror row_mask:0xf bank_mask:0xf
	s_and_b64 exec, exec, vcc
	s_cbranch_execz .LBB62_29
; %bb.17:
	v_add_f32_e32 v0, v0, v1
	v_add_f32_e32 v0, v16, v0
	v_cmp_neq_f32_e32 vcc, 0, v0
	s_and_b64 exec, exec, vcc
	s_cbranch_execz .LBB62_29
; %bb.18:
	s_andn2_b64 vcc, exec, s[16:17]
	s_cbranch_vccnz .LBB62_29
; %bb.19:
	v_div_scale_f32 v1, s[0:1], v0, v0, 1.0
	v_rcp_f32_e32 v2, v1
	v_div_scale_f32 v3, vcc, 1.0, v0, 1.0
	s_cmp_gt_u32 s8, 3
	v_fma_f32 v4, -v1, v2, 1.0
	v_fmac_f32_e32 v2, v4, v2
	v_mul_f32_e32 v4, v3, v2
	v_fma_f32 v5, -v1, v4, v3
	v_fmac_f32_e32 v4, v5, v2
	v_fma_f32 v1, -v1, v4, v3
	v_div_fmas_f32 v1, v1, v2, v4
	v_mul_lo_u32 v2, v14, s11
	v_div_fixup_f32 v0, v1, v0, 1.0
	v_ashrrev_i32_e32 v3, 31, v2
	s_cbranch_scc0 .LBB62_23
; %bb.20:
	v_lshlrev_b64 v[4:5], 2, v[2:3]
	v_mov_b32_e32 v6, s7
	v_add_co_u32_e32 v4, vcc, s6, v4
	v_addc_co_u32_e32 v5, vcc, v5, v6, vcc
	s_and_b32 s4, s8, 0x7ffffffc
	v_add_co_u32_e32 v4, vcc, 8, v4
	v_mov_b32_e32 v1, v0
	v_addc_co_u32_e32 v5, vcc, 0, v5, vcc
	s_mov_b32 s0, s4
.LBB62_21:                              ; =>This Inner Loop Header: Depth=1
	global_load_dwordx4 v[6:9], v[4:5], off offset:-8
	s_add_i32 s0, s0, -4
	s_cmp_lg_u32 s0, 0
	s_waitcnt vmcnt(0)
	v_pk_mul_f32 v[6:7], v[0:1], v[6:7]
	v_pk_mul_f32 v[8:9], v[0:1], v[8:9]
	global_store_dwordx4 v[4:5], v[6:9], off offset:-8
	v_add_co_u32_e32 v4, vcc, 16, v4
	v_addc_co_u32_e32 v5, vcc, 0, v5, vcc
	s_cbranch_scc1 .LBB62_21
; %bb.22:
	s_cmp_lg_u32 s4, s8
	s_mov_b64 s[2:3], 0
	s_cselect_b64 s[0:1], -1, 0
	s_branch .LBB62_24
.LBB62_23:
	s_mov_b64 s[2:3], -1
	s_mov_b64 s[0:1], 0
                                        ; implicit-def: $sgpr4
.LBB62_24:
	s_and_b64 vcc, exec, s[2:3]
	s_cbranch_vccz .LBB62_26
; %bb.25:
	s_mov_b64 s[0:1], -1
	s_mov_b32 s4, 0
.LBB62_26:
	s_andn2_b64 vcc, exec, s[0:1]
	s_cbranch_vccnz .LBB62_29
; %bb.27:
	v_add_co_u32_e32 v2, vcc, s4, v2
	v_addc_co_u32_e32 v3, vcc, 0, v3, vcc
	v_lshlrev_b64 v[2:3], 2, v[2:3]
	v_mov_b32_e32 v1, s7
	v_add_co_u32_e32 v2, vcc, s6, v2
	s_sub_i32 s0, s8, s4
	v_addc_co_u32_e32 v3, vcc, v1, v3, vcc
.LBB62_28:                              ; =>This Inner Loop Header: Depth=1
	global_load_dword v1, v[2:3], off
	s_add_i32 s0, s0, -1
	s_cmp_lg_u32 s0, 0
	s_waitcnt vmcnt(0)
	v_mul_f32_e32 v1, v0, v1
	global_store_dword v[2:3], v1, off
	v_add_co_u32_e32 v2, vcc, 4, v2
	v_addc_co_u32_e32 v3, vcc, 0, v3, vcc
	s_cbranch_scc1 .LBB62_28
.LBB62_29:
	s_endpgm
	.section	.rodata,"a",@progbits
	.p2align	6, 0x0
	.amdhsa_kernel _ZN4vllm3moe17topkGatingSoftmaxIfLi8ELi64ELi8ELi32ELb0ELi0ELNS0_23SharedExpertScoringFuncE0EEEvPKT_PKbPfiPiS9_iiiiii
		.amdhsa_group_segment_fixed_size 0
		.amdhsa_private_segment_fixed_size 0
		.amdhsa_kernarg_size 72
		.amdhsa_user_sgpr_count 6
		.amdhsa_user_sgpr_private_segment_buffer 1
		.amdhsa_user_sgpr_dispatch_ptr 0
		.amdhsa_user_sgpr_queue_ptr 0
		.amdhsa_user_sgpr_kernarg_segment_ptr 1
		.amdhsa_user_sgpr_dispatch_id 0
		.amdhsa_user_sgpr_flat_scratch_init 0
		.amdhsa_user_sgpr_kernarg_preload_length 0
		.amdhsa_user_sgpr_kernarg_preload_offset 0
		.amdhsa_user_sgpr_private_segment_size 0
		.amdhsa_uses_dynamic_stack 0
		.amdhsa_system_sgpr_private_segment_wavefront_offset 0
		.amdhsa_system_sgpr_workgroup_id_x 1
		.amdhsa_system_sgpr_workgroup_id_y 0
		.amdhsa_system_sgpr_workgroup_id_z 0
		.amdhsa_system_sgpr_workgroup_info 0
		.amdhsa_system_vgpr_workitem_id 1
		.amdhsa_next_free_vgpr 33
		.amdhsa_next_free_sgpr 25
		.amdhsa_accum_offset 36
		.amdhsa_reserve_vcc 1
		.amdhsa_reserve_flat_scratch 0
		.amdhsa_float_round_mode_32 0
		.amdhsa_float_round_mode_16_64 0
		.amdhsa_float_denorm_mode_32 3
		.amdhsa_float_denorm_mode_16_64 3
		.amdhsa_dx10_clamp 1
		.amdhsa_ieee_mode 1
		.amdhsa_fp16_overflow 0
		.amdhsa_tg_split 0
		.amdhsa_exception_fp_ieee_invalid_op 0
		.amdhsa_exception_fp_denorm_src 0
		.amdhsa_exception_fp_ieee_div_zero 0
		.amdhsa_exception_fp_ieee_overflow 0
		.amdhsa_exception_fp_ieee_underflow 0
		.amdhsa_exception_fp_ieee_inexact 0
		.amdhsa_exception_int_div_zero 0
	.end_amdhsa_kernel
	.section	.text._ZN4vllm3moe17topkGatingSoftmaxIfLi8ELi64ELi8ELi32ELb0ELi0ELNS0_23SharedExpertScoringFuncE0EEEvPKT_PKbPfiPiS9_iiiiii,"axG",@progbits,_ZN4vllm3moe17topkGatingSoftmaxIfLi8ELi64ELi8ELi32ELb0ELi0ELNS0_23SharedExpertScoringFuncE0EEEvPKT_PKbPfiPiS9_iiiiii,comdat
.Lfunc_end62:
	.size	_ZN4vllm3moe17topkGatingSoftmaxIfLi8ELi64ELi8ELi32ELb0ELi0ELNS0_23SharedExpertScoringFuncE0EEEvPKT_PKbPfiPiS9_iiiiii, .Lfunc_end62-_ZN4vllm3moe17topkGatingSoftmaxIfLi8ELi64ELi8ELi32ELb0ELi0ELNS0_23SharedExpertScoringFuncE0EEEvPKT_PKbPfiPiS9_iiiiii
                                        ; -- End function
	.section	.AMDGPU.csdata,"",@progbits
; Kernel info:
; codeLenInByte = 3088
; NumSgprs: 29
; NumVgprs: 33
; NumAgprs: 0
; TotalNumVgprs: 33
; ScratchSize: 0
; MemoryBound: 0
; FloatMode: 240
; IeeeMode: 1
; LDSByteSize: 0 bytes/workgroup (compile time only)
; SGPRBlocks: 3
; VGPRBlocks: 4
; NumSGPRsForWavesPerEU: 29
; NumVGPRsForWavesPerEU: 33
; AccumOffset: 36
; Occupancy: 8
; WaveLimiterHint : 0
; COMPUTE_PGM_RSRC2:SCRATCH_EN: 0
; COMPUTE_PGM_RSRC2:USER_SGPR: 6
; COMPUTE_PGM_RSRC2:TRAP_HANDLER: 0
; COMPUTE_PGM_RSRC2:TGID_X_EN: 1
; COMPUTE_PGM_RSRC2:TGID_Y_EN: 0
; COMPUTE_PGM_RSRC2:TGID_Z_EN: 0
; COMPUTE_PGM_RSRC2:TIDIG_COMP_CNT: 1
; COMPUTE_PGM_RSRC3_GFX90A:ACCUM_OFFSET: 8
; COMPUTE_PGM_RSRC3_GFX90A:TG_SPLIT: 0
	.section	.text._ZN4vllm3moe17topkGatingSoftmaxIfLi8ELi64ELi8ELi32ELb1ELi1ELNS0_23SharedExpertScoringFuncE1EEEvPKT_PKbPfiPiS9_iiiiii,"axG",@progbits,_ZN4vllm3moe17topkGatingSoftmaxIfLi8ELi64ELi8ELi32ELb1ELi1ELNS0_23SharedExpertScoringFuncE1EEEvPKT_PKbPfiPiS9_iiiiii,comdat
	.protected	_ZN4vllm3moe17topkGatingSoftmaxIfLi8ELi64ELi8ELi32ELb1ELi1ELNS0_23SharedExpertScoringFuncE1EEEvPKT_PKbPfiPiS9_iiiiii ; -- Begin function _ZN4vllm3moe17topkGatingSoftmaxIfLi8ELi64ELi8ELi32ELb1ELi1ELNS0_23SharedExpertScoringFuncE1EEEvPKT_PKbPfiPiS9_iiiiii
	.globl	_ZN4vllm3moe17topkGatingSoftmaxIfLi8ELi64ELi8ELi32ELb1ELi1ELNS0_23SharedExpertScoringFuncE1EEEvPKT_PKbPfiPiS9_iiiiii
	.p2align	8
	.type	_ZN4vllm3moe17topkGatingSoftmaxIfLi8ELi64ELi8ELi32ELb1ELi1ELNS0_23SharedExpertScoringFuncE1EEEvPKT_PKbPfiPiS9_iiiiii,@function
_ZN4vllm3moe17topkGatingSoftmaxIfLi8ELi64ELi8ELi32ELb1ELi1ELNS0_23SharedExpertScoringFuncE1EEEvPKT_PKbPfiPiS9_iiiiii: ; @_ZN4vllm3moe17topkGatingSoftmaxIfLi8ELi64ELi8ELi32ELb1ELi1ELNS0_23SharedExpertScoringFuncE1EEEvPKT_PKbPfiPiS9_iiiiii
; %bb.0:
	s_load_dword s24, s[4:5], 0x18
	v_bfe_u32 v1, v0, 10, 10
	v_and_b32_e32 v0, 0x3ff, v0
	s_lshl_b32 s25, s6, 6
	v_lshlrev_b32_e32 v25, 3, v1
	v_lshrrev_b32_e32 v26, 3, v0
	v_add3_u32 v14, s25, v25, v26
	s_waitcnt lgkmcnt(0)
	v_cmp_gt_i32_e32 vcc, s24, v14
	s_and_saveexec_b64 s[0:1], vcc
	s_cbranch_execz .LBB63_29
; %bb.1:
	s_load_dwordx4 s[0:3], s[4:5], 0x0
	s_load_dwordx2 s[16:17], s[4:5], 0x10
	s_waitcnt lgkmcnt(0)
	s_cmp_eq_u64 s[2:3], 0
	s_cbranch_scc1 .LBB63_3
; %bb.2:
	v_ashrrev_i32_e32 v1, 31, v14
	v_mov_b32_e32 v3, s3
	v_add_co_u32_e32 v2, vcc, s2, v14
	v_addc_co_u32_e32 v3, vcc, v3, v1, vcc
	global_load_ubyte v1, v[2:3], off
	s_waitcnt vmcnt(0)
	v_and_b32_e32 v1, 1, v1
	v_cmp_eq_u32_e32 vcc, 1, v1
	s_xor_b64 s[2:3], vcc, -1
	s_orn2_b64 s[18:19], s[2:3], exec
	s_branch .LBB63_4
.LBB63_3:
	s_mov_b64 s[18:19], -1
.LBB63_4:
	s_load_dwordx2 s[22:23], s[4:5], 0x40
	s_load_dwordx4 s[8:11], s[4:5], 0x30
	v_mov_b32_e32 v1, s1
	v_and_b32_e32 v15, 7, v0
	v_lshlrev_b32_e32 v0, 5, v15
	s_waitcnt lgkmcnt(0)
	v_mul_lo_u32 v2, v14, s23
	v_ashrrev_i32_e32 v3, 31, v2
	v_lshlrev_b64 v[2:3], 2, v[2:3]
	v_add_co_u32_e32 v8, vcc, s0, v2
	v_addc_co_u32_e32 v9, vcc, v1, v3, vcc
	v_add_co_u32_e32 v10, vcc, v8, v0
	v_addc_co_u32_e32 v11, vcc, 0, v9, vcc
	global_load_dwordx4 v[0:3], v[10:11], off offset:16
	global_load_dwordx4 v[4:7], v[10:11], off
	v_lshlrev_b32_e32 v17, 3, v15
	v_mov_b32_e32 v16, 0
	v_cmp_eq_u32_e64 s[0:1], 0, v15
	s_and_saveexec_b64 s[2:3], s[0:1]
	s_cbranch_execz .LBB63_6
; %bb.5:
	global_load_dword v10, v[8:9], off offset:256
	s_mov_b32 s6, 0xbfb8aa3b
	s_mov_b32 s7, 0x42ce8ed0
	s_mov_b32 s12, 0xc2b17218
	v_mov_b32_e32 v11, 0x7f800000
	v_mul_lo_u32 v8, v14, s11
	v_add_u32_e32 v8, s8, v8
	v_mov_b32_e32 v18, s17
	s_waitcnt vmcnt(0)
	v_mul_f32_e32 v9, 0xbfb8aa3b, v10
	v_rndne_f32_e32 v12, v9
	v_fma_f32 v13, v10, s6, -v9
	v_sub_f32_e32 v9, v9, v12
	v_fmac_f32_e32 v13, 0xb2a5705f, v10
	v_add_f32_e32 v9, v9, v13
	v_cvt_i32_f32_e32 v12, v12
	v_exp_f32_e32 v13, v9
	v_cmp_nlt_f32_e32 vcc, s7, v10
	v_ashrrev_i32_e32 v9, 31, v8
	v_lshlrev_b64 v[8:9], 2, v[8:9]
	v_ldexp_f32 v12, v13, v12
	v_cndmask_b32_e32 v12, 0, v12, vcc
	v_cmp_ngt_f32_e32 vcc, s12, v10
	v_cndmask_b32_e32 v10, v11, v12, vcc
	v_add_f32_e32 v10, 1.0, v10
	v_div_scale_f32 v11, s[6:7], v10, v10, 1.0
	v_rcp_f32_e32 v12, v11
	v_div_scale_f32 v13, vcc, 1.0, v10, 1.0
	v_fma_f32 v19, -v11, v12, 1.0
	v_fmac_f32_e32 v12, v19, v12
	v_mul_f32_e32 v19, v13, v12
	v_fma_f32 v20, -v11, v19, v13
	v_fmac_f32_e32 v19, v20, v12
	v_fma_f32 v11, -v11, v19, v13
	v_div_fmas_f32 v11, v11, v12, v19
	v_add_co_u32_e32 v8, vcc, s16, v8
	v_div_fixup_f32 v10, v11, v10, 1.0
	v_addc_co_u32_e32 v9, vcc, v18, v9, vcc
	global_store_dword v[8:9], v10, off
.LBB63_6:
	s_or_b64 exec, exec, s[2:3]
	s_waitcnt vmcnt(0)
	v_cmp_lt_f32_e32 vcc, v4, v5
	v_or_b32_e32 v18, 1, v17
	v_cndmask_b32_e32 v9, v4, v5, vcc
	v_cndmask_b32_e32 v8, v17, v18, vcc
	v_cmp_lt_f32_e32 vcc, v9, v6
	v_or_b32_e32 v19, 2, v17
	v_cndmask_b32_e32 v9, v9, v6, vcc
	v_cndmask_b32_e32 v8, v8, v19, vcc
	;; [unrolled: 4-line block ×6, first 2 shown]
	v_or_b32_e32 v24, 7, v17
	v_cmp_lt_f32_e32 vcc, v9, v3
	v_cndmask_b32_e32 v8, v8, v24, vcc
	v_cndmask_b32_e32 v9, v9, v3, vcc
	s_nop 0
	v_mov_b32_dpp v10, v8 quad_perm:[1,0,3,2] row_mask:0xf bank_mask:0xf
	v_mov_b32_dpp v11, v9 quad_perm:[1,0,3,2] row_mask:0xf bank_mask:0xf
	v_cmp_eq_f32_e64 s[2:3], v9, v11
	v_cmp_lt_i32_e64 s[6:7], v10, v8
	v_cmp_lt_f32_e32 vcc, v9, v11
	s_and_b64 s[2:3], s[2:3], s[6:7]
	s_or_b64 vcc, vcc, s[2:3]
	v_cndmask_b32_e32 v9, v9, v11, vcc
	v_cndmask_b32_e32 v10, v8, v10, vcc
	s_nop 0
	v_mov_b32_dpp v8, v9 quad_perm:[2,3,0,1] row_mask:0xf bank_mask:0xf
	v_mov_b32_dpp v11, v10 quad_perm:[2,3,0,1] row_mask:0xf bank_mask:0xf
	v_cmp_eq_f32_e64 s[2:3], v9, v8
	v_cmp_lt_i32_e64 s[6:7], v11, v10
	v_cmp_lt_f32_e32 vcc, v9, v8
	s_and_b64 s[2:3], s[2:3], s[6:7]
	s_or_b64 vcc, vcc, s[2:3]
	s_cmp_gt_i32 s8, 0
	v_cndmask_b32_e32 v8, v9, v8, vcc
	v_cndmask_b32_e32 v9, v10, v11, vcc
	s_cselect_b64 s[20:21], -1, 0
	v_mov_b32_dpp v11, v8 row_half_mirror row_mask:0xf bank_mask:0xf
	v_mov_b32_dpp v10, v9 row_half_mirror row_mask:0xf bank_mask:0xf
	s_and_b64 vcc, exec, s[20:21]
	s_cbranch_vccz .LBB63_18
; %bb.7:
	s_load_dwordx4 s[12:15], s[4:5], 0x20
	v_cmp_eq_f32_e64 s[2:3], v8, v11
	v_cmp_lt_i32_e64 s[6:7], v10, v9
	v_cmp_lt_f32_e32 vcc, v8, v11
	s_and_b64 s[2:3], s[2:3], s[6:7]
	s_or_b64 vcc, vcc, s[2:3]
	v_cndmask_b32_e32 v28, v9, v10, vcc
	v_cndmask_b32_e32 v27, v8, v11, vcc
	v_mul_lo_u32 v12, v14, s11
	v_mul_lo_u32 v10, v14, s22
	;; [unrolled: 1-line block ×3, first 2 shown]
	v_mov_b32_e32 v16, 0
	s_and_saveexec_b64 s[4:5], s[0:1]
	s_cbranch_execz .LBB63_9
; %bb.8:
	v_sub_f32_e32 v9, v27, v27
	v_mul_f32_e32 v11, 0x3fb8aa3b, v9
	s_mov_b32 s2, 0x3fb8aa3b
	v_rndne_f32_e32 v13, v11
	v_sub_f32_e32 v16, v11, v13
	v_fma_f32 v11, v9, s2, -v11
	v_fmac_f32_e32 v11, 0x32a5705f, v9
	v_add_f32_e32 v11, v16, v11
	v_exp_f32_e32 v11, v11
	v_cvt_i32_f32_e32 v13, v13
	v_cmp_le_i32_e32 vcc, s9, v28
	v_cmp_gt_i32_e64 s[2:3], s10, v28
	s_mov_b32 s6, 0xc2ce8ed0
	s_and_b64 s[2:3], vcc, s[2:3]
	v_ldexp_f32 v11, v11, v13
	v_cmp_ngt_f32_e32 vcc, s6, v9
	s_mov_b32 s6, 0x42b17218
	v_cndmask_b32_e32 v11, 0, v11, vcc
	v_mov_b32_e32 v13, 0x7f800000
	v_cmp_nlt_f32_e32 vcc, s6, v9
	v_cndmask_b32_e32 v16, v13, v11, vcc
	v_ashrrev_i32_e32 v13, 31, v12
	v_lshlrev_b64 v[30:31], 2, v[12:13]
	v_mov_b32_e32 v9, s17
	v_add_co_u32_e32 v30, vcc, s16, v30
	v_addc_co_u32_e32 v31, vcc, v9, v31, vcc
	v_ashrrev_i32_e32 v11, 31, v10
	global_store_dword v[30:31], v16, off
	v_subrev_u32_e32 v9, s9, v28
	s_and_b64 vcc, s[18:19], s[2:3]
	v_lshlrev_b64 v[30:31], 2, v[10:11]
	v_cndmask_b32_e32 v9, 64, v9, vcc
	s_waitcnt lgkmcnt(0)
	v_mov_b32_e32 v11, s13
	v_add_co_u32_e32 v30, vcc, s12, v30
	v_addc_co_u32_e32 v31, vcc, v11, v31, vcc
	global_store_dword v[30:31], v9, off
	v_ashrrev_i32_e32 v9, 31, v8
	v_lshlrev_b64 v[30:31], 2, v[8:9]
	v_mov_b32_e32 v9, s15
	v_add_co_u32_e32 v30, vcc, s14, v30
	v_addc_co_u32_e32 v31, vcc, v9, v31, vcc
	global_store_dword v[30:31], v14, off
.LBB63_9:
	s_or_b64 exec, exec, s[4:5]
	v_ashrrev_i32_e32 v11, 31, v28
	v_lshrrev_b32_e32 v9, 29, v11
	v_add_u32_e32 v9, v28, v9
	v_ashrrev_i32_e32 v9, 3, v9
	v_lshrrev_b32_e32 v13, 29, v9
	v_add_u32_e32 v13, v9, v13
	v_and_b32_e32 v13, -8, v13
	v_sub_u32_e32 v13, v9, v13
	v_cmp_eq_u32_e32 vcc, v15, v13
	s_and_saveexec_b64 s[2:3], vcc
	s_cbranch_execz .LBB63_11
; %bb.10:
	v_lshrrev_b32_e32 v11, 26, v11
	v_add_u32_e32 v11, v28, v11
	v_lshlrev_b32_e32 v9, 3, v9
	v_ashrrev_i32_e32 v11, 6, v11
	v_sub_u32_e32 v9, v28, v9
	v_lshl_add_u32 v9, v11, 3, v9
	v_mov_b32_e32 v11, 0xff800000
	v_cmp_ne_u32_e32 vcc, 7, v9
	v_cndmask_b32_e32 v3, v11, v3, vcc
	v_cmp_ne_u32_e32 vcc, 6, v9
	v_cndmask_b32_e32 v2, v11, v2, vcc
	;; [unrolled: 2-line block ×8, first 2 shown]
.LBB63_11:
	s_or_b64 exec, exec, s[2:3]
	s_cmp_eq_u32 s8, 1
	s_cbranch_scc1 .LBB63_18
; %bb.12:
	s_add_i32 s25, s25, s24
	s_add_i32 s6, s8, -1
	v_add3_u32 v25, s25, v26, v25
	v_add_u32_e32 v8, 1, v8
	v_add_u32_e32 v10, 1, v10
	;; [unrolled: 1-line block ×3, first 2 shown]
	s_mov_b32 s7, 0x3fb8aa3b
	s_mov_b32 s22, 0xc2ce8ed0
	s_mov_b32 s23, 0x42b17218
	v_mov_b32_e32 v26, 0x7f800000
	v_mov_b32_e32 v28, 0xff800000
	s_branch .LBB63_14
.LBB63_13:                              ;   in Loop: Header=BB63_14 Depth=1
	s_or_b64 exec, exec, s[2:3]
	s_add_i32 s6, s6, -1
	v_add_u32_e32 v25, s24, v25
	v_add_u32_e32 v8, 1, v8
	;; [unrolled: 1-line block ×3, first 2 shown]
	s_cmp_eq_u32 s6, 0
	v_add_u32_e32 v12, 1, v12
	s_cbranch_scc1 .LBB63_18
.LBB63_14:                              ; =>This Inner Loop Header: Depth=1
	v_cmp_gt_f32_e32 vcc, v5, v4
	v_cndmask_b32_e32 v11, v4, v5, vcc
	v_cndmask_b32_e32 v9, v17, v18, vcc
	v_cmp_gt_f32_e32 vcc, v6, v11
	v_cndmask_b32_e32 v11, v11, v6, vcc
	v_cndmask_b32_e32 v9, v9, v19, vcc
	;; [unrolled: 3-line block ×7, first 2 shown]
	s_nop 0
	v_mov_b32_dpp v13, v9 quad_perm:[1,0,3,2] row_mask:0xf bank_mask:0xf
	v_mov_b32_dpp v29, v11 quad_perm:[1,0,3,2] row_mask:0xf bank_mask:0xf
	v_cmp_eq_f32_e64 s[2:3], v11, v29
	v_cmp_lt_i32_e64 s[4:5], v13, v9
	v_cmp_lt_f32_e32 vcc, v11, v29
	s_and_b64 s[2:3], s[2:3], s[4:5]
	s_or_b64 vcc, vcc, s[2:3]
	v_cndmask_b32_e32 v11, v11, v29, vcc
	v_cndmask_b32_e32 v13, v9, v13, vcc
	s_nop 0
	v_mov_b32_dpp v9, v11 quad_perm:[2,3,0,1] row_mask:0xf bank_mask:0xf
	v_mov_b32_dpp v29, v13 quad_perm:[2,3,0,1] row_mask:0xf bank_mask:0xf
	v_cmp_eq_f32_e64 s[2:3], v11, v9
	v_cmp_lt_i32_e64 s[4:5], v29, v13
	v_cmp_lt_f32_e32 vcc, v11, v9
	s_and_b64 s[2:3], s[2:3], s[4:5]
	s_or_b64 vcc, vcc, s[2:3]
	v_cndmask_b32_e32 v9, v11, v9, vcc
	v_cndmask_b32_e32 v13, v13, v29, vcc
	s_nop 0
	v_mov_b32_dpp v11, v9 row_half_mirror row_mask:0xf bank_mask:0xf
	v_mov_b32_dpp v29, v13 row_half_mirror row_mask:0xf bank_mask:0xf
	v_cmp_eq_f32_e64 s[2:3], v9, v11
	v_cmp_lt_i32_e64 s[4:5], v29, v13
	v_cmp_lt_f32_e32 vcc, v9, v11
	s_and_b64 s[2:3], s[2:3], s[4:5]
	s_or_b64 vcc, vcc, s[2:3]
	v_cndmask_b32_e32 v29, v13, v29, vcc
	s_and_saveexec_b64 s[4:5], s[0:1]
	s_cbranch_execz .LBB63_16
; %bb.15:                               ;   in Loop: Header=BB63_14 Depth=1
	v_cndmask_b32_e32 v9, v9, v11, vcc
	v_sub_f32_e32 v9, v9, v27
	v_mul_f32_e32 v11, 0x3fb8aa3b, v9
	v_fma_f32 v13, v9, s7, -v11
	v_rndne_f32_e32 v30, v11
	v_fmac_f32_e32 v13, 0x32a5705f, v9
	v_sub_f32_e32 v11, v11, v30
	v_add_f32_e32 v11, v11, v13
	v_exp_f32_e32 v11, v11
	v_cvt_i32_f32_e32 v13, v30
	v_cmp_le_i32_e32 vcc, s9, v29
	v_cmp_gt_i32_e64 s[2:3], s10, v29
	s_and_b64 s[2:3], vcc, s[2:3]
	v_ldexp_f32 v11, v11, v13
	v_cmp_ngt_f32_e32 vcc, s22, v9
	v_ashrrev_i32_e32 v13, 31, v12
	v_cndmask_b32_e32 v11, 0, v11, vcc
	v_cmp_nlt_f32_e32 vcc, s23, v9
	v_lshlrev_b64 v[30:31], 2, v[12:13]
	v_cndmask_b32_e32 v32, v26, v11, vcc
	v_mov_b32_e32 v9, s17
	v_add_co_u32_e32 v30, vcc, s16, v30
	v_addc_co_u32_e32 v31, vcc, v9, v31, vcc
	v_ashrrev_i32_e32 v11, 31, v10
	global_store_dword v[30:31], v32, off
	v_subrev_u32_e32 v9, s9, v29
	s_and_b64 vcc, s[18:19], s[2:3]
	v_lshlrev_b64 v[30:31], 2, v[10:11]
	v_cndmask_b32_e32 v9, 64, v9, vcc
	s_waitcnt lgkmcnt(0)
	v_mov_b32_e32 v11, s13
	v_add_co_u32_e32 v30, vcc, s12, v30
	v_addc_co_u32_e32 v31, vcc, v11, v31, vcc
	global_store_dword v[30:31], v9, off
	v_ashrrev_i32_e32 v9, 31, v8
	v_lshlrev_b64 v[30:31], 2, v[8:9]
	v_mov_b32_e32 v9, s15
	v_add_co_u32_e32 v30, vcc, s14, v30
	v_addc_co_u32_e32 v31, vcc, v9, v31, vcc
	v_add_f32_e32 v16, v16, v32
	global_store_dword v[30:31], v25, off
.LBB63_16:                              ;   in Loop: Header=BB63_14 Depth=1
	s_or_b64 exec, exec, s[4:5]
	v_ashrrev_i32_e32 v11, 31, v29
	v_lshrrev_b32_e32 v9, 29, v11
	v_add_u32_e32 v9, v29, v9
	v_ashrrev_i32_e32 v9, 3, v9
	v_lshrrev_b32_e32 v13, 29, v9
	v_add_u32_e32 v13, v9, v13
	v_and_b32_e32 v13, -8, v13
	v_sub_u32_e32 v13, v9, v13
	v_cmp_eq_u32_e32 vcc, v15, v13
	s_and_saveexec_b64 s[2:3], vcc
	s_cbranch_execz .LBB63_13
; %bb.17:                               ;   in Loop: Header=BB63_14 Depth=1
	v_lshrrev_b32_e32 v11, 26, v11
	v_add_u32_e32 v11, v29, v11
	v_lshlrev_b32_e32 v9, 3, v9
	v_ashrrev_i32_e32 v11, 6, v11
	v_sub_u32_e32 v9, v29, v9
	v_lshl_add_u32 v9, v11, 3, v9
	v_cmp_ne_u32_e32 vcc, 7, v9
	v_cndmask_b32_e32 v3, v28, v3, vcc
	v_cmp_ne_u32_e32 vcc, 6, v9
	v_cndmask_b32_e32 v2, v28, v2, vcc
	;; [unrolled: 2-line block ×8, first 2 shown]
	s_branch .LBB63_13
.LBB63_18:
	v_cmp_neq_f32_e32 vcc, 0, v16
	s_and_b64 s[0:1], s[0:1], vcc
	s_and_b64 exec, exec, s[0:1]
	s_cbranch_execz .LBB63_29
; %bb.19:
	s_andn2_b64 vcc, exec, s[20:21]
	s_cbranch_vccnz .LBB63_29
; %bb.20:
	v_div_scale_f32 v0, s[0:1], v16, v16, 1.0
	v_rcp_f32_e32 v1, v0
	v_div_scale_f32 v2, vcc, 1.0, v16, 1.0
	s_cmp_gt_u32 s8, 3
	v_fma_f32 v3, -v0, v1, 1.0
	v_fmac_f32_e32 v1, v3, v1
	v_mul_f32_e32 v3, v2, v1
	v_fma_f32 v4, -v0, v3, v2
	v_fmac_f32_e32 v3, v4, v1
	v_fma_f32 v0, -v0, v3, v2
	v_div_fmas_f32 v0, v0, v1, v3
	v_mul_lo_u32 v2, v14, s11
	v_div_fixup_f32 v0, v0, v16, 1.0
	v_ashrrev_i32_e32 v3, 31, v2
	s_cbranch_scc0 .LBB63_24
; %bb.21:
	v_lshlrev_b64 v[4:5], 2, v[2:3]
	v_mov_b32_e32 v6, s17
	v_add_co_u32_e32 v4, vcc, s16, v4
	v_addc_co_u32_e32 v5, vcc, v5, v6, vcc
	s_and_b32 s4, s8, 0x7ffffffc
	v_add_co_u32_e32 v4, vcc, 8, v4
	v_mov_b32_e32 v1, v0
	v_addc_co_u32_e32 v5, vcc, 0, v5, vcc
	s_mov_b32 s0, s4
.LBB63_22:                              ; =>This Inner Loop Header: Depth=1
	global_load_dwordx4 v[6:9], v[4:5], off offset:-8
	s_add_i32 s0, s0, -4
	s_cmp_lg_u32 s0, 0
	s_waitcnt vmcnt(0)
	v_pk_mul_f32 v[6:7], v[0:1], v[6:7]
	v_pk_mul_f32 v[8:9], v[0:1], v[8:9]
	global_store_dwordx4 v[4:5], v[6:9], off offset:-8
	v_add_co_u32_e32 v4, vcc, 16, v4
	v_addc_co_u32_e32 v5, vcc, 0, v5, vcc
	s_cbranch_scc1 .LBB63_22
; %bb.23:
	s_cmp_lg_u32 s4, s8
	s_cselect_b64 s[0:1], -1, 0
	s_branch .LBB63_26
.LBB63_24:
	s_mov_b64 s[0:1], 0
                                        ; implicit-def: $sgpr4
	s_cbranch_execz .LBB63_26
; %bb.25:
	s_mov_b64 s[0:1], -1
	s_mov_b32 s4, 0
.LBB63_26:
	s_andn2_b64 vcc, exec, s[0:1]
	s_cbranch_vccnz .LBB63_29
; %bb.27:
	v_add_co_u32_e32 v2, vcc, s4, v2
	v_addc_co_u32_e32 v3, vcc, 0, v3, vcc
	v_lshlrev_b64 v[2:3], 2, v[2:3]
	v_mov_b32_e32 v1, s17
	v_add_co_u32_e32 v2, vcc, s16, v2
	s_sub_i32 s0, s8, s4
	v_addc_co_u32_e32 v3, vcc, v1, v3, vcc
.LBB63_28:                              ; =>This Inner Loop Header: Depth=1
	global_load_dword v1, v[2:3], off
	s_add_i32 s0, s0, -1
	s_cmp_lg_u32 s0, 0
	s_waitcnt vmcnt(0)
	v_mul_f32_e32 v1, v0, v1
	global_store_dword v[2:3], v1, off
	v_add_co_u32_e32 v2, vcc, 4, v2
	v_addc_co_u32_e32 v3, vcc, 0, v3, vcc
	s_cbranch_scc1 .LBB63_28
.LBB63_29:
	s_endpgm
	.section	.rodata,"a",@progbits
	.p2align	6, 0x0
	.amdhsa_kernel _ZN4vllm3moe17topkGatingSoftmaxIfLi8ELi64ELi8ELi32ELb1ELi1ELNS0_23SharedExpertScoringFuncE1EEEvPKT_PKbPfiPiS9_iiiiii
		.amdhsa_group_segment_fixed_size 0
		.amdhsa_private_segment_fixed_size 0
		.amdhsa_kernarg_size 72
		.amdhsa_user_sgpr_count 6
		.amdhsa_user_sgpr_private_segment_buffer 1
		.amdhsa_user_sgpr_dispatch_ptr 0
		.amdhsa_user_sgpr_queue_ptr 0
		.amdhsa_user_sgpr_kernarg_segment_ptr 1
		.amdhsa_user_sgpr_dispatch_id 0
		.amdhsa_user_sgpr_flat_scratch_init 0
		.amdhsa_user_sgpr_kernarg_preload_length 0
		.amdhsa_user_sgpr_kernarg_preload_offset 0
		.amdhsa_user_sgpr_private_segment_size 0
		.amdhsa_uses_dynamic_stack 0
		.amdhsa_system_sgpr_private_segment_wavefront_offset 0
		.amdhsa_system_sgpr_workgroup_id_x 1
		.amdhsa_system_sgpr_workgroup_id_y 0
		.amdhsa_system_sgpr_workgroup_id_z 0
		.amdhsa_system_sgpr_workgroup_info 0
		.amdhsa_system_vgpr_workitem_id 1
		.amdhsa_next_free_vgpr 33
		.amdhsa_next_free_sgpr 26
		.amdhsa_accum_offset 36
		.amdhsa_reserve_vcc 1
		.amdhsa_reserve_flat_scratch 0
		.amdhsa_float_round_mode_32 0
		.amdhsa_float_round_mode_16_64 0
		.amdhsa_float_denorm_mode_32 3
		.amdhsa_float_denorm_mode_16_64 3
		.amdhsa_dx10_clamp 1
		.amdhsa_ieee_mode 1
		.amdhsa_fp16_overflow 0
		.amdhsa_tg_split 0
		.amdhsa_exception_fp_ieee_invalid_op 0
		.amdhsa_exception_fp_denorm_src 0
		.amdhsa_exception_fp_ieee_div_zero 0
		.amdhsa_exception_fp_ieee_overflow 0
		.amdhsa_exception_fp_ieee_underflow 0
		.amdhsa_exception_fp_ieee_inexact 0
		.amdhsa_exception_int_div_zero 0
	.end_amdhsa_kernel
	.section	.text._ZN4vllm3moe17topkGatingSoftmaxIfLi8ELi64ELi8ELi32ELb1ELi1ELNS0_23SharedExpertScoringFuncE1EEEvPKT_PKbPfiPiS9_iiiiii,"axG",@progbits,_ZN4vllm3moe17topkGatingSoftmaxIfLi8ELi64ELi8ELi32ELb1ELi1ELNS0_23SharedExpertScoringFuncE1EEEvPKT_PKbPfiPiS9_iiiiii,comdat
.Lfunc_end63:
	.size	_ZN4vllm3moe17topkGatingSoftmaxIfLi8ELi64ELi8ELi32ELb1ELi1ELNS0_23SharedExpertScoringFuncE1EEEvPKT_PKbPfiPiS9_iiiiii, .Lfunc_end63-_ZN4vllm3moe17topkGatingSoftmaxIfLi8ELi64ELi8ELi32ELb1ELi1ELNS0_23SharedExpertScoringFuncE1EEEvPKT_PKbPfiPiS9_iiiiii
                                        ; -- End function
	.section	.AMDGPU.csdata,"",@progbits
; Kernel info:
; codeLenInByte = 2260
; NumSgprs: 30
; NumVgprs: 33
; NumAgprs: 0
; TotalNumVgprs: 33
; ScratchSize: 0
; MemoryBound: 0
; FloatMode: 240
; IeeeMode: 1
; LDSByteSize: 0 bytes/workgroup (compile time only)
; SGPRBlocks: 3
; VGPRBlocks: 4
; NumSGPRsForWavesPerEU: 30
; NumVGPRsForWavesPerEU: 33
; AccumOffset: 36
; Occupancy: 8
; WaveLimiterHint : 0
; COMPUTE_PGM_RSRC2:SCRATCH_EN: 0
; COMPUTE_PGM_RSRC2:USER_SGPR: 6
; COMPUTE_PGM_RSRC2:TRAP_HANDLER: 0
; COMPUTE_PGM_RSRC2:TGID_X_EN: 1
; COMPUTE_PGM_RSRC2:TGID_Y_EN: 0
; COMPUTE_PGM_RSRC2:TGID_Z_EN: 0
; COMPUTE_PGM_RSRC2:TIDIG_COMP_CNT: 1
; COMPUTE_PGM_RSRC3_GFX90A:ACCUM_OFFSET: 8
; COMPUTE_PGM_RSRC3_GFX90A:TG_SPLIT: 0
	.section	.text._ZN4vllm3moe17topkGatingSoftmaxIfLi8ELi64ELi8ELi32ELb0ELi1ELNS0_23SharedExpertScoringFuncE1EEEvPKT_PKbPfiPiS9_iiiiii,"axG",@progbits,_ZN4vllm3moe17topkGatingSoftmaxIfLi8ELi64ELi8ELi32ELb0ELi1ELNS0_23SharedExpertScoringFuncE1EEEvPKT_PKbPfiPiS9_iiiiii,comdat
	.protected	_ZN4vllm3moe17topkGatingSoftmaxIfLi8ELi64ELi8ELi32ELb0ELi1ELNS0_23SharedExpertScoringFuncE1EEEvPKT_PKbPfiPiS9_iiiiii ; -- Begin function _ZN4vllm3moe17topkGatingSoftmaxIfLi8ELi64ELi8ELi32ELb0ELi1ELNS0_23SharedExpertScoringFuncE1EEEvPKT_PKbPfiPiS9_iiiiii
	.globl	_ZN4vllm3moe17topkGatingSoftmaxIfLi8ELi64ELi8ELi32ELb0ELi1ELNS0_23SharedExpertScoringFuncE1EEEvPKT_PKbPfiPiS9_iiiiii
	.p2align	8
	.type	_ZN4vllm3moe17topkGatingSoftmaxIfLi8ELi64ELi8ELi32ELb0ELi1ELNS0_23SharedExpertScoringFuncE1EEEvPKT_PKbPfiPiS9_iiiiii,@function
_ZN4vllm3moe17topkGatingSoftmaxIfLi8ELi64ELi8ELi32ELb0ELi1ELNS0_23SharedExpertScoringFuncE1EEEvPKT_PKbPfiPiS9_iiiiii: ; @_ZN4vllm3moe17topkGatingSoftmaxIfLi8ELi64ELi8ELi32ELb0ELi1ELNS0_23SharedExpertScoringFuncE1EEEvPKT_PKbPfiPiS9_iiiiii
; %bb.0:
	s_load_dword s22, s[4:5], 0x18
	v_bfe_u32 v1, v0, 10, 10
	v_and_b32_e32 v0, 0x3ff, v0
	s_lshl_b32 s23, s6, 6
	v_lshlrev_b32_e32 v26, 3, v1
	v_lshrrev_b32_e32 v27, 3, v0
	v_add3_u32 v14, s23, v26, v27
	s_waitcnt lgkmcnt(0)
	v_cmp_gt_i32_e32 vcc, s22, v14
	s_and_saveexec_b64 s[0:1], vcc
	s_cbranch_execz .LBB64_31
; %bb.1:
	s_load_dwordx4 s[0:3], s[4:5], 0x0
	s_load_dwordx2 s[16:17], s[4:5], 0x10
	s_waitcnt lgkmcnt(0)
	s_cmp_eq_u64 s[2:3], 0
	s_cbranch_scc1 .LBB64_3
; %bb.2:
	v_ashrrev_i32_e32 v1, 31, v14
	v_mov_b32_e32 v3, s3
	v_add_co_u32_e32 v2, vcc, s2, v14
	v_addc_co_u32_e32 v3, vcc, v3, v1, vcc
	global_load_ubyte v1, v[2:3], off
	s_waitcnt vmcnt(0)
	v_and_b32_e32 v1, 1, v1
	v_cmp_eq_u32_e32 vcc, 1, v1
	s_xor_b64 s[2:3], vcc, -1
	s_orn2_b64 s[18:19], s[2:3], exec
	s_branch .LBB64_4
.LBB64_3:
	s_mov_b64 s[18:19], -1
.LBB64_4:
	s_load_dwordx2 s[20:21], s[4:5], 0x40
	s_load_dwordx4 s[8:11], s[4:5], 0x30
	v_mov_b32_e32 v1, s1
	v_and_b32_e32 v16, 7, v0
	v_lshlrev_b32_e32 v0, 5, v16
	s_waitcnt lgkmcnt(0)
	v_mul_lo_u32 v2, v14, s21
	v_ashrrev_i32_e32 v3, 31, v2
	v_lshlrev_b64 v[2:3], 2, v[2:3]
	v_add_co_u32_e32 v8, vcc, s0, v2
	v_addc_co_u32_e32 v9, vcc, v1, v3, vcc
	v_add_co_u32_e32 v10, vcc, v8, v0
	v_addc_co_u32_e32 v11, vcc, 0, v9, vcc
	global_load_dwordx4 v[0:3], v[10:11], off offset:16
	global_load_dwordx4 v[4:7], v[10:11], off
	v_lshlrev_b32_e32 v17, 3, v16
	v_mov_b32_e32 v15, 0
	v_cmp_eq_u32_e64 s[0:1], 0, v16
	s_and_saveexec_b64 s[2:3], s[0:1]
	s_cbranch_execz .LBB64_6
; %bb.5:
	global_load_dword v10, v[8:9], off offset:256
	s_mov_b32 s6, 0xbfb8aa3b
	s_mov_b32 s7, 0x42ce8ed0
	;; [unrolled: 1-line block ×3, first 2 shown]
	v_mov_b32_e32 v11, 0x7f800000
	v_mul_lo_u32 v8, v14, s11
	v_add_u32_e32 v8, s8, v8
	v_mov_b32_e32 v18, s17
	s_waitcnt vmcnt(0)
	v_mul_f32_e32 v9, 0xbfb8aa3b, v10
	v_rndne_f32_e32 v12, v9
	v_fma_f32 v13, v10, s6, -v9
	v_sub_f32_e32 v9, v9, v12
	v_fmac_f32_e32 v13, 0xb2a5705f, v10
	v_add_f32_e32 v9, v9, v13
	v_cvt_i32_f32_e32 v12, v12
	v_exp_f32_e32 v13, v9
	v_cmp_nlt_f32_e32 vcc, s7, v10
	v_ashrrev_i32_e32 v9, 31, v8
	v_lshlrev_b64 v[8:9], 2, v[8:9]
	v_ldexp_f32 v12, v13, v12
	v_cndmask_b32_e32 v12, 0, v12, vcc
	v_cmp_ngt_f32_e32 vcc, s12, v10
	v_cndmask_b32_e32 v10, v11, v12, vcc
	v_add_f32_e32 v10, 1.0, v10
	v_div_scale_f32 v11, s[6:7], v10, v10, 1.0
	v_rcp_f32_e32 v12, v11
	v_div_scale_f32 v13, vcc, 1.0, v10, 1.0
	v_fma_f32 v19, -v11, v12, 1.0
	v_fmac_f32_e32 v12, v19, v12
	v_mul_f32_e32 v19, v13, v12
	v_fma_f32 v20, -v11, v19, v13
	v_fmac_f32_e32 v19, v20, v12
	v_fma_f32 v11, -v11, v19, v13
	v_div_fmas_f32 v11, v11, v12, v19
	v_add_co_u32_e32 v8, vcc, s16, v8
	v_div_fixup_f32 v10, v11, v10, 1.0
	v_addc_co_u32_e32 v9, vcc, v18, v9, vcc
	global_store_dword v[8:9], v10, off
.LBB64_6:
	s_or_b64 exec, exec, s[2:3]
	s_waitcnt vmcnt(0)
	v_cmp_lt_f32_e32 vcc, v4, v5
	v_or_b32_e32 v19, 1, v17
	v_cndmask_b32_e32 v9, v4, v5, vcc
	v_cndmask_b32_e32 v8, v17, v19, vcc
	v_cmp_lt_f32_e32 vcc, v9, v6
	v_or_b32_e32 v20, 2, v17
	v_cndmask_b32_e32 v9, v9, v6, vcc
	v_cndmask_b32_e32 v8, v8, v20, vcc
	;; [unrolled: 4-line block ×6, first 2 shown]
	v_or_b32_e32 v25, 7, v17
	v_cmp_lt_f32_e32 vcc, v9, v3
	v_cndmask_b32_e32 v8, v8, v25, vcc
	v_cndmask_b32_e32 v9, v9, v3, vcc
	s_nop 0
	v_mov_b32_dpp v10, v8 quad_perm:[1,0,3,2] row_mask:0xf bank_mask:0xf
	v_mov_b32_dpp v11, v9 quad_perm:[1,0,3,2] row_mask:0xf bank_mask:0xf
	v_cmp_eq_f32_e64 s[2:3], v9, v11
	v_cmp_lt_i32_e64 s[6:7], v10, v8
	v_cmp_lt_f32_e32 vcc, v9, v11
	s_and_b64 s[2:3], s[2:3], s[6:7]
	s_or_b64 vcc, vcc, s[2:3]
	v_cndmask_b32_e32 v9, v9, v11, vcc
	v_cndmask_b32_e32 v8, v8, v10, vcc
	s_nop 0
	v_mov_b32_dpp v11, v9 quad_perm:[2,3,0,1] row_mask:0xf bank_mask:0xf
	v_mov_b32_dpp v10, v8 quad_perm:[2,3,0,1] row_mask:0xf bank_mask:0xf
	v_cmp_eq_f32_e64 s[2:3], v9, v11
	v_cmp_lt_i32_e64 s[6:7], v10, v8
	v_cmp_lt_f32_e32 vcc, v9, v11
	s_and_b64 s[2:3], s[2:3], s[6:7]
	s_or_b64 vcc, vcc, s[2:3]
	v_cndmask_b32_e32 v11, v9, v11, vcc
	v_cndmask_b32_e32 v8, v8, v10, vcc
	s_nop 0
	v_mov_b32_dpp v10, v11 row_half_mirror row_mask:0xf bank_mask:0xf
	v_mov_b32_dpp v9, v8 row_half_mirror row_mask:0xf bank_mask:0xf
	v_cmp_eq_f32_e64 s[2:3], v11, v10
	v_cmp_lt_i32_e64 s[6:7], v9, v8
	v_cmp_lt_f32_e32 vcc, v11, v10
	s_and_b64 s[2:3], s[2:3], s[6:7]
	s_or_b64 s[2:3], vcc, s[2:3]
	s_cmp_gt_i32 s8, 0
	s_cselect_b64 s[6:7], -1, 0
	v_cndmask_b32_e64 v18, v11, v10, s[2:3]
	s_and_b64 vcc, exec, s[6:7]
	s_cbranch_vccz .LBB64_18
; %bb.7:
	s_load_dwordx4 s[12:15], s[4:5], 0x20
	v_cndmask_b32_e64 v28, v8, v9, s[2:3]
	v_mul_lo_u32 v12, v14, s11
	v_mul_lo_u32 v10, v14, s20
	;; [unrolled: 1-line block ×3, first 2 shown]
	v_mov_b32_e32 v15, 0
	s_and_saveexec_b64 s[4:5], s[0:1]
	s_cbranch_execz .LBB64_9
; %bb.8:
	v_sub_f32_e32 v9, v18, v18
	v_mul_f32_e32 v11, 0x3fb8aa3b, v9
	s_mov_b32 s2, 0x3fb8aa3b
	v_rndne_f32_e32 v13, v11
	v_sub_f32_e32 v15, v11, v13
	v_fma_f32 v11, v9, s2, -v11
	v_fmac_f32_e32 v11, 0x32a5705f, v9
	v_add_f32_e32 v11, v15, v11
	v_exp_f32_e32 v11, v11
	v_cvt_i32_f32_e32 v13, v13
	v_cmp_le_i32_e32 vcc, s9, v28
	v_cmp_gt_i32_e64 s[2:3], s10, v28
	s_mov_b32 s20, 0xc2ce8ed0
	s_and_b64 s[2:3], vcc, s[2:3]
	v_ldexp_f32 v11, v11, v13
	v_cmp_ngt_f32_e32 vcc, s20, v9
	s_mov_b32 s20, 0x42b17218
	v_cndmask_b32_e32 v11, 0, v11, vcc
	v_mov_b32_e32 v13, 0x7f800000
	v_cmp_nlt_f32_e32 vcc, s20, v9
	v_cndmask_b32_e32 v15, v13, v11, vcc
	v_ashrrev_i32_e32 v13, 31, v12
	v_lshlrev_b64 v[30:31], 2, v[12:13]
	v_mov_b32_e32 v9, s17
	v_add_co_u32_e32 v30, vcc, s16, v30
	v_addc_co_u32_e32 v31, vcc, v9, v31, vcc
	v_ashrrev_i32_e32 v11, 31, v10
	global_store_dword v[30:31], v15, off
	v_subrev_u32_e32 v9, s9, v28
	s_and_b64 vcc, s[18:19], s[2:3]
	v_lshlrev_b64 v[30:31], 2, v[10:11]
	v_cndmask_b32_e32 v9, 64, v9, vcc
	s_waitcnt lgkmcnt(0)
	v_mov_b32_e32 v11, s13
	v_add_co_u32_e32 v30, vcc, s12, v30
	v_addc_co_u32_e32 v31, vcc, v11, v31, vcc
	global_store_dword v[30:31], v9, off
	v_ashrrev_i32_e32 v9, 31, v8
	v_lshlrev_b64 v[30:31], 2, v[8:9]
	v_mov_b32_e32 v9, s15
	v_add_co_u32_e32 v30, vcc, s14, v30
	v_addc_co_u32_e32 v31, vcc, v9, v31, vcc
	global_store_dword v[30:31], v14, off
.LBB64_9:
	s_or_b64 exec, exec, s[4:5]
	v_ashrrev_i32_e32 v11, 31, v28
	v_lshrrev_b32_e32 v9, 29, v11
	v_add_u32_e32 v9, v28, v9
	v_ashrrev_i32_e32 v9, 3, v9
	v_lshrrev_b32_e32 v13, 29, v9
	v_add_u32_e32 v13, v9, v13
	v_and_b32_e32 v13, -8, v13
	v_sub_u32_e32 v13, v9, v13
	v_cmp_eq_u32_e32 vcc, v16, v13
	s_and_saveexec_b64 s[2:3], vcc
	s_cbranch_execz .LBB64_11
; %bb.10:
	v_lshrrev_b32_e32 v11, 26, v11
	v_add_u32_e32 v11, v28, v11
	v_lshlrev_b32_e32 v9, 3, v9
	v_ashrrev_i32_e32 v11, 6, v11
	v_sub_u32_e32 v9, v28, v9
	v_lshl_add_u32 v9, v11, 3, v9
	v_mov_b32_e32 v11, 0xff800000
	v_cmp_ne_u32_e32 vcc, 7, v9
	v_cndmask_b32_e32 v3, v11, v3, vcc
	v_cmp_ne_u32_e32 vcc, 6, v9
	v_cndmask_b32_e32 v2, v11, v2, vcc
	;; [unrolled: 2-line block ×8, first 2 shown]
.LBB64_11:
	s_or_b64 exec, exec, s[2:3]
	s_cmp_eq_u32 s8, 1
	s_cbranch_scc1 .LBB64_18
; %bb.12:
	s_add_i32 s23, s23, s22
	s_add_i32 s20, s8, -1
	v_add3_u32 v26, s23, v27, v26
	v_add_u32_e32 v8, 1, v8
	v_add_u32_e32 v10, 1, v10
	;; [unrolled: 1-line block ×3, first 2 shown]
	s_mov_b32 s21, 0x3fb8aa3b
	s_mov_b32 s23, 0xc2ce8ed0
	;; [unrolled: 1-line block ×3, first 2 shown]
	v_mov_b32_e32 v27, 0x7f800000
	v_mov_b32_e32 v28, 0xff800000
	s_branch .LBB64_14
.LBB64_13:                              ;   in Loop: Header=BB64_14 Depth=1
	s_or_b64 exec, exec, s[2:3]
	s_add_i32 s20, s20, -1
	v_add_u32_e32 v26, s22, v26
	v_add_u32_e32 v8, 1, v8
	;; [unrolled: 1-line block ×3, first 2 shown]
	s_cmp_eq_u32 s20, 0
	v_add_u32_e32 v12, 1, v12
	s_cbranch_scc1 .LBB64_18
.LBB64_14:                              ; =>This Inner Loop Header: Depth=1
	v_cmp_gt_f32_e32 vcc, v5, v4
	v_cndmask_b32_e32 v11, v4, v5, vcc
	v_cndmask_b32_e32 v9, v17, v19, vcc
	v_cmp_gt_f32_e32 vcc, v6, v11
	v_cndmask_b32_e32 v11, v11, v6, vcc
	v_cndmask_b32_e32 v9, v9, v20, vcc
	;; [unrolled: 3-line block ×7, first 2 shown]
	s_nop 0
	v_mov_b32_dpp v13, v9 quad_perm:[1,0,3,2] row_mask:0xf bank_mask:0xf
	v_mov_b32_dpp v29, v11 quad_perm:[1,0,3,2] row_mask:0xf bank_mask:0xf
	v_cmp_eq_f32_e64 s[2:3], v11, v29
	v_cmp_lt_i32_e64 s[4:5], v13, v9
	v_cmp_lt_f32_e32 vcc, v11, v29
	s_and_b64 s[2:3], s[2:3], s[4:5]
	s_or_b64 vcc, vcc, s[2:3]
	v_cndmask_b32_e32 v11, v11, v29, vcc
	v_cndmask_b32_e32 v13, v9, v13, vcc
	s_nop 0
	v_mov_b32_dpp v9, v11 quad_perm:[2,3,0,1] row_mask:0xf bank_mask:0xf
	v_mov_b32_dpp v29, v13 quad_perm:[2,3,0,1] row_mask:0xf bank_mask:0xf
	v_cmp_eq_f32_e64 s[2:3], v11, v9
	v_cmp_lt_i32_e64 s[4:5], v29, v13
	v_cmp_lt_f32_e32 vcc, v11, v9
	s_and_b64 s[2:3], s[2:3], s[4:5]
	s_or_b64 vcc, vcc, s[2:3]
	v_cndmask_b32_e32 v9, v11, v9, vcc
	v_cndmask_b32_e32 v13, v13, v29, vcc
	s_nop 0
	v_mov_b32_dpp v11, v9 row_half_mirror row_mask:0xf bank_mask:0xf
	v_mov_b32_dpp v29, v13 row_half_mirror row_mask:0xf bank_mask:0xf
	v_cmp_eq_f32_e64 s[2:3], v9, v11
	v_cmp_lt_i32_e64 s[4:5], v29, v13
	v_cmp_lt_f32_e32 vcc, v9, v11
	s_and_b64 s[2:3], s[2:3], s[4:5]
	s_or_b64 vcc, vcc, s[2:3]
	v_cndmask_b32_e32 v29, v13, v29, vcc
	s_and_saveexec_b64 s[4:5], s[0:1]
	s_cbranch_execz .LBB64_16
; %bb.15:                               ;   in Loop: Header=BB64_14 Depth=1
	v_cndmask_b32_e32 v9, v9, v11, vcc
	v_sub_f32_e32 v9, v9, v18
	v_mul_f32_e32 v11, 0x3fb8aa3b, v9
	v_fma_f32 v13, v9, s21, -v11
	v_rndne_f32_e32 v30, v11
	v_fmac_f32_e32 v13, 0x32a5705f, v9
	v_sub_f32_e32 v11, v11, v30
	v_add_f32_e32 v11, v11, v13
	v_exp_f32_e32 v11, v11
	v_cvt_i32_f32_e32 v13, v30
	v_cmp_le_i32_e32 vcc, s9, v29
	v_cmp_gt_i32_e64 s[2:3], s10, v29
	s_and_b64 s[2:3], vcc, s[2:3]
	v_ldexp_f32 v11, v11, v13
	v_cmp_ngt_f32_e32 vcc, s23, v9
	v_ashrrev_i32_e32 v13, 31, v12
	v_cndmask_b32_e32 v11, 0, v11, vcc
	v_cmp_nlt_f32_e32 vcc, s24, v9
	v_lshlrev_b64 v[30:31], 2, v[12:13]
	v_cndmask_b32_e32 v32, v27, v11, vcc
	v_mov_b32_e32 v9, s17
	v_add_co_u32_e32 v30, vcc, s16, v30
	v_addc_co_u32_e32 v31, vcc, v9, v31, vcc
	v_ashrrev_i32_e32 v11, 31, v10
	global_store_dword v[30:31], v32, off
	v_subrev_u32_e32 v9, s9, v29
	s_and_b64 vcc, s[18:19], s[2:3]
	v_lshlrev_b64 v[30:31], 2, v[10:11]
	v_cndmask_b32_e32 v9, 64, v9, vcc
	s_waitcnt lgkmcnt(0)
	v_mov_b32_e32 v11, s13
	v_add_co_u32_e32 v30, vcc, s12, v30
	v_addc_co_u32_e32 v31, vcc, v11, v31, vcc
	global_store_dword v[30:31], v9, off
	v_ashrrev_i32_e32 v9, 31, v8
	v_lshlrev_b64 v[30:31], 2, v[8:9]
	v_mov_b32_e32 v9, s15
	v_add_co_u32_e32 v30, vcc, s14, v30
	v_addc_co_u32_e32 v31, vcc, v9, v31, vcc
	v_add_f32_e32 v15, v15, v32
	global_store_dword v[30:31], v26, off
.LBB64_16:                              ;   in Loop: Header=BB64_14 Depth=1
	s_or_b64 exec, exec, s[4:5]
	v_ashrrev_i32_e32 v11, 31, v29
	v_lshrrev_b32_e32 v9, 29, v11
	v_add_u32_e32 v9, v29, v9
	v_ashrrev_i32_e32 v9, 3, v9
	v_lshrrev_b32_e32 v13, 29, v9
	v_add_u32_e32 v13, v9, v13
	v_and_b32_e32 v13, -8, v13
	v_sub_u32_e32 v13, v9, v13
	v_cmp_eq_u32_e32 vcc, v16, v13
	s_and_saveexec_b64 s[2:3], vcc
	s_cbranch_execz .LBB64_13
; %bb.17:                               ;   in Loop: Header=BB64_14 Depth=1
	v_lshrrev_b32_e32 v11, 26, v11
	v_add_u32_e32 v11, v29, v11
	v_lshlrev_b32_e32 v9, 3, v9
	v_ashrrev_i32_e32 v11, 6, v11
	v_sub_u32_e32 v9, v29, v9
	v_lshl_add_u32 v9, v11, 3, v9
	v_cmp_ne_u32_e32 vcc, 7, v9
	v_cndmask_b32_e32 v3, v28, v3, vcc
	v_cmp_ne_u32_e32 vcc, 6, v9
	v_cndmask_b32_e32 v2, v28, v2, vcc
	;; [unrolled: 2-line block ×8, first 2 shown]
	s_branch .LBB64_13
.LBB64_18:
	v_sub_f32_e32 v4, v4, v18
	s_mov_b32 s2, 0x3fb8aa3b
	v_mul_f32_e32 v8, 0x3fb8aa3b, v4
	v_fma_f32 v9, v4, s2, -v8
	v_rndne_f32_e32 v10, v8
	v_fmac_f32_e32 v9, 0x32a5705f, v4
	v_sub_f32_e32 v8, v8, v10
	v_add_f32_e32 v8, v8, v9
	v_exp_f32_e32 v8, v8
	v_cvt_i32_f32_e32 v9, v10
	v_sub_f32_e32 v5, v5, v18
	s_mov_b32 s3, 0xc2ce8ed0
	v_cmp_ngt_f32_e32 vcc, s3, v4
	v_ldexp_f32 v8, v8, v9
	v_mul_f32_e32 v9, 0x3fb8aa3b, v5
	v_fma_f32 v10, v5, s2, -v9
	v_rndne_f32_e32 v11, v9
	v_fmac_f32_e32 v10, 0x32a5705f, v5
	v_sub_f32_e32 v9, v9, v11
	v_add_f32_e32 v9, v9, v10
	v_exp_f32_e32 v9, v9
	v_cvt_i32_f32_e32 v10, v11
	s_mov_b32 s4, 0x42b17218
	v_cndmask_b32_e32 v8, 0, v8, vcc
	v_mov_b32_e32 v11, 0x7f800000
	v_cmp_nlt_f32_e32 vcc, s4, v4
	v_sub_f32_e32 v6, v6, v18
	v_cndmask_b32_e32 v4, v11, v8, vcc
	v_ldexp_f32 v8, v9, v10
	v_mul_f32_e32 v9, 0x3fb8aa3b, v6
	v_fma_f32 v10, v6, s2, -v9
	v_rndne_f32_e32 v12, v9
	v_fmac_f32_e32 v10, 0x32a5705f, v6
	v_sub_f32_e32 v9, v9, v12
	v_add_f32_e32 v9, v9, v10
	v_exp_f32_e32 v9, v9
	v_cvt_i32_f32_e32 v10, v12
	v_cmp_ngt_f32_e32 vcc, s3, v5
	v_cndmask_b32_e32 v8, 0, v8, vcc
	v_cmp_nlt_f32_e32 vcc, s4, v5
	v_sub_f32_e32 v7, v7, v18
	v_cndmask_b32_e32 v5, v11, v8, vcc
	v_mul_f32_e32 v8, 0x3fb8aa3b, v7
	v_add_f32_e32 v4, v4, v5
	v_ldexp_f32 v5, v9, v10
	v_fma_f32 v9, v7, s2, -v8
	v_rndne_f32_e32 v10, v8
	v_fmac_f32_e32 v9, 0x32a5705f, v7
	v_sub_f32_e32 v8, v8, v10
	v_add_f32_e32 v8, v8, v9
	v_exp_f32_e32 v8, v8
	v_cvt_i32_f32_e32 v9, v10
	v_cmp_ngt_f32_e32 vcc, s3, v6
	v_cndmask_b32_e32 v5, 0, v5, vcc
	v_cmp_nlt_f32_e32 vcc, s4, v6
	v_sub_f32_e32 v0, v0, v18
	v_cndmask_b32_e32 v5, v11, v5, vcc
	v_mul_f32_e32 v6, 0x3fb8aa3b, v0
	v_add_f32_e32 v4, v4, v5
	v_ldexp_f32 v5, v8, v9
	v_fma_f32 v8, v0, s2, -v6
	v_rndne_f32_e32 v9, v6
	v_fmac_f32_e32 v8, 0x32a5705f, v0
	v_sub_f32_e32 v6, v6, v9
	v_add_f32_e32 v6, v6, v8
	v_exp_f32_e32 v6, v6
	v_cvt_i32_f32_e32 v8, v9
	v_cmp_ngt_f32_e32 vcc, s3, v7
	v_cndmask_b32_e32 v5, 0, v5, vcc
	v_cmp_nlt_f32_e32 vcc, s4, v7
	v_cndmask_b32_e32 v5, v11, v5, vcc
	v_sub_f32_e32 v1, v1, v18
	v_add_f32_e32 v4, v4, v5
	v_ldexp_f32 v5, v6, v8
	v_mul_f32_e32 v6, 0x3fb8aa3b, v1
	v_fma_f32 v7, v1, s2, -v6
	v_rndne_f32_e32 v8, v6
	v_fmac_f32_e32 v7, 0x32a5705f, v1
	v_sub_f32_e32 v6, v6, v8
	v_add_f32_e32 v6, v6, v7
	v_exp_f32_e32 v6, v6
	v_cvt_i32_f32_e32 v7, v8
	v_cmp_ngt_f32_e32 vcc, s3, v0
	v_cndmask_b32_e32 v5, 0, v5, vcc
	v_cmp_nlt_f32_e32 vcc, s4, v0
	v_sub_f32_e32 v2, v2, v18
	v_cndmask_b32_e32 v0, v11, v5, vcc
	v_mul_f32_e32 v5, 0x3fb8aa3b, v2
	v_add_f32_e32 v0, v4, v0
	v_ldexp_f32 v4, v6, v7
	v_fma_f32 v6, v2, s2, -v5
	v_rndne_f32_e32 v7, v5
	v_fmac_f32_e32 v6, 0x32a5705f, v2
	v_sub_f32_e32 v5, v5, v7
	v_add_f32_e32 v5, v5, v6
	v_exp_f32_e32 v5, v5
	v_cvt_i32_f32_e32 v6, v7
	v_cmp_ngt_f32_e32 vcc, s3, v1
	v_cndmask_b32_e32 v4, 0, v4, vcc
	v_cmp_nlt_f32_e32 vcc, s4, v1
	v_sub_f32_e32 v3, v3, v18
	v_cndmask_b32_e32 v1, v11, v4, vcc
	v_mul_f32_e32 v4, 0x3fb8aa3b, v3
	v_add_f32_e32 v0, v0, v1
	v_ldexp_f32 v1, v5, v6
	v_fma_f32 v5, v3, s2, -v4
	v_rndne_f32_e32 v6, v4
	v_fmac_f32_e32 v5, 0x32a5705f, v3
	v_sub_f32_e32 v4, v4, v6
	v_add_f32_e32 v4, v4, v5
	v_exp_f32_e32 v4, v4
	v_cvt_i32_f32_e32 v5, v6
	v_cmp_ngt_f32_e32 vcc, s3, v2
	v_cndmask_b32_e32 v1, 0, v1, vcc
	v_cmp_nlt_f32_e32 vcc, s4, v2
	v_cndmask_b32_e32 v1, v11, v1, vcc
	v_add_f32_e32 v0, v0, v1
	v_ldexp_f32 v1, v4, v5
	v_cmp_ngt_f32_e32 vcc, s3, v3
	v_cndmask_b32_e32 v1, 0, v1, vcc
	v_cmp_nlt_f32_e32 vcc, s4, v3
	v_cndmask_b32_e32 v1, v11, v1, vcc
	v_add_f32_e32 v0, v0, v1
	s_nop 1
	v_mov_b32_dpp v1, v0 quad_perm:[1,0,3,2] row_mask:0xf bank_mask:0xf
	v_add_f32_e32 v0, v0, v1
	s_nop 1
	v_mov_b32_dpp v1, v0 quad_perm:[2,3,0,1] row_mask:0xf bank_mask:0xf
	v_add_f32_e32 v0, v0, v1
	s_nop 1
	v_mov_b32_dpp v1, v0 row_half_mirror row_mask:0xf bank_mask:0xf
	s_and_b64 exec, exec, s[0:1]
	s_cbranch_execz .LBB64_31
; %bb.19:
	v_add_f32_e32 v0, v0, v1
	v_add_f32_e32 v0, v15, v0
	v_cmp_neq_f32_e32 vcc, 0, v0
	s_and_b64 exec, exec, vcc
	s_cbranch_execz .LBB64_31
; %bb.20:
	s_andn2_b64 vcc, exec, s[6:7]
	s_cbranch_vccnz .LBB64_31
; %bb.21:
	v_div_scale_f32 v1, s[0:1], v0, v0, 1.0
	v_rcp_f32_e32 v2, v1
	v_div_scale_f32 v3, vcc, 1.0, v0, 1.0
	s_cmp_gt_u32 s8, 3
	v_fma_f32 v4, -v1, v2, 1.0
	v_fmac_f32_e32 v2, v4, v2
	v_mul_f32_e32 v4, v3, v2
	v_fma_f32 v5, -v1, v4, v3
	v_fmac_f32_e32 v4, v5, v2
	v_fma_f32 v1, -v1, v4, v3
	v_div_fmas_f32 v1, v1, v2, v4
	v_mul_lo_u32 v2, v14, s11
	v_div_fixup_f32 v0, v1, v0, 1.0
	v_ashrrev_i32_e32 v3, 31, v2
	s_cbranch_scc0 .LBB64_25
; %bb.22:
	v_lshlrev_b64 v[4:5], 2, v[2:3]
	v_mov_b32_e32 v6, s17
	v_add_co_u32_e32 v4, vcc, s16, v4
	v_addc_co_u32_e32 v5, vcc, v5, v6, vcc
	s_and_b32 s4, s8, 0x7ffffffc
	v_add_co_u32_e32 v4, vcc, 8, v4
	v_mov_b32_e32 v1, v0
	v_addc_co_u32_e32 v5, vcc, 0, v5, vcc
	s_mov_b32 s0, s4
.LBB64_23:                              ; =>This Inner Loop Header: Depth=1
	global_load_dwordx4 v[6:9], v[4:5], off offset:-8
	s_add_i32 s0, s0, -4
	s_cmp_lg_u32 s0, 0
	s_waitcnt vmcnt(0)
	v_pk_mul_f32 v[6:7], v[0:1], v[6:7]
	v_pk_mul_f32 v[8:9], v[0:1], v[8:9]
	global_store_dwordx4 v[4:5], v[6:9], off offset:-8
	v_add_co_u32_e32 v4, vcc, 16, v4
	v_addc_co_u32_e32 v5, vcc, 0, v5, vcc
	s_cbranch_scc1 .LBB64_23
; %bb.24:
	s_cmp_lg_u32 s4, s8
	s_mov_b64 s[2:3], 0
	s_cselect_b64 s[0:1], -1, 0
	s_branch .LBB64_26
.LBB64_25:
	s_mov_b64 s[2:3], -1
	s_mov_b64 s[0:1], 0
                                        ; implicit-def: $sgpr4
.LBB64_26:
	s_and_b64 vcc, exec, s[2:3]
	s_cbranch_vccz .LBB64_28
; %bb.27:
	s_mov_b64 s[0:1], -1
	s_mov_b32 s4, 0
.LBB64_28:
	s_andn2_b64 vcc, exec, s[0:1]
	s_cbranch_vccnz .LBB64_31
; %bb.29:
	v_add_co_u32_e32 v2, vcc, s4, v2
	v_addc_co_u32_e32 v3, vcc, 0, v3, vcc
	v_lshlrev_b64 v[2:3], 2, v[2:3]
	v_mov_b32_e32 v1, s17
	v_add_co_u32_e32 v2, vcc, s16, v2
	s_sub_i32 s0, s8, s4
	v_addc_co_u32_e32 v3, vcc, v1, v3, vcc
.LBB64_30:                              ; =>This Inner Loop Header: Depth=1
	global_load_dword v1, v[2:3], off
	s_add_i32 s0, s0, -1
	s_cmp_lg_u32 s0, 0
	s_waitcnt vmcnt(0)
	v_mul_f32_e32 v1, v0, v1
	global_store_dword v[2:3], v1, off
	v_add_co_u32_e32 v2, vcc, 4, v2
	v_addc_co_u32_e32 v3, vcc, 0, v3, vcc
	s_cbranch_scc1 .LBB64_30
.LBB64_31:
	s_endpgm
	.section	.rodata,"a",@progbits
	.p2align	6, 0x0
	.amdhsa_kernel _ZN4vllm3moe17topkGatingSoftmaxIfLi8ELi64ELi8ELi32ELb0ELi1ELNS0_23SharedExpertScoringFuncE1EEEvPKT_PKbPfiPiS9_iiiiii
		.amdhsa_group_segment_fixed_size 0
		.amdhsa_private_segment_fixed_size 0
		.amdhsa_kernarg_size 72
		.amdhsa_user_sgpr_count 6
		.amdhsa_user_sgpr_private_segment_buffer 1
		.amdhsa_user_sgpr_dispatch_ptr 0
		.amdhsa_user_sgpr_queue_ptr 0
		.amdhsa_user_sgpr_kernarg_segment_ptr 1
		.amdhsa_user_sgpr_dispatch_id 0
		.amdhsa_user_sgpr_flat_scratch_init 0
		.amdhsa_user_sgpr_kernarg_preload_length 0
		.amdhsa_user_sgpr_kernarg_preload_offset 0
		.amdhsa_user_sgpr_private_segment_size 0
		.amdhsa_uses_dynamic_stack 0
		.amdhsa_system_sgpr_private_segment_wavefront_offset 0
		.amdhsa_system_sgpr_workgroup_id_x 1
		.amdhsa_system_sgpr_workgroup_id_y 0
		.amdhsa_system_sgpr_workgroup_id_z 0
		.amdhsa_system_sgpr_workgroup_info 0
		.amdhsa_system_vgpr_workitem_id 1
		.amdhsa_next_free_vgpr 33
		.amdhsa_next_free_sgpr 25
		.amdhsa_accum_offset 36
		.amdhsa_reserve_vcc 1
		.amdhsa_reserve_flat_scratch 0
		.amdhsa_float_round_mode_32 0
		.amdhsa_float_round_mode_16_64 0
		.amdhsa_float_denorm_mode_32 3
		.amdhsa_float_denorm_mode_16_64 3
		.amdhsa_dx10_clamp 1
		.amdhsa_ieee_mode 1
		.amdhsa_fp16_overflow 0
		.amdhsa_tg_split 0
		.amdhsa_exception_fp_ieee_invalid_op 0
		.amdhsa_exception_fp_denorm_src 0
		.amdhsa_exception_fp_ieee_div_zero 0
		.amdhsa_exception_fp_ieee_overflow 0
		.amdhsa_exception_fp_ieee_underflow 0
		.amdhsa_exception_fp_ieee_inexact 0
		.amdhsa_exception_int_div_zero 0
	.end_amdhsa_kernel
	.section	.text._ZN4vllm3moe17topkGatingSoftmaxIfLi8ELi64ELi8ELi32ELb0ELi1ELNS0_23SharedExpertScoringFuncE1EEEvPKT_PKbPfiPiS9_iiiiii,"axG",@progbits,_ZN4vllm3moe17topkGatingSoftmaxIfLi8ELi64ELi8ELi32ELb0ELi1ELNS0_23SharedExpertScoringFuncE1EEEvPKT_PKbPfiPiS9_iiiiii,comdat
.Lfunc_end64:
	.size	_ZN4vllm3moe17topkGatingSoftmaxIfLi8ELi64ELi8ELi32ELb0ELi1ELNS0_23SharedExpertScoringFuncE1EEEvPKT_PKbPfiPiS9_iiiiii, .Lfunc_end64-_ZN4vllm3moe17topkGatingSoftmaxIfLi8ELi64ELi8ELi32ELb0ELi1ELNS0_23SharedExpertScoringFuncE1EEEvPKT_PKbPfiPiS9_iiiiii
                                        ; -- End function
	.section	.AMDGPU.csdata,"",@progbits
; Kernel info:
; codeLenInByte = 2976
; NumSgprs: 29
; NumVgprs: 33
; NumAgprs: 0
; TotalNumVgprs: 33
; ScratchSize: 0
; MemoryBound: 0
; FloatMode: 240
; IeeeMode: 1
; LDSByteSize: 0 bytes/workgroup (compile time only)
; SGPRBlocks: 3
; VGPRBlocks: 4
; NumSGPRsForWavesPerEU: 29
; NumVGPRsForWavesPerEU: 33
; AccumOffset: 36
; Occupancy: 8
; WaveLimiterHint : 0
; COMPUTE_PGM_RSRC2:SCRATCH_EN: 0
; COMPUTE_PGM_RSRC2:USER_SGPR: 6
; COMPUTE_PGM_RSRC2:TRAP_HANDLER: 0
; COMPUTE_PGM_RSRC2:TGID_X_EN: 1
; COMPUTE_PGM_RSRC2:TGID_Y_EN: 0
; COMPUTE_PGM_RSRC2:TGID_Z_EN: 0
; COMPUTE_PGM_RSRC2:TIDIG_COMP_CNT: 1
; COMPUTE_PGM_RSRC3_GFX90A:ACCUM_OFFSET: 8
; COMPUTE_PGM_RSRC3_GFX90A:TG_SPLIT: 0
	.section	.text._ZN4vllm3moe17topkGatingSoftmaxIfLi8ELi64ELi8ELi32ELb1ELi2ELNS0_23SharedExpertScoringFuncE1EEEvPKT_PKbPfiPiS9_iiiiii,"axG",@progbits,_ZN4vllm3moe17topkGatingSoftmaxIfLi8ELi64ELi8ELi32ELb1ELi2ELNS0_23SharedExpertScoringFuncE1EEEvPKT_PKbPfiPiS9_iiiiii,comdat
	.protected	_ZN4vllm3moe17topkGatingSoftmaxIfLi8ELi64ELi8ELi32ELb1ELi2ELNS0_23SharedExpertScoringFuncE1EEEvPKT_PKbPfiPiS9_iiiiii ; -- Begin function _ZN4vllm3moe17topkGatingSoftmaxIfLi8ELi64ELi8ELi32ELb1ELi2ELNS0_23SharedExpertScoringFuncE1EEEvPKT_PKbPfiPiS9_iiiiii
	.globl	_ZN4vllm3moe17topkGatingSoftmaxIfLi8ELi64ELi8ELi32ELb1ELi2ELNS0_23SharedExpertScoringFuncE1EEEvPKT_PKbPfiPiS9_iiiiii
	.p2align	8
	.type	_ZN4vllm3moe17topkGatingSoftmaxIfLi8ELi64ELi8ELi32ELb1ELi2ELNS0_23SharedExpertScoringFuncE1EEEvPKT_PKbPfiPiS9_iiiiii,@function
_ZN4vllm3moe17topkGatingSoftmaxIfLi8ELi64ELi8ELi32ELb1ELi2ELNS0_23SharedExpertScoringFuncE1EEEvPKT_PKbPfiPiS9_iiiiii: ; @_ZN4vllm3moe17topkGatingSoftmaxIfLi8ELi64ELi8ELi32ELb1ELi2ELNS0_23SharedExpertScoringFuncE1EEEvPKT_PKbPfiPiS9_iiiiii
; %bb.0:
	s_load_dword s24, s[4:5], 0x18
	v_bfe_u32 v1, v0, 10, 10
	v_and_b32_e32 v0, 0x3ff, v0
	s_lshl_b32 s25, s6, 6
	v_lshlrev_b32_e32 v25, 3, v1
	v_lshrrev_b32_e32 v26, 3, v0
	v_add3_u32 v14, s25, v25, v26
	s_waitcnt lgkmcnt(0)
	v_cmp_gt_i32_e32 vcc, s24, v14
	s_and_saveexec_b64 s[0:1], vcc
	s_cbranch_execz .LBB65_29
; %bb.1:
	s_load_dwordx4 s[0:3], s[4:5], 0x0
	s_load_dwordx2 s[16:17], s[4:5], 0x10
	s_waitcnt lgkmcnt(0)
	s_cmp_eq_u64 s[2:3], 0
	s_cbranch_scc1 .LBB65_3
; %bb.2:
	v_ashrrev_i32_e32 v1, 31, v14
	v_mov_b32_e32 v3, s3
	v_add_co_u32_e32 v2, vcc, s2, v14
	v_addc_co_u32_e32 v3, vcc, v3, v1, vcc
	global_load_ubyte v1, v[2:3], off
	s_waitcnt vmcnt(0)
	v_and_b32_e32 v1, 1, v1
	v_cmp_eq_u32_e32 vcc, 1, v1
	s_xor_b64 s[2:3], vcc, -1
	s_orn2_b64 s[18:19], s[2:3], exec
	s_branch .LBB65_4
.LBB65_3:
	s_mov_b64 s[18:19], -1
.LBB65_4:
	s_load_dwordx2 s[22:23], s[4:5], 0x40
	s_load_dwordx4 s[8:11], s[4:5], 0x30
	v_mov_b32_e32 v1, s1
	v_and_b32_e32 v15, 7, v0
	v_lshlrev_b32_e32 v0, 5, v15
	s_waitcnt lgkmcnt(0)
	v_mul_lo_u32 v2, v14, s23
	v_ashrrev_i32_e32 v3, 31, v2
	v_lshlrev_b64 v[2:3], 2, v[2:3]
	v_add_co_u32_e32 v8, vcc, s0, v2
	v_addc_co_u32_e32 v9, vcc, v1, v3, vcc
	v_add_co_u32_e32 v10, vcc, v8, v0
	v_addc_co_u32_e32 v11, vcc, 0, v9, vcc
	global_load_dwordx4 v[0:3], v[10:11], off offset:16
	global_load_dwordx4 v[4:7], v[10:11], off
	v_lshlrev_b32_e32 v17, 3, v15
	v_mov_b32_e32 v16, 0
	v_cmp_gt_u32_e32 vcc, 2, v15
	s_and_saveexec_b64 s[0:1], vcc
	s_cbranch_execz .LBB65_6
; %bb.5:
	v_lshlrev_b32_e32 v10, 2, v15
	v_add_co_u32_e32 v8, vcc, v8, v10
	v_addc_co_u32_e32 v9, vcc, 0, v9, vcc
	global_load_dword v10, v[8:9], off offset:256
	s_mov_b32 s2, 0xbfb8aa3b
	s_mov_b32 s3, 0x42ce8ed0
	;; [unrolled: 1-line block ×3, first 2 shown]
	v_mov_b32_e32 v11, 0x7f800000
	v_mul_lo_u32 v8, v14, s11
	v_add3_u32 v8, v8, s8, v15
	v_mov_b32_e32 v18, s17
	s_waitcnt vmcnt(0)
	v_mul_f32_e32 v9, 0xbfb8aa3b, v10
	v_fma_f32 v12, v10, s2, -v9
	v_rndne_f32_e32 v13, v9
	v_fmac_f32_e32 v12, 0xb2a5705f, v10
	v_sub_f32_e32 v9, v9, v13
	v_add_f32_e32 v9, v9, v12
	v_cvt_i32_f32_e32 v13, v13
	v_exp_f32_e32 v12, v9
	v_cmp_nlt_f32_e32 vcc, s3, v10
	v_ashrrev_i32_e32 v9, 31, v8
	v_lshlrev_b64 v[8:9], 2, v[8:9]
	v_ldexp_f32 v12, v12, v13
	v_cndmask_b32_e32 v12, 0, v12, vcc
	v_cmp_ngt_f32_e32 vcc, s6, v10
	v_cndmask_b32_e32 v10, v11, v12, vcc
	v_add_f32_e32 v10, 1.0, v10
	v_div_scale_f32 v11, s[2:3], v10, v10, 1.0
	v_rcp_f32_e32 v12, v11
	v_div_scale_f32 v13, vcc, 1.0, v10, 1.0
	v_fma_f32 v19, -v11, v12, 1.0
	v_fmac_f32_e32 v12, v19, v12
	v_mul_f32_e32 v19, v13, v12
	v_fma_f32 v20, -v11, v19, v13
	v_fmac_f32_e32 v19, v20, v12
	v_fma_f32 v11, -v11, v19, v13
	v_div_fmas_f32 v11, v11, v12, v19
	v_add_co_u32_e32 v8, vcc, s16, v8
	v_div_fixup_f32 v10, v11, v10, 1.0
	v_addc_co_u32_e32 v9, vcc, v18, v9, vcc
	global_store_dword v[8:9], v10, off
.LBB65_6:
	s_or_b64 exec, exec, s[0:1]
	s_waitcnt vmcnt(0)
	v_cmp_lt_f32_e32 vcc, v4, v5
	v_or_b32_e32 v18, 1, v17
	v_cndmask_b32_e32 v9, v4, v5, vcc
	v_cndmask_b32_e32 v8, v17, v18, vcc
	v_cmp_lt_f32_e32 vcc, v9, v6
	v_or_b32_e32 v19, 2, v17
	v_cndmask_b32_e32 v9, v9, v6, vcc
	v_cndmask_b32_e32 v8, v8, v19, vcc
	;; [unrolled: 4-line block ×6, first 2 shown]
	v_or_b32_e32 v24, 7, v17
	v_cmp_lt_f32_e32 vcc, v9, v3
	v_cndmask_b32_e32 v8, v8, v24, vcc
	v_cndmask_b32_e32 v9, v9, v3, vcc
	s_nop 0
	v_mov_b32_dpp v10, v8 quad_perm:[1,0,3,2] row_mask:0xf bank_mask:0xf
	v_mov_b32_dpp v11, v9 quad_perm:[1,0,3,2] row_mask:0xf bank_mask:0xf
	v_cmp_eq_f32_e64 s[0:1], v9, v11
	v_cmp_lt_i32_e64 s[2:3], v10, v8
	v_cmp_lt_f32_e32 vcc, v9, v11
	s_and_b64 s[0:1], s[0:1], s[2:3]
	s_or_b64 vcc, vcc, s[0:1]
	v_cndmask_b32_e32 v9, v9, v11, vcc
	v_cndmask_b32_e32 v10, v8, v10, vcc
	s_nop 0
	v_mov_b32_dpp v8, v9 quad_perm:[2,3,0,1] row_mask:0xf bank_mask:0xf
	v_mov_b32_dpp v11, v10 quad_perm:[2,3,0,1] row_mask:0xf bank_mask:0xf
	v_cmp_eq_f32_e64 s[0:1], v9, v8
	v_cmp_lt_i32_e64 s[2:3], v11, v10
	v_cmp_lt_f32_e32 vcc, v9, v8
	s_and_b64 s[0:1], s[0:1], s[2:3]
	s_or_b64 vcc, vcc, s[0:1]
	v_cndmask_b32_e32 v8, v9, v8, vcc
	v_cndmask_b32_e32 v9, v10, v11, vcc
	s_cmp_gt_i32 s8, 0
	v_mov_b32_dpp v11, v8 row_half_mirror row_mask:0xf bank_mask:0xf
	v_mov_b32_dpp v10, v9 row_half_mirror row_mask:0xf bank_mask:0xf
	s_cselect_b64 s[20:21], -1, 0
	s_cmp_lt_i32 s8, 1
	v_cmp_eq_u32_e32 vcc, 0, v15
	s_cbranch_scc1 .LBB65_18
; %bb.7:
	s_load_dwordx4 s[12:15], s[4:5], 0x20
	v_cmp_eq_f32_e64 s[2:3], v8, v11
	v_cmp_lt_i32_e64 s[6:7], v10, v9
	v_cmp_lt_f32_e64 s[0:1], v8, v11
	s_and_b64 s[2:3], s[2:3], s[6:7]
	s_or_b64 s[0:1], s[0:1], s[2:3]
	v_cndmask_b32_e64 v28, v9, v10, s[0:1]
	v_cndmask_b32_e64 v27, v8, v11, s[0:1]
	v_mul_lo_u32 v12, v14, s11
	v_mul_lo_u32 v10, v14, s22
	v_mul_lo_u32 v8, v14, s8
	v_mov_b32_e32 v16, 0
	s_and_saveexec_b64 s[4:5], vcc
	s_cbranch_execz .LBB65_9
; %bb.8:
	v_sub_f32_e32 v9, v27, v27
	v_mul_f32_e32 v11, 0x3fb8aa3b, v9
	s_mov_b32 s0, 0x3fb8aa3b
	v_rndne_f32_e32 v13, v11
	v_sub_f32_e32 v16, v11, v13
	v_fma_f32 v11, v9, s0, -v11
	v_fmac_f32_e32 v11, 0x32a5705f, v9
	v_add_f32_e32 v11, v16, v11
	v_exp_f32_e32 v11, v11
	v_cvt_i32_f32_e32 v13, v13
	v_cmp_le_i32_e64 s[0:1], s9, v28
	v_cmp_gt_i32_e64 s[2:3], s10, v28
	s_and_b64 s[2:3], s[0:1], s[2:3]
	s_mov_b32 s0, 0xc2ce8ed0
	v_ldexp_f32 v11, v11, v13
	v_cmp_ngt_f32_e64 s[0:1], s0, v9
	v_cndmask_b32_e64 v11, 0, v11, s[0:1]
	s_mov_b32 s0, 0x42b17218
	v_mov_b32_e32 v13, 0x7f800000
	v_cmp_nlt_f32_e64 s[0:1], s0, v9
	v_cndmask_b32_e64 v16, v13, v11, s[0:1]
	v_ashrrev_i32_e32 v13, 31, v12
	v_lshlrev_b64 v[30:31], 2, v[12:13]
	v_mov_b32_e32 v9, s17
	v_add_co_u32_e64 v30, s[0:1], s16, v30
	v_addc_co_u32_e64 v31, s[0:1], v9, v31, s[0:1]
	v_ashrrev_i32_e32 v11, 31, v10
	global_store_dword v[30:31], v16, off
	v_subrev_u32_e32 v9, s9, v28
	s_and_b64 s[0:1], s[18:19], s[2:3]
	v_lshlrev_b64 v[30:31], 2, v[10:11]
	v_cndmask_b32_e64 v9, 64, v9, s[0:1]
	s_waitcnt lgkmcnt(0)
	v_mov_b32_e32 v11, s13
	v_add_co_u32_e64 v30, s[0:1], s12, v30
	v_addc_co_u32_e64 v31, s[0:1], v11, v31, s[0:1]
	global_store_dword v[30:31], v9, off
	v_ashrrev_i32_e32 v9, 31, v8
	v_lshlrev_b64 v[30:31], 2, v[8:9]
	v_mov_b32_e32 v9, s15
	v_add_co_u32_e64 v30, s[0:1], s14, v30
	v_addc_co_u32_e64 v31, s[0:1], v9, v31, s[0:1]
	global_store_dword v[30:31], v14, off
.LBB65_9:
	s_or_b64 exec, exec, s[4:5]
	v_ashrrev_i32_e32 v11, 31, v28
	v_lshrrev_b32_e32 v9, 29, v11
	v_add_u32_e32 v9, v28, v9
	v_ashrrev_i32_e32 v9, 3, v9
	v_lshrrev_b32_e32 v13, 29, v9
	v_add_u32_e32 v13, v9, v13
	v_and_b32_e32 v13, -8, v13
	v_sub_u32_e32 v13, v9, v13
	v_cmp_eq_u32_e64 s[0:1], v15, v13
	s_and_saveexec_b64 s[2:3], s[0:1]
	s_cbranch_execz .LBB65_11
; %bb.10:
	v_lshrrev_b32_e32 v11, 26, v11
	v_add_u32_e32 v11, v28, v11
	v_lshlrev_b32_e32 v9, 3, v9
	v_ashrrev_i32_e32 v11, 6, v11
	v_sub_u32_e32 v9, v28, v9
	v_lshl_add_u32 v9, v11, 3, v9
	v_mov_b32_e32 v11, 0xff800000
	v_cmp_ne_u32_e64 s[0:1], 7, v9
	v_cndmask_b32_e64 v3, v11, v3, s[0:1]
	v_cmp_ne_u32_e64 s[0:1], 6, v9
	v_cndmask_b32_e64 v2, v11, v2, s[0:1]
	;; [unrolled: 2-line block ×8, first 2 shown]
.LBB65_11:
	s_or_b64 exec, exec, s[2:3]
	s_cmp_eq_u32 s8, 1
	s_cbranch_scc1 .LBB65_18
; %bb.12:
	s_add_i32 s25, s25, s24
	s_add_i32 s6, s8, -1
	v_add3_u32 v25, s25, v26, v25
	v_add_u32_e32 v8, 1, v8
	v_add_u32_e32 v10, 1, v10
	;; [unrolled: 1-line block ×3, first 2 shown]
	s_mov_b32 s7, 0x3fb8aa3b
	s_mov_b32 s22, 0xc2ce8ed0
	;; [unrolled: 1-line block ×3, first 2 shown]
	v_mov_b32_e32 v26, 0x7f800000
	v_mov_b32_e32 v28, 0xff800000
	s_branch .LBB65_14
.LBB65_13:                              ;   in Loop: Header=BB65_14 Depth=1
	s_or_b64 exec, exec, s[2:3]
	s_add_i32 s6, s6, -1
	v_add_u32_e32 v25, s24, v25
	v_add_u32_e32 v8, 1, v8
	;; [unrolled: 1-line block ×3, first 2 shown]
	s_cmp_eq_u32 s6, 0
	v_add_u32_e32 v12, 1, v12
	s_cbranch_scc1 .LBB65_18
.LBB65_14:                              ; =>This Inner Loop Header: Depth=1
	v_cmp_gt_f32_e64 s[0:1], v5, v4
	v_cndmask_b32_e64 v11, v4, v5, s[0:1]
	v_cndmask_b32_e64 v9, v17, v18, s[0:1]
	v_cmp_gt_f32_e64 s[0:1], v6, v11
	v_cndmask_b32_e64 v11, v11, v6, s[0:1]
	v_cndmask_b32_e64 v9, v9, v19, s[0:1]
	;; [unrolled: 3-line block ×7, first 2 shown]
	s_nop 0
	v_mov_b32_dpp v13, v9 quad_perm:[1,0,3,2] row_mask:0xf bank_mask:0xf
	v_mov_b32_dpp v29, v11 quad_perm:[1,0,3,2] row_mask:0xf bank_mask:0xf
	v_cmp_eq_f32_e64 s[2:3], v11, v29
	v_cmp_lt_i32_e64 s[4:5], v13, v9
	v_cmp_lt_f32_e64 s[0:1], v11, v29
	s_and_b64 s[2:3], s[2:3], s[4:5]
	s_or_b64 s[0:1], s[0:1], s[2:3]
	v_cndmask_b32_e64 v11, v11, v29, s[0:1]
	v_cndmask_b32_e64 v13, v9, v13, s[0:1]
	s_nop 0
	v_mov_b32_dpp v9, v11 quad_perm:[2,3,0,1] row_mask:0xf bank_mask:0xf
	v_mov_b32_dpp v29, v13 quad_perm:[2,3,0,1] row_mask:0xf bank_mask:0xf
	v_cmp_eq_f32_e64 s[2:3], v11, v9
	v_cmp_lt_i32_e64 s[4:5], v29, v13
	v_cmp_lt_f32_e64 s[0:1], v11, v9
	s_and_b64 s[2:3], s[2:3], s[4:5]
	s_or_b64 s[0:1], s[0:1], s[2:3]
	v_cndmask_b32_e64 v9, v11, v9, s[0:1]
	v_cndmask_b32_e64 v13, v13, v29, s[0:1]
	s_nop 0
	v_mov_b32_dpp v11, v9 row_half_mirror row_mask:0xf bank_mask:0xf
	v_mov_b32_dpp v29, v13 row_half_mirror row_mask:0xf bank_mask:0xf
	v_cmp_eq_f32_e64 s[2:3], v9, v11
	v_cmp_lt_i32_e64 s[4:5], v29, v13
	v_cmp_lt_f32_e64 s[0:1], v9, v11
	s_and_b64 s[2:3], s[2:3], s[4:5]
	s_or_b64 s[0:1], s[0:1], s[2:3]
	v_cndmask_b32_e64 v29, v13, v29, s[0:1]
	s_and_saveexec_b64 s[4:5], vcc
	s_cbranch_execz .LBB65_16
; %bb.15:                               ;   in Loop: Header=BB65_14 Depth=1
	v_cndmask_b32_e64 v9, v9, v11, s[0:1]
	v_sub_f32_e32 v9, v9, v27
	v_mul_f32_e32 v11, 0x3fb8aa3b, v9
	v_fma_f32 v13, v9, s7, -v11
	v_rndne_f32_e32 v30, v11
	v_fmac_f32_e32 v13, 0x32a5705f, v9
	v_sub_f32_e32 v11, v11, v30
	v_add_f32_e32 v11, v11, v13
	v_exp_f32_e32 v11, v11
	v_cvt_i32_f32_e32 v13, v30
	v_cmp_le_i32_e64 s[0:1], s9, v29
	v_cmp_gt_i32_e64 s[2:3], s10, v29
	s_and_b64 s[2:3], s[0:1], s[2:3]
	v_ldexp_f32 v11, v11, v13
	v_cmp_ngt_f32_e64 s[0:1], s22, v9
	v_ashrrev_i32_e32 v13, 31, v12
	v_cndmask_b32_e64 v11, 0, v11, s[0:1]
	v_cmp_nlt_f32_e64 s[0:1], s23, v9
	v_lshlrev_b64 v[30:31], 2, v[12:13]
	v_cndmask_b32_e64 v32, v26, v11, s[0:1]
	v_mov_b32_e32 v9, s17
	v_add_co_u32_e64 v30, s[0:1], s16, v30
	v_addc_co_u32_e64 v31, s[0:1], v9, v31, s[0:1]
	v_ashrrev_i32_e32 v11, 31, v10
	global_store_dword v[30:31], v32, off
	v_subrev_u32_e32 v9, s9, v29
	s_and_b64 s[0:1], s[18:19], s[2:3]
	v_lshlrev_b64 v[30:31], 2, v[10:11]
	v_cndmask_b32_e64 v9, 64, v9, s[0:1]
	s_waitcnt lgkmcnt(0)
	v_mov_b32_e32 v11, s13
	v_add_co_u32_e64 v30, s[0:1], s12, v30
	v_addc_co_u32_e64 v31, s[0:1], v11, v31, s[0:1]
	global_store_dword v[30:31], v9, off
	v_ashrrev_i32_e32 v9, 31, v8
	v_lshlrev_b64 v[30:31], 2, v[8:9]
	v_mov_b32_e32 v9, s15
	v_add_co_u32_e64 v30, s[0:1], s14, v30
	v_addc_co_u32_e64 v31, s[0:1], v9, v31, s[0:1]
	v_add_f32_e32 v16, v16, v32
	global_store_dword v[30:31], v25, off
.LBB65_16:                              ;   in Loop: Header=BB65_14 Depth=1
	s_or_b64 exec, exec, s[4:5]
	v_ashrrev_i32_e32 v11, 31, v29
	v_lshrrev_b32_e32 v9, 29, v11
	v_add_u32_e32 v9, v29, v9
	v_ashrrev_i32_e32 v9, 3, v9
	v_lshrrev_b32_e32 v13, 29, v9
	v_add_u32_e32 v13, v9, v13
	v_and_b32_e32 v13, -8, v13
	v_sub_u32_e32 v13, v9, v13
	v_cmp_eq_u32_e64 s[0:1], v15, v13
	s_and_saveexec_b64 s[2:3], s[0:1]
	s_cbranch_execz .LBB65_13
; %bb.17:                               ;   in Loop: Header=BB65_14 Depth=1
	v_lshrrev_b32_e32 v11, 26, v11
	v_add_u32_e32 v11, v29, v11
	v_lshlrev_b32_e32 v9, 3, v9
	v_ashrrev_i32_e32 v11, 6, v11
	v_sub_u32_e32 v9, v29, v9
	v_lshl_add_u32 v9, v11, 3, v9
	v_cmp_ne_u32_e64 s[0:1], 7, v9
	v_cndmask_b32_e64 v3, v28, v3, s[0:1]
	v_cmp_ne_u32_e64 s[0:1], 6, v9
	v_cndmask_b32_e64 v2, v28, v2, s[0:1]
	;; [unrolled: 2-line block ×8, first 2 shown]
	s_branch .LBB65_13
.LBB65_18:
	v_cmp_eq_u32_e32 vcc, 0, v15
	v_cmp_neq_f32_e64 s[0:1], 0, v16
	s_and_b64 s[0:1], vcc, s[0:1]
	s_and_b64 exec, exec, s[0:1]
	s_cbranch_execz .LBB65_29
; %bb.19:
	s_andn2_b64 vcc, exec, s[20:21]
	s_cbranch_vccnz .LBB65_29
; %bb.20:
	v_div_scale_f32 v0, s[0:1], v16, v16, 1.0
	v_rcp_f32_e32 v1, v0
	v_div_scale_f32 v2, vcc, 1.0, v16, 1.0
	s_cmp_gt_u32 s8, 3
	v_fma_f32 v3, -v0, v1, 1.0
	v_fmac_f32_e32 v1, v3, v1
	v_mul_f32_e32 v3, v2, v1
	v_fma_f32 v4, -v0, v3, v2
	v_fmac_f32_e32 v3, v4, v1
	v_fma_f32 v0, -v0, v3, v2
	v_div_fmas_f32 v0, v0, v1, v3
	v_mul_lo_u32 v2, v14, s11
	v_div_fixup_f32 v0, v0, v16, 1.0
	v_ashrrev_i32_e32 v3, 31, v2
	s_cbranch_scc0 .LBB65_24
; %bb.21:
	v_lshlrev_b64 v[4:5], 2, v[2:3]
	v_mov_b32_e32 v6, s17
	v_add_co_u32_e32 v4, vcc, s16, v4
	v_addc_co_u32_e32 v5, vcc, v5, v6, vcc
	s_and_b32 s4, s8, 0x7ffffffc
	v_add_co_u32_e32 v4, vcc, 8, v4
	v_mov_b32_e32 v1, v0
	v_addc_co_u32_e32 v5, vcc, 0, v5, vcc
	s_mov_b32 s0, s4
.LBB65_22:                              ; =>This Inner Loop Header: Depth=1
	global_load_dwordx4 v[6:9], v[4:5], off offset:-8
	s_add_i32 s0, s0, -4
	s_cmp_lg_u32 s0, 0
	s_waitcnt vmcnt(0)
	v_pk_mul_f32 v[6:7], v[0:1], v[6:7]
	v_pk_mul_f32 v[8:9], v[0:1], v[8:9]
	global_store_dwordx4 v[4:5], v[6:9], off offset:-8
	v_add_co_u32_e32 v4, vcc, 16, v4
	v_addc_co_u32_e32 v5, vcc, 0, v5, vcc
	s_cbranch_scc1 .LBB65_22
; %bb.23:
	s_cmp_lg_u32 s4, s8
	s_cselect_b64 s[0:1], -1, 0
	s_branch .LBB65_26
.LBB65_24:
	s_mov_b64 s[0:1], 0
                                        ; implicit-def: $sgpr4
	s_cbranch_execz .LBB65_26
; %bb.25:
	s_mov_b64 s[0:1], -1
	s_mov_b32 s4, 0
.LBB65_26:
	s_andn2_b64 vcc, exec, s[0:1]
	s_cbranch_vccnz .LBB65_29
; %bb.27:
	v_add_co_u32_e32 v2, vcc, s4, v2
	v_addc_co_u32_e32 v3, vcc, 0, v3, vcc
	v_lshlrev_b64 v[2:3], 2, v[2:3]
	v_mov_b32_e32 v1, s17
	v_add_co_u32_e32 v2, vcc, s16, v2
	s_sub_i32 s0, s8, s4
	v_addc_co_u32_e32 v3, vcc, v1, v3, vcc
.LBB65_28:                              ; =>This Inner Loop Header: Depth=1
	global_load_dword v1, v[2:3], off
	s_add_i32 s0, s0, -1
	s_cmp_lg_u32 s0, 0
	s_waitcnt vmcnt(0)
	v_mul_f32_e32 v1, v0, v1
	global_store_dword v[2:3], v1, off
	v_add_co_u32_e32 v2, vcc, 4, v2
	v_addc_co_u32_e32 v3, vcc, 0, v3, vcc
	s_cbranch_scc1 .LBB65_28
.LBB65_29:
	s_endpgm
	.section	.rodata,"a",@progbits
	.p2align	6, 0x0
	.amdhsa_kernel _ZN4vllm3moe17topkGatingSoftmaxIfLi8ELi64ELi8ELi32ELb1ELi2ELNS0_23SharedExpertScoringFuncE1EEEvPKT_PKbPfiPiS9_iiiiii
		.amdhsa_group_segment_fixed_size 0
		.amdhsa_private_segment_fixed_size 0
		.amdhsa_kernarg_size 72
		.amdhsa_user_sgpr_count 6
		.amdhsa_user_sgpr_private_segment_buffer 1
		.amdhsa_user_sgpr_dispatch_ptr 0
		.amdhsa_user_sgpr_queue_ptr 0
		.amdhsa_user_sgpr_kernarg_segment_ptr 1
		.amdhsa_user_sgpr_dispatch_id 0
		.amdhsa_user_sgpr_flat_scratch_init 0
		.amdhsa_user_sgpr_kernarg_preload_length 0
		.amdhsa_user_sgpr_kernarg_preload_offset 0
		.amdhsa_user_sgpr_private_segment_size 0
		.amdhsa_uses_dynamic_stack 0
		.amdhsa_system_sgpr_private_segment_wavefront_offset 0
		.amdhsa_system_sgpr_workgroup_id_x 1
		.amdhsa_system_sgpr_workgroup_id_y 0
		.amdhsa_system_sgpr_workgroup_id_z 0
		.amdhsa_system_sgpr_workgroup_info 0
		.amdhsa_system_vgpr_workitem_id 1
		.amdhsa_next_free_vgpr 33
		.amdhsa_next_free_sgpr 26
		.amdhsa_accum_offset 36
		.amdhsa_reserve_vcc 1
		.amdhsa_reserve_flat_scratch 0
		.amdhsa_float_round_mode_32 0
		.amdhsa_float_round_mode_16_64 0
		.amdhsa_float_denorm_mode_32 3
		.amdhsa_float_denorm_mode_16_64 3
		.amdhsa_dx10_clamp 1
		.amdhsa_ieee_mode 1
		.amdhsa_fp16_overflow 0
		.amdhsa_tg_split 0
		.amdhsa_exception_fp_ieee_invalid_op 0
		.amdhsa_exception_fp_denorm_src 0
		.amdhsa_exception_fp_ieee_div_zero 0
		.amdhsa_exception_fp_ieee_overflow 0
		.amdhsa_exception_fp_ieee_underflow 0
		.amdhsa_exception_fp_ieee_inexact 0
		.amdhsa_exception_int_div_zero 0
	.end_amdhsa_kernel
	.section	.text._ZN4vllm3moe17topkGatingSoftmaxIfLi8ELi64ELi8ELi32ELb1ELi2ELNS0_23SharedExpertScoringFuncE1EEEvPKT_PKbPfiPiS9_iiiiii,"axG",@progbits,_ZN4vllm3moe17topkGatingSoftmaxIfLi8ELi64ELi8ELi32ELb1ELi2ELNS0_23SharedExpertScoringFuncE1EEEvPKT_PKbPfiPiS9_iiiiii,comdat
.Lfunc_end65:
	.size	_ZN4vllm3moe17topkGatingSoftmaxIfLi8ELi64ELi8ELi32ELb1ELi2ELNS0_23SharedExpertScoringFuncE1EEEvPKT_PKbPfiPiS9_iiiiii, .Lfunc_end65-_ZN4vllm3moe17topkGatingSoftmaxIfLi8ELi64ELi8ELi32ELb1ELi2ELNS0_23SharedExpertScoringFuncE1EEEvPKT_PKbPfiPiS9_iiiiii
                                        ; -- End function
	.section	.AMDGPU.csdata,"",@progbits
; Kernel info:
; codeLenInByte = 2648
; NumSgprs: 30
; NumVgprs: 33
; NumAgprs: 0
; TotalNumVgprs: 33
; ScratchSize: 0
; MemoryBound: 0
; FloatMode: 240
; IeeeMode: 1
; LDSByteSize: 0 bytes/workgroup (compile time only)
; SGPRBlocks: 3
; VGPRBlocks: 4
; NumSGPRsForWavesPerEU: 30
; NumVGPRsForWavesPerEU: 33
; AccumOffset: 36
; Occupancy: 8
; WaveLimiterHint : 0
; COMPUTE_PGM_RSRC2:SCRATCH_EN: 0
; COMPUTE_PGM_RSRC2:USER_SGPR: 6
; COMPUTE_PGM_RSRC2:TRAP_HANDLER: 0
; COMPUTE_PGM_RSRC2:TGID_X_EN: 1
; COMPUTE_PGM_RSRC2:TGID_Y_EN: 0
; COMPUTE_PGM_RSRC2:TGID_Z_EN: 0
; COMPUTE_PGM_RSRC2:TIDIG_COMP_CNT: 1
; COMPUTE_PGM_RSRC3_GFX90A:ACCUM_OFFSET: 8
; COMPUTE_PGM_RSRC3_GFX90A:TG_SPLIT: 0
	.section	.text._ZN4vllm3moe17topkGatingSoftmaxIfLi8ELi64ELi8ELi32ELb0ELi2ELNS0_23SharedExpertScoringFuncE1EEEvPKT_PKbPfiPiS9_iiiiii,"axG",@progbits,_ZN4vllm3moe17topkGatingSoftmaxIfLi8ELi64ELi8ELi32ELb0ELi2ELNS0_23SharedExpertScoringFuncE1EEEvPKT_PKbPfiPiS9_iiiiii,comdat
	.protected	_ZN4vllm3moe17topkGatingSoftmaxIfLi8ELi64ELi8ELi32ELb0ELi2ELNS0_23SharedExpertScoringFuncE1EEEvPKT_PKbPfiPiS9_iiiiii ; -- Begin function _ZN4vllm3moe17topkGatingSoftmaxIfLi8ELi64ELi8ELi32ELb0ELi2ELNS0_23SharedExpertScoringFuncE1EEEvPKT_PKbPfiPiS9_iiiiii
	.globl	_ZN4vllm3moe17topkGatingSoftmaxIfLi8ELi64ELi8ELi32ELb0ELi2ELNS0_23SharedExpertScoringFuncE1EEEvPKT_PKbPfiPiS9_iiiiii
	.p2align	8
	.type	_ZN4vllm3moe17topkGatingSoftmaxIfLi8ELi64ELi8ELi32ELb0ELi2ELNS0_23SharedExpertScoringFuncE1EEEvPKT_PKbPfiPiS9_iiiiii,@function
_ZN4vllm3moe17topkGatingSoftmaxIfLi8ELi64ELi8ELi32ELb0ELi2ELNS0_23SharedExpertScoringFuncE1EEEvPKT_PKbPfiPiS9_iiiiii: ; @_ZN4vllm3moe17topkGatingSoftmaxIfLi8ELi64ELi8ELi32ELb0ELi2ELNS0_23SharedExpertScoringFuncE1EEEvPKT_PKbPfiPiS9_iiiiii
; %bb.0:
	s_load_dword s22, s[4:5], 0x18
	v_bfe_u32 v1, v0, 10, 10
	v_and_b32_e32 v0, 0x3ff, v0
	s_lshl_b32 s23, s6, 6
	v_lshlrev_b32_e32 v26, 3, v1
	v_lshrrev_b32_e32 v27, 3, v0
	v_add3_u32 v14, s23, v26, v27
	s_waitcnt lgkmcnt(0)
	v_cmp_gt_i32_e32 vcc, s22, v14
	s_and_saveexec_b64 s[0:1], vcc
	s_cbranch_execz .LBB66_31
; %bb.1:
	s_load_dwordx4 s[0:3], s[4:5], 0x0
	s_load_dwordx2 s[6:7], s[4:5], 0x10
	s_waitcnt lgkmcnt(0)
	s_cmp_eq_u64 s[2:3], 0
	s_cbranch_scc1 .LBB66_3
; %bb.2:
	v_ashrrev_i32_e32 v1, 31, v14
	v_mov_b32_e32 v3, s3
	v_add_co_u32_e32 v2, vcc, s2, v14
	v_addc_co_u32_e32 v3, vcc, v3, v1, vcc
	global_load_ubyte v1, v[2:3], off
	s_waitcnt vmcnt(0)
	v_and_b32_e32 v1, 1, v1
	v_cmp_eq_u32_e32 vcc, 1, v1
	s_xor_b64 s[2:3], vcc, -1
	s_orn2_b64 s[16:17], s[2:3], exec
	s_branch .LBB66_4
.LBB66_3:
	s_mov_b64 s[16:17], -1
.LBB66_4:
	s_load_dwordx2 s[20:21], s[4:5], 0x40
	s_load_dwordx4 s[8:11], s[4:5], 0x30
	v_mov_b32_e32 v1, s1
	v_and_b32_e32 v15, 7, v0
	v_lshlrev_b32_e32 v0, 5, v15
	s_waitcnt lgkmcnt(0)
	v_mul_lo_u32 v2, v14, s21
	v_ashrrev_i32_e32 v3, 31, v2
	v_lshlrev_b64 v[2:3], 2, v[2:3]
	v_add_co_u32_e32 v8, vcc, s0, v2
	v_addc_co_u32_e32 v9, vcc, v1, v3, vcc
	v_add_co_u32_e32 v10, vcc, v8, v0
	v_addc_co_u32_e32 v11, vcc, 0, v9, vcc
	global_load_dwordx4 v[0:3], v[10:11], off offset:16
	global_load_dwordx4 v[4:7], v[10:11], off
	v_lshlrev_b32_e32 v17, 3, v15
	v_mov_b32_e32 v16, 0
	v_cmp_gt_u32_e32 vcc, 2, v15
	s_and_saveexec_b64 s[0:1], vcc
	s_cbranch_execz .LBB66_6
; %bb.5:
	v_lshlrev_b32_e32 v10, 2, v15
	v_add_co_u32_e32 v8, vcc, v8, v10
	v_addc_co_u32_e32 v9, vcc, 0, v9, vcc
	global_load_dword v10, v[8:9], off offset:256
	s_mov_b32 s2, 0xbfb8aa3b
	s_mov_b32 s3, 0x42ce8ed0
	;; [unrolled: 1-line block ×3, first 2 shown]
	v_mov_b32_e32 v11, 0x7f800000
	v_mul_lo_u32 v8, v14, s11
	v_add3_u32 v8, v8, s8, v15
	v_mov_b32_e32 v18, s7
	s_waitcnt vmcnt(0)
	v_mul_f32_e32 v9, 0xbfb8aa3b, v10
	v_fma_f32 v12, v10, s2, -v9
	v_rndne_f32_e32 v13, v9
	v_fmac_f32_e32 v12, 0xb2a5705f, v10
	v_sub_f32_e32 v9, v9, v13
	v_add_f32_e32 v9, v9, v12
	v_cvt_i32_f32_e32 v13, v13
	v_exp_f32_e32 v12, v9
	v_cmp_nlt_f32_e32 vcc, s3, v10
	v_ashrrev_i32_e32 v9, 31, v8
	v_lshlrev_b64 v[8:9], 2, v[8:9]
	v_ldexp_f32 v12, v12, v13
	v_cndmask_b32_e32 v12, 0, v12, vcc
	v_cmp_ngt_f32_e32 vcc, s12, v10
	v_cndmask_b32_e32 v10, v11, v12, vcc
	v_add_f32_e32 v10, 1.0, v10
	v_div_scale_f32 v11, s[2:3], v10, v10, 1.0
	v_rcp_f32_e32 v12, v11
	v_div_scale_f32 v13, vcc, 1.0, v10, 1.0
	v_fma_f32 v19, -v11, v12, 1.0
	v_fmac_f32_e32 v12, v19, v12
	v_mul_f32_e32 v19, v13, v12
	v_fma_f32 v20, -v11, v19, v13
	v_fmac_f32_e32 v19, v20, v12
	v_fma_f32 v11, -v11, v19, v13
	v_div_fmas_f32 v11, v11, v12, v19
	v_add_co_u32_e32 v8, vcc, s6, v8
	v_div_fixup_f32 v10, v11, v10, 1.0
	v_addc_co_u32_e32 v9, vcc, v18, v9, vcc
	global_store_dword v[8:9], v10, off
.LBB66_6:
	s_or_b64 exec, exec, s[0:1]
	s_waitcnt vmcnt(0)
	v_cmp_lt_f32_e32 vcc, v4, v5
	v_or_b32_e32 v19, 1, v17
	v_cndmask_b32_e32 v9, v4, v5, vcc
	v_cndmask_b32_e32 v8, v17, v19, vcc
	v_cmp_lt_f32_e32 vcc, v9, v6
	v_or_b32_e32 v20, 2, v17
	v_cndmask_b32_e32 v9, v9, v6, vcc
	v_cndmask_b32_e32 v8, v8, v20, vcc
	;; [unrolled: 4-line block ×6, first 2 shown]
	v_or_b32_e32 v25, 7, v17
	v_cmp_lt_f32_e32 vcc, v9, v3
	v_cndmask_b32_e32 v8, v8, v25, vcc
	v_cndmask_b32_e32 v9, v9, v3, vcc
	s_nop 0
	v_mov_b32_dpp v10, v8 quad_perm:[1,0,3,2] row_mask:0xf bank_mask:0xf
	v_mov_b32_dpp v11, v9 quad_perm:[1,0,3,2] row_mask:0xf bank_mask:0xf
	v_cmp_eq_f32_e64 s[0:1], v9, v11
	v_cmp_lt_i32_e64 s[2:3], v10, v8
	v_cmp_lt_f32_e32 vcc, v9, v11
	s_and_b64 s[0:1], s[0:1], s[2:3]
	s_or_b64 vcc, vcc, s[0:1]
	v_cndmask_b32_e32 v9, v9, v11, vcc
	v_cndmask_b32_e32 v8, v8, v10, vcc
	s_nop 0
	v_mov_b32_dpp v11, v9 quad_perm:[2,3,0,1] row_mask:0xf bank_mask:0xf
	v_mov_b32_dpp v10, v8 quad_perm:[2,3,0,1] row_mask:0xf bank_mask:0xf
	v_cmp_eq_f32_e64 s[0:1], v9, v11
	v_cmp_lt_i32_e64 s[2:3], v10, v8
	v_cmp_lt_f32_e32 vcc, v9, v11
	s_and_b64 s[0:1], s[0:1], s[2:3]
	s_or_b64 vcc, vcc, s[0:1]
	v_cndmask_b32_e32 v11, v9, v11, vcc
	v_cndmask_b32_e32 v8, v8, v10, vcc
	s_nop 0
	v_mov_b32_dpp v10, v11 row_half_mirror row_mask:0xf bank_mask:0xf
	v_mov_b32_dpp v9, v8 row_half_mirror row_mask:0xf bank_mask:0xf
	v_cmp_eq_f32_e64 s[0:1], v11, v10
	v_cmp_lt_i32_e64 s[2:3], v9, v8
	v_cmp_lt_f32_e32 vcc, v11, v10
	s_and_b64 s[0:1], s[0:1], s[2:3]
	s_or_b64 s[0:1], vcc, s[0:1]
	s_cmp_gt_i32 s8, 0
	v_cndmask_b32_e64 v18, v11, v10, s[0:1]
	s_cselect_b64 s[18:19], -1, 0
	s_cmp_lt_i32 s8, 1
	v_cmp_eq_u32_e32 vcc, 0, v15
	s_cbranch_scc1 .LBB66_18
; %bb.7:
	s_load_dwordx4 s[12:15], s[4:5], 0x20
	v_cndmask_b32_e64 v28, v8, v9, s[0:1]
	v_mul_lo_u32 v12, v14, s11
	v_mul_lo_u32 v10, v14, s20
	;; [unrolled: 1-line block ×3, first 2 shown]
	v_mov_b32_e32 v16, 0
	s_and_saveexec_b64 s[4:5], vcc
	s_cbranch_execz .LBB66_9
; %bb.8:
	v_sub_f32_e32 v9, v18, v18
	v_mul_f32_e32 v11, 0x3fb8aa3b, v9
	s_mov_b32 s0, 0x3fb8aa3b
	v_rndne_f32_e32 v13, v11
	v_sub_f32_e32 v16, v11, v13
	v_fma_f32 v11, v9, s0, -v11
	v_fmac_f32_e32 v11, 0x32a5705f, v9
	v_add_f32_e32 v11, v16, v11
	v_exp_f32_e32 v11, v11
	v_cvt_i32_f32_e32 v13, v13
	v_cmp_le_i32_e64 s[0:1], s9, v28
	v_cmp_gt_i32_e64 s[2:3], s10, v28
	s_and_b64 s[2:3], s[0:1], s[2:3]
	s_mov_b32 s0, 0xc2ce8ed0
	v_ldexp_f32 v11, v11, v13
	v_cmp_ngt_f32_e64 s[0:1], s0, v9
	v_cndmask_b32_e64 v11, 0, v11, s[0:1]
	s_mov_b32 s0, 0x42b17218
	v_mov_b32_e32 v13, 0x7f800000
	v_cmp_nlt_f32_e64 s[0:1], s0, v9
	v_cndmask_b32_e64 v16, v13, v11, s[0:1]
	v_ashrrev_i32_e32 v13, 31, v12
	v_lshlrev_b64 v[30:31], 2, v[12:13]
	v_mov_b32_e32 v9, s7
	v_add_co_u32_e64 v30, s[0:1], s6, v30
	v_addc_co_u32_e64 v31, s[0:1], v9, v31, s[0:1]
	v_ashrrev_i32_e32 v11, 31, v10
	global_store_dword v[30:31], v16, off
	v_subrev_u32_e32 v9, s9, v28
	s_and_b64 s[0:1], s[16:17], s[2:3]
	v_lshlrev_b64 v[30:31], 2, v[10:11]
	v_cndmask_b32_e64 v9, 64, v9, s[0:1]
	s_waitcnt lgkmcnt(0)
	v_mov_b32_e32 v11, s13
	v_add_co_u32_e64 v30, s[0:1], s12, v30
	v_addc_co_u32_e64 v31, s[0:1], v11, v31, s[0:1]
	global_store_dword v[30:31], v9, off
	v_ashrrev_i32_e32 v9, 31, v8
	v_lshlrev_b64 v[30:31], 2, v[8:9]
	v_mov_b32_e32 v9, s15
	v_add_co_u32_e64 v30, s[0:1], s14, v30
	v_addc_co_u32_e64 v31, s[0:1], v9, v31, s[0:1]
	global_store_dword v[30:31], v14, off
.LBB66_9:
	s_or_b64 exec, exec, s[4:5]
	v_ashrrev_i32_e32 v11, 31, v28
	v_lshrrev_b32_e32 v9, 29, v11
	v_add_u32_e32 v9, v28, v9
	v_ashrrev_i32_e32 v9, 3, v9
	v_lshrrev_b32_e32 v13, 29, v9
	v_add_u32_e32 v13, v9, v13
	v_and_b32_e32 v13, -8, v13
	v_sub_u32_e32 v13, v9, v13
	v_cmp_eq_u32_e64 s[0:1], v15, v13
	s_and_saveexec_b64 s[2:3], s[0:1]
	s_cbranch_execz .LBB66_11
; %bb.10:
	v_lshrrev_b32_e32 v11, 26, v11
	v_add_u32_e32 v11, v28, v11
	v_lshlrev_b32_e32 v9, 3, v9
	v_ashrrev_i32_e32 v11, 6, v11
	v_sub_u32_e32 v9, v28, v9
	v_lshl_add_u32 v9, v11, 3, v9
	v_mov_b32_e32 v11, 0xff800000
	v_cmp_ne_u32_e64 s[0:1], 7, v9
	v_cndmask_b32_e64 v3, v11, v3, s[0:1]
	v_cmp_ne_u32_e64 s[0:1], 6, v9
	v_cndmask_b32_e64 v2, v11, v2, s[0:1]
	;; [unrolled: 2-line block ×8, first 2 shown]
.LBB66_11:
	s_or_b64 exec, exec, s[2:3]
	s_cmp_eq_u32 s8, 1
	s_cbranch_scc1 .LBB66_18
; %bb.12:
	s_add_i32 s23, s23, s22
	s_add_i32 s20, s8, -1
	v_add3_u32 v26, s23, v27, v26
	v_add_u32_e32 v8, 1, v8
	v_add_u32_e32 v10, 1, v10
	;; [unrolled: 1-line block ×3, first 2 shown]
	s_mov_b32 s21, 0x3fb8aa3b
	s_mov_b32 s23, 0xc2ce8ed0
	s_mov_b32 s24, 0x42b17218
	v_mov_b32_e32 v27, 0x7f800000
	v_mov_b32_e32 v28, 0xff800000
	s_branch .LBB66_14
.LBB66_13:                              ;   in Loop: Header=BB66_14 Depth=1
	s_or_b64 exec, exec, s[2:3]
	s_add_i32 s20, s20, -1
	v_add_u32_e32 v26, s22, v26
	v_add_u32_e32 v8, 1, v8
	;; [unrolled: 1-line block ×3, first 2 shown]
	s_cmp_eq_u32 s20, 0
	v_add_u32_e32 v12, 1, v12
	s_cbranch_scc1 .LBB66_18
.LBB66_14:                              ; =>This Inner Loop Header: Depth=1
	v_cmp_gt_f32_e64 s[0:1], v5, v4
	v_cndmask_b32_e64 v11, v4, v5, s[0:1]
	v_cndmask_b32_e64 v9, v17, v19, s[0:1]
	v_cmp_gt_f32_e64 s[0:1], v6, v11
	v_cndmask_b32_e64 v11, v11, v6, s[0:1]
	v_cndmask_b32_e64 v9, v9, v20, s[0:1]
	;; [unrolled: 3-line block ×7, first 2 shown]
	s_nop 0
	v_mov_b32_dpp v13, v9 quad_perm:[1,0,3,2] row_mask:0xf bank_mask:0xf
	v_mov_b32_dpp v29, v11 quad_perm:[1,0,3,2] row_mask:0xf bank_mask:0xf
	v_cmp_eq_f32_e64 s[2:3], v11, v29
	v_cmp_lt_i32_e64 s[4:5], v13, v9
	v_cmp_lt_f32_e64 s[0:1], v11, v29
	s_and_b64 s[2:3], s[2:3], s[4:5]
	s_or_b64 s[0:1], s[0:1], s[2:3]
	v_cndmask_b32_e64 v11, v11, v29, s[0:1]
	v_cndmask_b32_e64 v13, v9, v13, s[0:1]
	s_nop 0
	v_mov_b32_dpp v9, v11 quad_perm:[2,3,0,1] row_mask:0xf bank_mask:0xf
	v_mov_b32_dpp v29, v13 quad_perm:[2,3,0,1] row_mask:0xf bank_mask:0xf
	v_cmp_eq_f32_e64 s[2:3], v11, v9
	v_cmp_lt_i32_e64 s[4:5], v29, v13
	v_cmp_lt_f32_e64 s[0:1], v11, v9
	s_and_b64 s[2:3], s[2:3], s[4:5]
	s_or_b64 s[0:1], s[0:1], s[2:3]
	v_cndmask_b32_e64 v9, v11, v9, s[0:1]
	v_cndmask_b32_e64 v13, v13, v29, s[0:1]
	s_nop 0
	v_mov_b32_dpp v11, v9 row_half_mirror row_mask:0xf bank_mask:0xf
	v_mov_b32_dpp v29, v13 row_half_mirror row_mask:0xf bank_mask:0xf
	v_cmp_eq_f32_e64 s[2:3], v9, v11
	v_cmp_lt_i32_e64 s[4:5], v29, v13
	v_cmp_lt_f32_e64 s[0:1], v9, v11
	s_and_b64 s[2:3], s[2:3], s[4:5]
	s_or_b64 s[0:1], s[0:1], s[2:3]
	v_cndmask_b32_e64 v29, v13, v29, s[0:1]
	s_and_saveexec_b64 s[4:5], vcc
	s_cbranch_execz .LBB66_16
; %bb.15:                               ;   in Loop: Header=BB66_14 Depth=1
	v_cndmask_b32_e64 v9, v9, v11, s[0:1]
	v_sub_f32_e32 v9, v9, v18
	v_mul_f32_e32 v11, 0x3fb8aa3b, v9
	v_fma_f32 v13, v9, s21, -v11
	v_rndne_f32_e32 v30, v11
	v_fmac_f32_e32 v13, 0x32a5705f, v9
	v_sub_f32_e32 v11, v11, v30
	v_add_f32_e32 v11, v11, v13
	v_exp_f32_e32 v11, v11
	v_cvt_i32_f32_e32 v13, v30
	v_cmp_le_i32_e64 s[0:1], s9, v29
	v_cmp_gt_i32_e64 s[2:3], s10, v29
	s_and_b64 s[2:3], s[0:1], s[2:3]
	v_ldexp_f32 v11, v11, v13
	v_cmp_ngt_f32_e64 s[0:1], s23, v9
	v_ashrrev_i32_e32 v13, 31, v12
	v_cndmask_b32_e64 v11, 0, v11, s[0:1]
	v_cmp_nlt_f32_e64 s[0:1], s24, v9
	v_lshlrev_b64 v[30:31], 2, v[12:13]
	v_cndmask_b32_e64 v32, v27, v11, s[0:1]
	v_mov_b32_e32 v9, s7
	v_add_co_u32_e64 v30, s[0:1], s6, v30
	v_addc_co_u32_e64 v31, s[0:1], v9, v31, s[0:1]
	v_ashrrev_i32_e32 v11, 31, v10
	global_store_dword v[30:31], v32, off
	v_subrev_u32_e32 v9, s9, v29
	s_and_b64 s[0:1], s[16:17], s[2:3]
	v_lshlrev_b64 v[30:31], 2, v[10:11]
	v_cndmask_b32_e64 v9, 64, v9, s[0:1]
	s_waitcnt lgkmcnt(0)
	v_mov_b32_e32 v11, s13
	v_add_co_u32_e64 v30, s[0:1], s12, v30
	v_addc_co_u32_e64 v31, s[0:1], v11, v31, s[0:1]
	global_store_dword v[30:31], v9, off
	v_ashrrev_i32_e32 v9, 31, v8
	v_lshlrev_b64 v[30:31], 2, v[8:9]
	v_mov_b32_e32 v9, s15
	v_add_co_u32_e64 v30, s[0:1], s14, v30
	v_addc_co_u32_e64 v31, s[0:1], v9, v31, s[0:1]
	v_add_f32_e32 v16, v16, v32
	global_store_dword v[30:31], v26, off
.LBB66_16:                              ;   in Loop: Header=BB66_14 Depth=1
	s_or_b64 exec, exec, s[4:5]
	v_ashrrev_i32_e32 v11, 31, v29
	v_lshrrev_b32_e32 v9, 29, v11
	v_add_u32_e32 v9, v29, v9
	v_ashrrev_i32_e32 v9, 3, v9
	v_lshrrev_b32_e32 v13, 29, v9
	v_add_u32_e32 v13, v9, v13
	v_and_b32_e32 v13, -8, v13
	v_sub_u32_e32 v13, v9, v13
	v_cmp_eq_u32_e64 s[0:1], v15, v13
	s_and_saveexec_b64 s[2:3], s[0:1]
	s_cbranch_execz .LBB66_13
; %bb.17:                               ;   in Loop: Header=BB66_14 Depth=1
	v_lshrrev_b32_e32 v11, 26, v11
	v_add_u32_e32 v11, v29, v11
	v_lshlrev_b32_e32 v9, 3, v9
	v_ashrrev_i32_e32 v11, 6, v11
	v_sub_u32_e32 v9, v29, v9
	v_lshl_add_u32 v9, v11, 3, v9
	v_cmp_ne_u32_e64 s[0:1], 7, v9
	v_cndmask_b32_e64 v3, v28, v3, s[0:1]
	v_cmp_ne_u32_e64 s[0:1], 6, v9
	v_cndmask_b32_e64 v2, v28, v2, s[0:1]
	;; [unrolled: 2-line block ×8, first 2 shown]
	s_branch .LBB66_13
.LBB66_18:
	v_sub_f32_e32 v4, v4, v18
	s_mov_b32 s0, 0x3fb8aa3b
	v_mul_f32_e32 v8, 0x3fb8aa3b, v4
	v_fma_f32 v9, v4, s0, -v8
	v_rndne_f32_e32 v10, v8
	v_fmac_f32_e32 v9, 0x32a5705f, v4
	v_sub_f32_e32 v8, v8, v10
	v_add_f32_e32 v8, v8, v9
	v_exp_f32_e32 v8, v8
	v_cvt_i32_f32_e32 v9, v10
	v_sub_f32_e32 v5, v5, v18
	s_mov_b32 s1, 0xc2ce8ed0
	v_cmp_ngt_f32_e32 vcc, s1, v4
	v_ldexp_f32 v8, v8, v9
	v_mul_f32_e32 v9, 0x3fb8aa3b, v5
	v_fma_f32 v10, v5, s0, -v9
	v_rndne_f32_e32 v11, v9
	v_fmac_f32_e32 v10, 0x32a5705f, v5
	v_sub_f32_e32 v9, v9, v11
	v_add_f32_e32 v9, v9, v10
	v_exp_f32_e32 v9, v9
	v_cvt_i32_f32_e32 v10, v11
	s_mov_b32 s2, 0x42b17218
	v_cndmask_b32_e32 v8, 0, v8, vcc
	v_mov_b32_e32 v11, 0x7f800000
	v_cmp_nlt_f32_e32 vcc, s2, v4
	v_sub_f32_e32 v6, v6, v18
	v_cndmask_b32_e32 v4, v11, v8, vcc
	v_ldexp_f32 v8, v9, v10
	v_mul_f32_e32 v9, 0x3fb8aa3b, v6
	v_fma_f32 v10, v6, s0, -v9
	v_rndne_f32_e32 v12, v9
	v_fmac_f32_e32 v10, 0x32a5705f, v6
	v_sub_f32_e32 v9, v9, v12
	v_add_f32_e32 v9, v9, v10
	v_exp_f32_e32 v9, v9
	v_cvt_i32_f32_e32 v10, v12
	v_cmp_ngt_f32_e32 vcc, s1, v5
	v_cndmask_b32_e32 v8, 0, v8, vcc
	v_cmp_nlt_f32_e32 vcc, s2, v5
	v_sub_f32_e32 v7, v7, v18
	v_cndmask_b32_e32 v5, v11, v8, vcc
	v_mul_f32_e32 v8, 0x3fb8aa3b, v7
	v_add_f32_e32 v4, v4, v5
	v_ldexp_f32 v5, v9, v10
	v_fma_f32 v9, v7, s0, -v8
	v_rndne_f32_e32 v10, v8
	v_fmac_f32_e32 v9, 0x32a5705f, v7
	v_sub_f32_e32 v8, v8, v10
	v_add_f32_e32 v8, v8, v9
	v_exp_f32_e32 v8, v8
	v_cvt_i32_f32_e32 v9, v10
	v_cmp_ngt_f32_e32 vcc, s1, v6
	v_cndmask_b32_e32 v5, 0, v5, vcc
	v_cmp_nlt_f32_e32 vcc, s2, v6
	v_sub_f32_e32 v0, v0, v18
	v_cndmask_b32_e32 v5, v11, v5, vcc
	v_mul_f32_e32 v6, 0x3fb8aa3b, v0
	v_add_f32_e32 v4, v4, v5
	v_ldexp_f32 v5, v8, v9
	v_fma_f32 v8, v0, s0, -v6
	v_rndne_f32_e32 v9, v6
	v_fmac_f32_e32 v8, 0x32a5705f, v0
	v_sub_f32_e32 v6, v6, v9
	v_add_f32_e32 v6, v6, v8
	v_exp_f32_e32 v6, v6
	v_cvt_i32_f32_e32 v8, v9
	v_cmp_ngt_f32_e32 vcc, s1, v7
	v_cndmask_b32_e32 v5, 0, v5, vcc
	v_cmp_nlt_f32_e32 vcc, s2, v7
	v_cndmask_b32_e32 v5, v11, v5, vcc
	v_sub_f32_e32 v1, v1, v18
	v_add_f32_e32 v4, v4, v5
	v_ldexp_f32 v5, v6, v8
	v_mul_f32_e32 v6, 0x3fb8aa3b, v1
	v_fma_f32 v7, v1, s0, -v6
	v_rndne_f32_e32 v8, v6
	v_fmac_f32_e32 v7, 0x32a5705f, v1
	v_sub_f32_e32 v6, v6, v8
	v_add_f32_e32 v6, v6, v7
	v_exp_f32_e32 v6, v6
	v_cvt_i32_f32_e32 v7, v8
	v_cmp_ngt_f32_e32 vcc, s1, v0
	v_cndmask_b32_e32 v5, 0, v5, vcc
	v_cmp_nlt_f32_e32 vcc, s2, v0
	v_sub_f32_e32 v2, v2, v18
	v_cndmask_b32_e32 v0, v11, v5, vcc
	v_mul_f32_e32 v5, 0x3fb8aa3b, v2
	v_add_f32_e32 v0, v4, v0
	v_ldexp_f32 v4, v6, v7
	v_fma_f32 v6, v2, s0, -v5
	v_rndne_f32_e32 v7, v5
	v_fmac_f32_e32 v6, 0x32a5705f, v2
	v_sub_f32_e32 v5, v5, v7
	v_add_f32_e32 v5, v5, v6
	v_exp_f32_e32 v5, v5
	v_cvt_i32_f32_e32 v6, v7
	v_cmp_ngt_f32_e32 vcc, s1, v1
	v_cndmask_b32_e32 v4, 0, v4, vcc
	v_cmp_nlt_f32_e32 vcc, s2, v1
	v_sub_f32_e32 v3, v3, v18
	v_cndmask_b32_e32 v1, v11, v4, vcc
	v_mul_f32_e32 v4, 0x3fb8aa3b, v3
	v_add_f32_e32 v0, v0, v1
	v_ldexp_f32 v1, v5, v6
	v_fma_f32 v5, v3, s0, -v4
	v_rndne_f32_e32 v6, v4
	v_fmac_f32_e32 v5, 0x32a5705f, v3
	v_sub_f32_e32 v4, v4, v6
	v_add_f32_e32 v4, v4, v5
	v_exp_f32_e32 v4, v4
	v_cvt_i32_f32_e32 v5, v6
	v_cmp_ngt_f32_e32 vcc, s1, v2
	v_cndmask_b32_e32 v1, 0, v1, vcc
	v_cmp_nlt_f32_e32 vcc, s2, v2
	v_cndmask_b32_e32 v1, v11, v1, vcc
	v_add_f32_e32 v0, v0, v1
	v_ldexp_f32 v1, v4, v5
	v_cmp_ngt_f32_e32 vcc, s1, v3
	v_cndmask_b32_e32 v1, 0, v1, vcc
	v_cmp_nlt_f32_e32 vcc, s2, v3
	v_cndmask_b32_e32 v1, v11, v1, vcc
	v_add_f32_e32 v0, v0, v1
	v_cmp_eq_u32_e32 vcc, 0, v15
	s_nop 0
	v_mov_b32_dpp v1, v0 quad_perm:[1,0,3,2] row_mask:0xf bank_mask:0xf
	v_add_f32_e32 v0, v0, v1
	s_nop 1
	v_mov_b32_dpp v1, v0 quad_perm:[2,3,0,1] row_mask:0xf bank_mask:0xf
	v_add_f32_e32 v0, v0, v1
	s_nop 1
	v_mov_b32_dpp v1, v0 row_half_mirror row_mask:0xf bank_mask:0xf
	s_and_b64 exec, exec, vcc
	s_cbranch_execz .LBB66_31
; %bb.19:
	v_add_f32_e32 v0, v0, v1
	v_add_f32_e32 v0, v16, v0
	v_cmp_neq_f32_e32 vcc, 0, v0
	s_and_b64 exec, exec, vcc
	s_cbranch_execz .LBB66_31
; %bb.20:
	s_andn2_b64 vcc, exec, s[18:19]
	s_cbranch_vccnz .LBB66_31
; %bb.21:
	v_div_scale_f32 v1, s[0:1], v0, v0, 1.0
	v_rcp_f32_e32 v2, v1
	v_div_scale_f32 v3, vcc, 1.0, v0, 1.0
	s_cmp_gt_u32 s8, 3
	v_fma_f32 v4, -v1, v2, 1.0
	v_fmac_f32_e32 v2, v4, v2
	v_mul_f32_e32 v4, v3, v2
	v_fma_f32 v5, -v1, v4, v3
	v_fmac_f32_e32 v4, v5, v2
	v_fma_f32 v1, -v1, v4, v3
	v_div_fmas_f32 v1, v1, v2, v4
	v_mul_lo_u32 v2, v14, s11
	v_div_fixup_f32 v0, v1, v0, 1.0
	v_ashrrev_i32_e32 v3, 31, v2
	s_cbranch_scc0 .LBB66_25
; %bb.22:
	v_lshlrev_b64 v[4:5], 2, v[2:3]
	v_mov_b32_e32 v6, s7
	v_add_co_u32_e32 v4, vcc, s6, v4
	v_addc_co_u32_e32 v5, vcc, v5, v6, vcc
	s_and_b32 s4, s8, 0x7ffffffc
	v_add_co_u32_e32 v4, vcc, 8, v4
	v_mov_b32_e32 v1, v0
	v_addc_co_u32_e32 v5, vcc, 0, v5, vcc
	s_mov_b32 s0, s4
.LBB66_23:                              ; =>This Inner Loop Header: Depth=1
	global_load_dwordx4 v[6:9], v[4:5], off offset:-8
	s_add_i32 s0, s0, -4
	s_cmp_lg_u32 s0, 0
	s_waitcnt vmcnt(0)
	v_pk_mul_f32 v[6:7], v[0:1], v[6:7]
	v_pk_mul_f32 v[8:9], v[0:1], v[8:9]
	global_store_dwordx4 v[4:5], v[6:9], off offset:-8
	v_add_co_u32_e32 v4, vcc, 16, v4
	v_addc_co_u32_e32 v5, vcc, 0, v5, vcc
	s_cbranch_scc1 .LBB66_23
; %bb.24:
	s_cmp_lg_u32 s4, s8
	s_mov_b64 s[2:3], 0
	s_cselect_b64 s[0:1], -1, 0
	s_branch .LBB66_26
.LBB66_25:
	s_mov_b64 s[2:3], -1
	s_mov_b64 s[0:1], 0
                                        ; implicit-def: $sgpr4
.LBB66_26:
	s_and_b64 vcc, exec, s[2:3]
	s_cbranch_vccz .LBB66_28
; %bb.27:
	s_mov_b64 s[0:1], -1
	s_mov_b32 s4, 0
.LBB66_28:
	s_andn2_b64 vcc, exec, s[0:1]
	s_cbranch_vccnz .LBB66_31
; %bb.29:
	v_add_co_u32_e32 v2, vcc, s4, v2
	v_addc_co_u32_e32 v3, vcc, 0, v3, vcc
	v_lshlrev_b64 v[2:3], 2, v[2:3]
	v_mov_b32_e32 v1, s7
	v_add_co_u32_e32 v2, vcc, s6, v2
	s_sub_i32 s0, s8, s4
	v_addc_co_u32_e32 v3, vcc, v1, v3, vcc
.LBB66_30:                              ; =>This Inner Loop Header: Depth=1
	global_load_dword v1, v[2:3], off
	s_add_i32 s0, s0, -1
	s_cmp_lg_u32 s0, 0
	s_waitcnt vmcnt(0)
	v_mul_f32_e32 v1, v0, v1
	global_store_dword v[2:3], v1, off
	v_add_co_u32_e32 v2, vcc, 4, v2
	v_addc_co_u32_e32 v3, vcc, 0, v3, vcc
	s_cbranch_scc1 .LBB66_30
.LBB66_31:
	s_endpgm
	.section	.rodata,"a",@progbits
	.p2align	6, 0x0
	.amdhsa_kernel _ZN4vllm3moe17topkGatingSoftmaxIfLi8ELi64ELi8ELi32ELb0ELi2ELNS0_23SharedExpertScoringFuncE1EEEvPKT_PKbPfiPiS9_iiiiii
		.amdhsa_group_segment_fixed_size 0
		.amdhsa_private_segment_fixed_size 0
		.amdhsa_kernarg_size 72
		.amdhsa_user_sgpr_count 6
		.amdhsa_user_sgpr_private_segment_buffer 1
		.amdhsa_user_sgpr_dispatch_ptr 0
		.amdhsa_user_sgpr_queue_ptr 0
		.amdhsa_user_sgpr_kernarg_segment_ptr 1
		.amdhsa_user_sgpr_dispatch_id 0
		.amdhsa_user_sgpr_flat_scratch_init 0
		.amdhsa_user_sgpr_kernarg_preload_length 0
		.amdhsa_user_sgpr_kernarg_preload_offset 0
		.amdhsa_user_sgpr_private_segment_size 0
		.amdhsa_uses_dynamic_stack 0
		.amdhsa_system_sgpr_private_segment_wavefront_offset 0
		.amdhsa_system_sgpr_workgroup_id_x 1
		.amdhsa_system_sgpr_workgroup_id_y 0
		.amdhsa_system_sgpr_workgroup_id_z 0
		.amdhsa_system_sgpr_workgroup_info 0
		.amdhsa_system_vgpr_workitem_id 1
		.amdhsa_next_free_vgpr 33
		.amdhsa_next_free_sgpr 25
		.amdhsa_accum_offset 36
		.amdhsa_reserve_vcc 1
		.amdhsa_reserve_flat_scratch 0
		.amdhsa_float_round_mode_32 0
		.amdhsa_float_round_mode_16_64 0
		.amdhsa_float_denorm_mode_32 3
		.amdhsa_float_denorm_mode_16_64 3
		.amdhsa_dx10_clamp 1
		.amdhsa_ieee_mode 1
		.amdhsa_fp16_overflow 0
		.amdhsa_tg_split 0
		.amdhsa_exception_fp_ieee_invalid_op 0
		.amdhsa_exception_fp_denorm_src 0
		.amdhsa_exception_fp_ieee_div_zero 0
		.amdhsa_exception_fp_ieee_overflow 0
		.amdhsa_exception_fp_ieee_underflow 0
		.amdhsa_exception_fp_ieee_inexact 0
		.amdhsa_exception_int_div_zero 0
	.end_amdhsa_kernel
	.section	.text._ZN4vllm3moe17topkGatingSoftmaxIfLi8ELi64ELi8ELi32ELb0ELi2ELNS0_23SharedExpertScoringFuncE1EEEvPKT_PKbPfiPiS9_iiiiii,"axG",@progbits,_ZN4vllm3moe17topkGatingSoftmaxIfLi8ELi64ELi8ELi32ELb0ELi2ELNS0_23SharedExpertScoringFuncE1EEEvPKT_PKbPfiPiS9_iiiiii,comdat
.Lfunc_end66:
	.size	_ZN4vllm3moe17topkGatingSoftmaxIfLi8ELi64ELi8ELi32ELb0ELi2ELNS0_23SharedExpertScoringFuncE1EEEvPKT_PKbPfiPiS9_iiiiii, .Lfunc_end66-_ZN4vllm3moe17topkGatingSoftmaxIfLi8ELi64ELi8ELi32ELb0ELi2ELNS0_23SharedExpertScoringFuncE1EEEvPKT_PKbPfiPiS9_iiiiii
                                        ; -- End function
	.section	.AMDGPU.csdata,"",@progbits
; Kernel info:
; codeLenInByte = 3348
; NumSgprs: 29
; NumVgprs: 33
; NumAgprs: 0
; TotalNumVgprs: 33
; ScratchSize: 0
; MemoryBound: 0
; FloatMode: 240
; IeeeMode: 1
; LDSByteSize: 0 bytes/workgroup (compile time only)
; SGPRBlocks: 3
; VGPRBlocks: 4
; NumSGPRsForWavesPerEU: 29
; NumVGPRsForWavesPerEU: 33
; AccumOffset: 36
; Occupancy: 8
; WaveLimiterHint : 0
; COMPUTE_PGM_RSRC2:SCRATCH_EN: 0
; COMPUTE_PGM_RSRC2:USER_SGPR: 6
; COMPUTE_PGM_RSRC2:TRAP_HANDLER: 0
; COMPUTE_PGM_RSRC2:TGID_X_EN: 1
; COMPUTE_PGM_RSRC2:TGID_Y_EN: 0
; COMPUTE_PGM_RSRC2:TGID_Z_EN: 0
; COMPUTE_PGM_RSRC2:TIDIG_COMP_CNT: 1
; COMPUTE_PGM_RSRC3_GFX90A:ACCUM_OFFSET: 8
; COMPUTE_PGM_RSRC3_GFX90A:TG_SPLIT: 0
	.section	.text._ZN4vllm3moe17topkGatingSoftmaxIfLi8ELi64ELi8ELi32ELb1ELi4ELNS0_23SharedExpertScoringFuncE1EEEvPKT_PKbPfiPiS9_iiiiii,"axG",@progbits,_ZN4vllm3moe17topkGatingSoftmaxIfLi8ELi64ELi8ELi32ELb1ELi4ELNS0_23SharedExpertScoringFuncE1EEEvPKT_PKbPfiPiS9_iiiiii,comdat
	.protected	_ZN4vllm3moe17topkGatingSoftmaxIfLi8ELi64ELi8ELi32ELb1ELi4ELNS0_23SharedExpertScoringFuncE1EEEvPKT_PKbPfiPiS9_iiiiii ; -- Begin function _ZN4vllm3moe17topkGatingSoftmaxIfLi8ELi64ELi8ELi32ELb1ELi4ELNS0_23SharedExpertScoringFuncE1EEEvPKT_PKbPfiPiS9_iiiiii
	.globl	_ZN4vllm3moe17topkGatingSoftmaxIfLi8ELi64ELi8ELi32ELb1ELi4ELNS0_23SharedExpertScoringFuncE1EEEvPKT_PKbPfiPiS9_iiiiii
	.p2align	8
	.type	_ZN4vllm3moe17topkGatingSoftmaxIfLi8ELi64ELi8ELi32ELb1ELi4ELNS0_23SharedExpertScoringFuncE1EEEvPKT_PKbPfiPiS9_iiiiii,@function
_ZN4vllm3moe17topkGatingSoftmaxIfLi8ELi64ELi8ELi32ELb1ELi4ELNS0_23SharedExpertScoringFuncE1EEEvPKT_PKbPfiPiS9_iiiiii: ; @_ZN4vllm3moe17topkGatingSoftmaxIfLi8ELi64ELi8ELi32ELb1ELi4ELNS0_23SharedExpertScoringFuncE1EEEvPKT_PKbPfiPiS9_iiiiii
; %bb.0:
	s_load_dword s24, s[4:5], 0x18
	v_bfe_u32 v1, v0, 10, 10
	v_and_b32_e32 v0, 0x3ff, v0
	s_lshl_b32 s25, s6, 6
	v_lshlrev_b32_e32 v25, 3, v1
	v_lshrrev_b32_e32 v26, 3, v0
	v_add3_u32 v14, s25, v25, v26
	s_waitcnt lgkmcnt(0)
	v_cmp_gt_i32_e32 vcc, s24, v14
	s_and_saveexec_b64 s[0:1], vcc
	s_cbranch_execz .LBB67_29
; %bb.1:
	s_load_dwordx4 s[0:3], s[4:5], 0x0
	s_load_dwordx2 s[16:17], s[4:5], 0x10
	s_waitcnt lgkmcnt(0)
	s_cmp_eq_u64 s[2:3], 0
	s_cbranch_scc1 .LBB67_3
; %bb.2:
	v_ashrrev_i32_e32 v1, 31, v14
	v_mov_b32_e32 v3, s3
	v_add_co_u32_e32 v2, vcc, s2, v14
	v_addc_co_u32_e32 v3, vcc, v3, v1, vcc
	global_load_ubyte v1, v[2:3], off
	s_waitcnt vmcnt(0)
	v_and_b32_e32 v1, 1, v1
	v_cmp_eq_u32_e32 vcc, 1, v1
	s_xor_b64 s[2:3], vcc, -1
	s_orn2_b64 s[18:19], s[2:3], exec
	s_branch .LBB67_4
.LBB67_3:
	s_mov_b64 s[18:19], -1
.LBB67_4:
	s_load_dwordx2 s[22:23], s[4:5], 0x40
	s_load_dwordx4 s[8:11], s[4:5], 0x30
	v_mov_b32_e32 v1, s1
	v_and_b32_e32 v15, 7, v0
	v_lshlrev_b32_e32 v0, 5, v15
	s_waitcnt lgkmcnt(0)
	v_mul_lo_u32 v2, v14, s23
	v_ashrrev_i32_e32 v3, 31, v2
	v_lshlrev_b64 v[2:3], 2, v[2:3]
	v_add_co_u32_e32 v8, vcc, s0, v2
	v_addc_co_u32_e32 v9, vcc, v1, v3, vcc
	v_add_co_u32_e32 v10, vcc, v8, v0
	v_addc_co_u32_e32 v11, vcc, 0, v9, vcc
	global_load_dwordx4 v[0:3], v[10:11], off offset:16
	global_load_dwordx4 v[4:7], v[10:11], off
	v_lshlrev_b32_e32 v17, 3, v15
	v_mov_b32_e32 v16, 0
	v_cmp_gt_u32_e32 vcc, 4, v15
	s_and_saveexec_b64 s[0:1], vcc
	s_cbranch_execz .LBB67_6
; %bb.5:
	v_lshlrev_b32_e32 v10, 2, v15
	v_add_co_u32_e32 v8, vcc, v8, v10
	v_addc_co_u32_e32 v9, vcc, 0, v9, vcc
	global_load_dword v10, v[8:9], off offset:256
	s_mov_b32 s2, 0xbfb8aa3b
	s_mov_b32 s3, 0x42ce8ed0
	;; [unrolled: 1-line block ×3, first 2 shown]
	v_mov_b32_e32 v11, 0x7f800000
	v_mul_lo_u32 v8, v14, s11
	v_add3_u32 v8, v8, s8, v15
	v_mov_b32_e32 v18, s17
	s_waitcnt vmcnt(0)
	v_mul_f32_e32 v9, 0xbfb8aa3b, v10
	v_fma_f32 v12, v10, s2, -v9
	v_rndne_f32_e32 v13, v9
	v_fmac_f32_e32 v12, 0xb2a5705f, v10
	v_sub_f32_e32 v9, v9, v13
	v_add_f32_e32 v9, v9, v12
	v_cvt_i32_f32_e32 v13, v13
	v_exp_f32_e32 v12, v9
	v_cmp_nlt_f32_e32 vcc, s3, v10
	v_ashrrev_i32_e32 v9, 31, v8
	v_lshlrev_b64 v[8:9], 2, v[8:9]
	v_ldexp_f32 v12, v12, v13
	v_cndmask_b32_e32 v12, 0, v12, vcc
	v_cmp_ngt_f32_e32 vcc, s6, v10
	v_cndmask_b32_e32 v10, v11, v12, vcc
	v_add_f32_e32 v10, 1.0, v10
	v_div_scale_f32 v11, s[2:3], v10, v10, 1.0
	v_rcp_f32_e32 v12, v11
	v_div_scale_f32 v13, vcc, 1.0, v10, 1.0
	v_fma_f32 v19, -v11, v12, 1.0
	v_fmac_f32_e32 v12, v19, v12
	v_mul_f32_e32 v19, v13, v12
	v_fma_f32 v20, -v11, v19, v13
	v_fmac_f32_e32 v19, v20, v12
	v_fma_f32 v11, -v11, v19, v13
	v_div_fmas_f32 v11, v11, v12, v19
	v_add_co_u32_e32 v8, vcc, s16, v8
	v_div_fixup_f32 v10, v11, v10, 1.0
	v_addc_co_u32_e32 v9, vcc, v18, v9, vcc
	global_store_dword v[8:9], v10, off
.LBB67_6:
	s_or_b64 exec, exec, s[0:1]
	s_waitcnt vmcnt(0)
	v_cmp_lt_f32_e32 vcc, v4, v5
	v_or_b32_e32 v18, 1, v17
	v_cndmask_b32_e32 v9, v4, v5, vcc
	v_cndmask_b32_e32 v8, v17, v18, vcc
	v_cmp_lt_f32_e32 vcc, v9, v6
	v_or_b32_e32 v19, 2, v17
	v_cndmask_b32_e32 v9, v9, v6, vcc
	v_cndmask_b32_e32 v8, v8, v19, vcc
	;; [unrolled: 4-line block ×6, first 2 shown]
	v_or_b32_e32 v24, 7, v17
	v_cmp_lt_f32_e32 vcc, v9, v3
	v_cndmask_b32_e32 v8, v8, v24, vcc
	v_cndmask_b32_e32 v9, v9, v3, vcc
	s_nop 0
	v_mov_b32_dpp v10, v8 quad_perm:[1,0,3,2] row_mask:0xf bank_mask:0xf
	v_mov_b32_dpp v11, v9 quad_perm:[1,0,3,2] row_mask:0xf bank_mask:0xf
	v_cmp_eq_f32_e64 s[0:1], v9, v11
	v_cmp_lt_i32_e64 s[2:3], v10, v8
	v_cmp_lt_f32_e32 vcc, v9, v11
	s_and_b64 s[0:1], s[0:1], s[2:3]
	s_or_b64 vcc, vcc, s[0:1]
	v_cndmask_b32_e32 v9, v9, v11, vcc
	v_cndmask_b32_e32 v10, v8, v10, vcc
	s_nop 0
	v_mov_b32_dpp v8, v9 quad_perm:[2,3,0,1] row_mask:0xf bank_mask:0xf
	v_mov_b32_dpp v11, v10 quad_perm:[2,3,0,1] row_mask:0xf bank_mask:0xf
	v_cmp_eq_f32_e64 s[0:1], v9, v8
	v_cmp_lt_i32_e64 s[2:3], v11, v10
	v_cmp_lt_f32_e32 vcc, v9, v8
	s_and_b64 s[0:1], s[0:1], s[2:3]
	s_or_b64 vcc, vcc, s[0:1]
	v_cndmask_b32_e32 v8, v9, v8, vcc
	v_cndmask_b32_e32 v9, v10, v11, vcc
	s_cmp_gt_i32 s8, 0
	v_mov_b32_dpp v11, v8 row_half_mirror row_mask:0xf bank_mask:0xf
	v_mov_b32_dpp v10, v9 row_half_mirror row_mask:0xf bank_mask:0xf
	s_cselect_b64 s[20:21], -1, 0
	s_cmp_lt_i32 s8, 1
	v_cmp_eq_u32_e32 vcc, 0, v15
	s_cbranch_scc1 .LBB67_18
; %bb.7:
	s_load_dwordx4 s[12:15], s[4:5], 0x20
	v_cmp_eq_f32_e64 s[2:3], v8, v11
	v_cmp_lt_i32_e64 s[6:7], v10, v9
	v_cmp_lt_f32_e64 s[0:1], v8, v11
	s_and_b64 s[2:3], s[2:3], s[6:7]
	s_or_b64 s[0:1], s[0:1], s[2:3]
	v_cndmask_b32_e64 v28, v9, v10, s[0:1]
	v_cndmask_b32_e64 v27, v8, v11, s[0:1]
	v_mul_lo_u32 v12, v14, s11
	v_mul_lo_u32 v10, v14, s22
	;; [unrolled: 1-line block ×3, first 2 shown]
	v_mov_b32_e32 v16, 0
	s_and_saveexec_b64 s[4:5], vcc
	s_cbranch_execz .LBB67_9
; %bb.8:
	v_sub_f32_e32 v9, v27, v27
	v_mul_f32_e32 v11, 0x3fb8aa3b, v9
	s_mov_b32 s0, 0x3fb8aa3b
	v_rndne_f32_e32 v13, v11
	v_sub_f32_e32 v16, v11, v13
	v_fma_f32 v11, v9, s0, -v11
	v_fmac_f32_e32 v11, 0x32a5705f, v9
	v_add_f32_e32 v11, v16, v11
	v_exp_f32_e32 v11, v11
	v_cvt_i32_f32_e32 v13, v13
	v_cmp_le_i32_e64 s[0:1], s9, v28
	v_cmp_gt_i32_e64 s[2:3], s10, v28
	s_and_b64 s[2:3], s[0:1], s[2:3]
	s_mov_b32 s0, 0xc2ce8ed0
	v_ldexp_f32 v11, v11, v13
	v_cmp_ngt_f32_e64 s[0:1], s0, v9
	v_cndmask_b32_e64 v11, 0, v11, s[0:1]
	s_mov_b32 s0, 0x42b17218
	v_mov_b32_e32 v13, 0x7f800000
	v_cmp_nlt_f32_e64 s[0:1], s0, v9
	v_cndmask_b32_e64 v16, v13, v11, s[0:1]
	v_ashrrev_i32_e32 v13, 31, v12
	v_lshlrev_b64 v[30:31], 2, v[12:13]
	v_mov_b32_e32 v9, s17
	v_add_co_u32_e64 v30, s[0:1], s16, v30
	v_addc_co_u32_e64 v31, s[0:1], v9, v31, s[0:1]
	v_ashrrev_i32_e32 v11, 31, v10
	global_store_dword v[30:31], v16, off
	v_subrev_u32_e32 v9, s9, v28
	s_and_b64 s[0:1], s[18:19], s[2:3]
	v_lshlrev_b64 v[30:31], 2, v[10:11]
	v_cndmask_b32_e64 v9, 64, v9, s[0:1]
	s_waitcnt lgkmcnt(0)
	v_mov_b32_e32 v11, s13
	v_add_co_u32_e64 v30, s[0:1], s12, v30
	v_addc_co_u32_e64 v31, s[0:1], v11, v31, s[0:1]
	global_store_dword v[30:31], v9, off
	v_ashrrev_i32_e32 v9, 31, v8
	v_lshlrev_b64 v[30:31], 2, v[8:9]
	v_mov_b32_e32 v9, s15
	v_add_co_u32_e64 v30, s[0:1], s14, v30
	v_addc_co_u32_e64 v31, s[0:1], v9, v31, s[0:1]
	global_store_dword v[30:31], v14, off
.LBB67_9:
	s_or_b64 exec, exec, s[4:5]
	v_ashrrev_i32_e32 v11, 31, v28
	v_lshrrev_b32_e32 v9, 29, v11
	v_add_u32_e32 v9, v28, v9
	v_ashrrev_i32_e32 v9, 3, v9
	v_lshrrev_b32_e32 v13, 29, v9
	v_add_u32_e32 v13, v9, v13
	v_and_b32_e32 v13, -8, v13
	v_sub_u32_e32 v13, v9, v13
	v_cmp_eq_u32_e64 s[0:1], v15, v13
	s_and_saveexec_b64 s[2:3], s[0:1]
	s_cbranch_execz .LBB67_11
; %bb.10:
	v_lshrrev_b32_e32 v11, 26, v11
	v_add_u32_e32 v11, v28, v11
	v_lshlrev_b32_e32 v9, 3, v9
	v_ashrrev_i32_e32 v11, 6, v11
	v_sub_u32_e32 v9, v28, v9
	v_lshl_add_u32 v9, v11, 3, v9
	v_mov_b32_e32 v11, 0xff800000
	v_cmp_ne_u32_e64 s[0:1], 7, v9
	v_cndmask_b32_e64 v3, v11, v3, s[0:1]
	v_cmp_ne_u32_e64 s[0:1], 6, v9
	v_cndmask_b32_e64 v2, v11, v2, s[0:1]
	;; [unrolled: 2-line block ×8, first 2 shown]
.LBB67_11:
	s_or_b64 exec, exec, s[2:3]
	s_cmp_eq_u32 s8, 1
	s_cbranch_scc1 .LBB67_18
; %bb.12:
	s_add_i32 s25, s25, s24
	s_add_i32 s6, s8, -1
	v_add3_u32 v25, s25, v26, v25
	v_add_u32_e32 v8, 1, v8
	v_add_u32_e32 v10, 1, v10
	;; [unrolled: 1-line block ×3, first 2 shown]
	s_mov_b32 s7, 0x3fb8aa3b
	s_mov_b32 s22, 0xc2ce8ed0
	;; [unrolled: 1-line block ×3, first 2 shown]
	v_mov_b32_e32 v26, 0x7f800000
	v_mov_b32_e32 v28, 0xff800000
	s_branch .LBB67_14
.LBB67_13:                              ;   in Loop: Header=BB67_14 Depth=1
	s_or_b64 exec, exec, s[2:3]
	s_add_i32 s6, s6, -1
	v_add_u32_e32 v25, s24, v25
	v_add_u32_e32 v8, 1, v8
	;; [unrolled: 1-line block ×3, first 2 shown]
	s_cmp_eq_u32 s6, 0
	v_add_u32_e32 v12, 1, v12
	s_cbranch_scc1 .LBB67_18
.LBB67_14:                              ; =>This Inner Loop Header: Depth=1
	v_cmp_gt_f32_e64 s[0:1], v5, v4
	v_cndmask_b32_e64 v11, v4, v5, s[0:1]
	v_cndmask_b32_e64 v9, v17, v18, s[0:1]
	v_cmp_gt_f32_e64 s[0:1], v6, v11
	v_cndmask_b32_e64 v11, v11, v6, s[0:1]
	v_cndmask_b32_e64 v9, v9, v19, s[0:1]
	;; [unrolled: 3-line block ×7, first 2 shown]
	s_nop 0
	v_mov_b32_dpp v13, v9 quad_perm:[1,0,3,2] row_mask:0xf bank_mask:0xf
	v_mov_b32_dpp v29, v11 quad_perm:[1,0,3,2] row_mask:0xf bank_mask:0xf
	v_cmp_eq_f32_e64 s[2:3], v11, v29
	v_cmp_lt_i32_e64 s[4:5], v13, v9
	v_cmp_lt_f32_e64 s[0:1], v11, v29
	s_and_b64 s[2:3], s[2:3], s[4:5]
	s_or_b64 s[0:1], s[0:1], s[2:3]
	v_cndmask_b32_e64 v11, v11, v29, s[0:1]
	v_cndmask_b32_e64 v13, v9, v13, s[0:1]
	s_nop 0
	v_mov_b32_dpp v9, v11 quad_perm:[2,3,0,1] row_mask:0xf bank_mask:0xf
	v_mov_b32_dpp v29, v13 quad_perm:[2,3,0,1] row_mask:0xf bank_mask:0xf
	v_cmp_eq_f32_e64 s[2:3], v11, v9
	v_cmp_lt_i32_e64 s[4:5], v29, v13
	v_cmp_lt_f32_e64 s[0:1], v11, v9
	s_and_b64 s[2:3], s[2:3], s[4:5]
	s_or_b64 s[0:1], s[0:1], s[2:3]
	v_cndmask_b32_e64 v9, v11, v9, s[0:1]
	v_cndmask_b32_e64 v13, v13, v29, s[0:1]
	s_nop 0
	v_mov_b32_dpp v11, v9 row_half_mirror row_mask:0xf bank_mask:0xf
	v_mov_b32_dpp v29, v13 row_half_mirror row_mask:0xf bank_mask:0xf
	v_cmp_eq_f32_e64 s[2:3], v9, v11
	v_cmp_lt_i32_e64 s[4:5], v29, v13
	v_cmp_lt_f32_e64 s[0:1], v9, v11
	s_and_b64 s[2:3], s[2:3], s[4:5]
	s_or_b64 s[0:1], s[0:1], s[2:3]
	v_cndmask_b32_e64 v29, v13, v29, s[0:1]
	s_and_saveexec_b64 s[4:5], vcc
	s_cbranch_execz .LBB67_16
; %bb.15:                               ;   in Loop: Header=BB67_14 Depth=1
	v_cndmask_b32_e64 v9, v9, v11, s[0:1]
	v_sub_f32_e32 v9, v9, v27
	v_mul_f32_e32 v11, 0x3fb8aa3b, v9
	v_fma_f32 v13, v9, s7, -v11
	v_rndne_f32_e32 v30, v11
	v_fmac_f32_e32 v13, 0x32a5705f, v9
	v_sub_f32_e32 v11, v11, v30
	v_add_f32_e32 v11, v11, v13
	v_exp_f32_e32 v11, v11
	v_cvt_i32_f32_e32 v13, v30
	v_cmp_le_i32_e64 s[0:1], s9, v29
	v_cmp_gt_i32_e64 s[2:3], s10, v29
	s_and_b64 s[2:3], s[0:1], s[2:3]
	v_ldexp_f32 v11, v11, v13
	v_cmp_ngt_f32_e64 s[0:1], s22, v9
	v_ashrrev_i32_e32 v13, 31, v12
	v_cndmask_b32_e64 v11, 0, v11, s[0:1]
	v_cmp_nlt_f32_e64 s[0:1], s23, v9
	v_lshlrev_b64 v[30:31], 2, v[12:13]
	v_cndmask_b32_e64 v32, v26, v11, s[0:1]
	v_mov_b32_e32 v9, s17
	v_add_co_u32_e64 v30, s[0:1], s16, v30
	v_addc_co_u32_e64 v31, s[0:1], v9, v31, s[0:1]
	v_ashrrev_i32_e32 v11, 31, v10
	global_store_dword v[30:31], v32, off
	v_subrev_u32_e32 v9, s9, v29
	s_and_b64 s[0:1], s[18:19], s[2:3]
	v_lshlrev_b64 v[30:31], 2, v[10:11]
	v_cndmask_b32_e64 v9, 64, v9, s[0:1]
	s_waitcnt lgkmcnt(0)
	v_mov_b32_e32 v11, s13
	v_add_co_u32_e64 v30, s[0:1], s12, v30
	v_addc_co_u32_e64 v31, s[0:1], v11, v31, s[0:1]
	global_store_dword v[30:31], v9, off
	v_ashrrev_i32_e32 v9, 31, v8
	v_lshlrev_b64 v[30:31], 2, v[8:9]
	v_mov_b32_e32 v9, s15
	v_add_co_u32_e64 v30, s[0:1], s14, v30
	v_addc_co_u32_e64 v31, s[0:1], v9, v31, s[0:1]
	v_add_f32_e32 v16, v16, v32
	global_store_dword v[30:31], v25, off
.LBB67_16:                              ;   in Loop: Header=BB67_14 Depth=1
	s_or_b64 exec, exec, s[4:5]
	v_ashrrev_i32_e32 v11, 31, v29
	v_lshrrev_b32_e32 v9, 29, v11
	v_add_u32_e32 v9, v29, v9
	v_ashrrev_i32_e32 v9, 3, v9
	v_lshrrev_b32_e32 v13, 29, v9
	v_add_u32_e32 v13, v9, v13
	v_and_b32_e32 v13, -8, v13
	v_sub_u32_e32 v13, v9, v13
	v_cmp_eq_u32_e64 s[0:1], v15, v13
	s_and_saveexec_b64 s[2:3], s[0:1]
	s_cbranch_execz .LBB67_13
; %bb.17:                               ;   in Loop: Header=BB67_14 Depth=1
	v_lshrrev_b32_e32 v11, 26, v11
	v_add_u32_e32 v11, v29, v11
	v_lshlrev_b32_e32 v9, 3, v9
	v_ashrrev_i32_e32 v11, 6, v11
	v_sub_u32_e32 v9, v29, v9
	v_lshl_add_u32 v9, v11, 3, v9
	v_cmp_ne_u32_e64 s[0:1], 7, v9
	v_cndmask_b32_e64 v3, v28, v3, s[0:1]
	v_cmp_ne_u32_e64 s[0:1], 6, v9
	v_cndmask_b32_e64 v2, v28, v2, s[0:1]
	;; [unrolled: 2-line block ×8, first 2 shown]
	s_branch .LBB67_13
.LBB67_18:
	v_cmp_eq_u32_e32 vcc, 0, v15
	v_cmp_neq_f32_e64 s[0:1], 0, v16
	s_and_b64 s[0:1], vcc, s[0:1]
	s_and_b64 exec, exec, s[0:1]
	s_cbranch_execz .LBB67_29
; %bb.19:
	s_andn2_b64 vcc, exec, s[20:21]
	s_cbranch_vccnz .LBB67_29
; %bb.20:
	v_div_scale_f32 v0, s[0:1], v16, v16, 1.0
	v_rcp_f32_e32 v1, v0
	v_div_scale_f32 v2, vcc, 1.0, v16, 1.0
	s_cmp_gt_u32 s8, 3
	v_fma_f32 v3, -v0, v1, 1.0
	v_fmac_f32_e32 v1, v3, v1
	v_mul_f32_e32 v3, v2, v1
	v_fma_f32 v4, -v0, v3, v2
	v_fmac_f32_e32 v3, v4, v1
	v_fma_f32 v0, -v0, v3, v2
	v_div_fmas_f32 v0, v0, v1, v3
	v_mul_lo_u32 v2, v14, s11
	v_div_fixup_f32 v0, v0, v16, 1.0
	v_ashrrev_i32_e32 v3, 31, v2
	s_cbranch_scc0 .LBB67_24
; %bb.21:
	v_lshlrev_b64 v[4:5], 2, v[2:3]
	v_mov_b32_e32 v6, s17
	v_add_co_u32_e32 v4, vcc, s16, v4
	v_addc_co_u32_e32 v5, vcc, v5, v6, vcc
	s_and_b32 s4, s8, 0x7ffffffc
	v_add_co_u32_e32 v4, vcc, 8, v4
	v_mov_b32_e32 v1, v0
	v_addc_co_u32_e32 v5, vcc, 0, v5, vcc
	s_mov_b32 s0, s4
.LBB67_22:                              ; =>This Inner Loop Header: Depth=1
	global_load_dwordx4 v[6:9], v[4:5], off offset:-8
	s_add_i32 s0, s0, -4
	s_cmp_lg_u32 s0, 0
	s_waitcnt vmcnt(0)
	v_pk_mul_f32 v[6:7], v[0:1], v[6:7]
	v_pk_mul_f32 v[8:9], v[0:1], v[8:9]
	global_store_dwordx4 v[4:5], v[6:9], off offset:-8
	v_add_co_u32_e32 v4, vcc, 16, v4
	v_addc_co_u32_e32 v5, vcc, 0, v5, vcc
	s_cbranch_scc1 .LBB67_22
; %bb.23:
	s_cmp_lg_u32 s4, s8
	s_cselect_b64 s[0:1], -1, 0
	s_branch .LBB67_26
.LBB67_24:
	s_mov_b64 s[0:1], 0
                                        ; implicit-def: $sgpr4
	s_cbranch_execz .LBB67_26
; %bb.25:
	s_mov_b64 s[0:1], -1
	s_mov_b32 s4, 0
.LBB67_26:
	s_andn2_b64 vcc, exec, s[0:1]
	s_cbranch_vccnz .LBB67_29
; %bb.27:
	v_add_co_u32_e32 v2, vcc, s4, v2
	v_addc_co_u32_e32 v3, vcc, 0, v3, vcc
	v_lshlrev_b64 v[2:3], 2, v[2:3]
	v_mov_b32_e32 v1, s17
	v_add_co_u32_e32 v2, vcc, s16, v2
	s_sub_i32 s0, s8, s4
	v_addc_co_u32_e32 v3, vcc, v1, v3, vcc
.LBB67_28:                              ; =>This Inner Loop Header: Depth=1
	global_load_dword v1, v[2:3], off
	s_add_i32 s0, s0, -1
	s_cmp_lg_u32 s0, 0
	s_waitcnt vmcnt(0)
	v_mul_f32_e32 v1, v0, v1
	global_store_dword v[2:3], v1, off
	v_add_co_u32_e32 v2, vcc, 4, v2
	v_addc_co_u32_e32 v3, vcc, 0, v3, vcc
	s_cbranch_scc1 .LBB67_28
.LBB67_29:
	s_endpgm
	.section	.rodata,"a",@progbits
	.p2align	6, 0x0
	.amdhsa_kernel _ZN4vllm3moe17topkGatingSoftmaxIfLi8ELi64ELi8ELi32ELb1ELi4ELNS0_23SharedExpertScoringFuncE1EEEvPKT_PKbPfiPiS9_iiiiii
		.amdhsa_group_segment_fixed_size 0
		.amdhsa_private_segment_fixed_size 0
		.amdhsa_kernarg_size 72
		.amdhsa_user_sgpr_count 6
		.amdhsa_user_sgpr_private_segment_buffer 1
		.amdhsa_user_sgpr_dispatch_ptr 0
		.amdhsa_user_sgpr_queue_ptr 0
		.amdhsa_user_sgpr_kernarg_segment_ptr 1
		.amdhsa_user_sgpr_dispatch_id 0
		.amdhsa_user_sgpr_flat_scratch_init 0
		.amdhsa_user_sgpr_kernarg_preload_length 0
		.amdhsa_user_sgpr_kernarg_preload_offset 0
		.amdhsa_user_sgpr_private_segment_size 0
		.amdhsa_uses_dynamic_stack 0
		.amdhsa_system_sgpr_private_segment_wavefront_offset 0
		.amdhsa_system_sgpr_workgroup_id_x 1
		.amdhsa_system_sgpr_workgroup_id_y 0
		.amdhsa_system_sgpr_workgroup_id_z 0
		.amdhsa_system_sgpr_workgroup_info 0
		.amdhsa_system_vgpr_workitem_id 1
		.amdhsa_next_free_vgpr 33
		.amdhsa_next_free_sgpr 26
		.amdhsa_accum_offset 36
		.amdhsa_reserve_vcc 1
		.amdhsa_reserve_flat_scratch 0
		.amdhsa_float_round_mode_32 0
		.amdhsa_float_round_mode_16_64 0
		.amdhsa_float_denorm_mode_32 3
		.amdhsa_float_denorm_mode_16_64 3
		.amdhsa_dx10_clamp 1
		.amdhsa_ieee_mode 1
		.amdhsa_fp16_overflow 0
		.amdhsa_tg_split 0
		.amdhsa_exception_fp_ieee_invalid_op 0
		.amdhsa_exception_fp_denorm_src 0
		.amdhsa_exception_fp_ieee_div_zero 0
		.amdhsa_exception_fp_ieee_overflow 0
		.amdhsa_exception_fp_ieee_underflow 0
		.amdhsa_exception_fp_ieee_inexact 0
		.amdhsa_exception_int_div_zero 0
	.end_amdhsa_kernel
	.section	.text._ZN4vllm3moe17topkGatingSoftmaxIfLi8ELi64ELi8ELi32ELb1ELi4ELNS0_23SharedExpertScoringFuncE1EEEvPKT_PKbPfiPiS9_iiiiii,"axG",@progbits,_ZN4vllm3moe17topkGatingSoftmaxIfLi8ELi64ELi8ELi32ELb1ELi4ELNS0_23SharedExpertScoringFuncE1EEEvPKT_PKbPfiPiS9_iiiiii,comdat
.Lfunc_end67:
	.size	_ZN4vllm3moe17topkGatingSoftmaxIfLi8ELi64ELi8ELi32ELb1ELi4ELNS0_23SharedExpertScoringFuncE1EEEvPKT_PKbPfiPiS9_iiiiii, .Lfunc_end67-_ZN4vllm3moe17topkGatingSoftmaxIfLi8ELi64ELi8ELi32ELb1ELi4ELNS0_23SharedExpertScoringFuncE1EEEvPKT_PKbPfiPiS9_iiiiii
                                        ; -- End function
	.section	.AMDGPU.csdata,"",@progbits
; Kernel info:
; codeLenInByte = 2648
; NumSgprs: 30
; NumVgprs: 33
; NumAgprs: 0
; TotalNumVgprs: 33
; ScratchSize: 0
; MemoryBound: 0
; FloatMode: 240
; IeeeMode: 1
; LDSByteSize: 0 bytes/workgroup (compile time only)
; SGPRBlocks: 3
; VGPRBlocks: 4
; NumSGPRsForWavesPerEU: 30
; NumVGPRsForWavesPerEU: 33
; AccumOffset: 36
; Occupancy: 8
; WaveLimiterHint : 0
; COMPUTE_PGM_RSRC2:SCRATCH_EN: 0
; COMPUTE_PGM_RSRC2:USER_SGPR: 6
; COMPUTE_PGM_RSRC2:TRAP_HANDLER: 0
; COMPUTE_PGM_RSRC2:TGID_X_EN: 1
; COMPUTE_PGM_RSRC2:TGID_Y_EN: 0
; COMPUTE_PGM_RSRC2:TGID_Z_EN: 0
; COMPUTE_PGM_RSRC2:TIDIG_COMP_CNT: 1
; COMPUTE_PGM_RSRC3_GFX90A:ACCUM_OFFSET: 8
; COMPUTE_PGM_RSRC3_GFX90A:TG_SPLIT: 0
	.section	.text._ZN4vllm3moe17topkGatingSoftmaxIfLi8ELi64ELi8ELi32ELb0ELi4ELNS0_23SharedExpertScoringFuncE1EEEvPKT_PKbPfiPiS9_iiiiii,"axG",@progbits,_ZN4vllm3moe17topkGatingSoftmaxIfLi8ELi64ELi8ELi32ELb0ELi4ELNS0_23SharedExpertScoringFuncE1EEEvPKT_PKbPfiPiS9_iiiiii,comdat
	.protected	_ZN4vllm3moe17topkGatingSoftmaxIfLi8ELi64ELi8ELi32ELb0ELi4ELNS0_23SharedExpertScoringFuncE1EEEvPKT_PKbPfiPiS9_iiiiii ; -- Begin function _ZN4vllm3moe17topkGatingSoftmaxIfLi8ELi64ELi8ELi32ELb0ELi4ELNS0_23SharedExpertScoringFuncE1EEEvPKT_PKbPfiPiS9_iiiiii
	.globl	_ZN4vllm3moe17topkGatingSoftmaxIfLi8ELi64ELi8ELi32ELb0ELi4ELNS0_23SharedExpertScoringFuncE1EEEvPKT_PKbPfiPiS9_iiiiii
	.p2align	8
	.type	_ZN4vllm3moe17topkGatingSoftmaxIfLi8ELi64ELi8ELi32ELb0ELi4ELNS0_23SharedExpertScoringFuncE1EEEvPKT_PKbPfiPiS9_iiiiii,@function
_ZN4vllm3moe17topkGatingSoftmaxIfLi8ELi64ELi8ELi32ELb0ELi4ELNS0_23SharedExpertScoringFuncE1EEEvPKT_PKbPfiPiS9_iiiiii: ; @_ZN4vllm3moe17topkGatingSoftmaxIfLi8ELi64ELi8ELi32ELb0ELi4ELNS0_23SharedExpertScoringFuncE1EEEvPKT_PKbPfiPiS9_iiiiii
; %bb.0:
	s_load_dword s22, s[4:5], 0x18
	v_bfe_u32 v1, v0, 10, 10
	v_and_b32_e32 v0, 0x3ff, v0
	s_lshl_b32 s23, s6, 6
	v_lshlrev_b32_e32 v26, 3, v1
	v_lshrrev_b32_e32 v27, 3, v0
	v_add3_u32 v14, s23, v26, v27
	s_waitcnt lgkmcnt(0)
	v_cmp_gt_i32_e32 vcc, s22, v14
	s_and_saveexec_b64 s[0:1], vcc
	s_cbranch_execz .LBB68_31
; %bb.1:
	s_load_dwordx4 s[0:3], s[4:5], 0x0
	s_load_dwordx2 s[6:7], s[4:5], 0x10
	s_waitcnt lgkmcnt(0)
	s_cmp_eq_u64 s[2:3], 0
	s_cbranch_scc1 .LBB68_3
; %bb.2:
	v_ashrrev_i32_e32 v1, 31, v14
	v_mov_b32_e32 v3, s3
	v_add_co_u32_e32 v2, vcc, s2, v14
	v_addc_co_u32_e32 v3, vcc, v3, v1, vcc
	global_load_ubyte v1, v[2:3], off
	s_waitcnt vmcnt(0)
	v_and_b32_e32 v1, 1, v1
	v_cmp_eq_u32_e32 vcc, 1, v1
	s_xor_b64 s[2:3], vcc, -1
	s_orn2_b64 s[16:17], s[2:3], exec
	s_branch .LBB68_4
.LBB68_3:
	s_mov_b64 s[16:17], -1
.LBB68_4:
	s_load_dwordx2 s[20:21], s[4:5], 0x40
	s_load_dwordx4 s[8:11], s[4:5], 0x30
	v_mov_b32_e32 v1, s1
	v_and_b32_e32 v15, 7, v0
	v_lshlrev_b32_e32 v0, 5, v15
	s_waitcnt lgkmcnt(0)
	v_mul_lo_u32 v2, v14, s21
	v_ashrrev_i32_e32 v3, 31, v2
	v_lshlrev_b64 v[2:3], 2, v[2:3]
	v_add_co_u32_e32 v8, vcc, s0, v2
	v_addc_co_u32_e32 v9, vcc, v1, v3, vcc
	v_add_co_u32_e32 v10, vcc, v8, v0
	v_addc_co_u32_e32 v11, vcc, 0, v9, vcc
	global_load_dwordx4 v[0:3], v[10:11], off offset:16
	global_load_dwordx4 v[4:7], v[10:11], off
	v_lshlrev_b32_e32 v17, 3, v15
	v_mov_b32_e32 v16, 0
	v_cmp_gt_u32_e32 vcc, 4, v15
	s_and_saveexec_b64 s[0:1], vcc
	s_cbranch_execz .LBB68_6
; %bb.5:
	v_lshlrev_b32_e32 v10, 2, v15
	v_add_co_u32_e32 v8, vcc, v8, v10
	v_addc_co_u32_e32 v9, vcc, 0, v9, vcc
	global_load_dword v10, v[8:9], off offset:256
	s_mov_b32 s2, 0xbfb8aa3b
	s_mov_b32 s3, 0x42ce8ed0
	;; [unrolled: 1-line block ×3, first 2 shown]
	v_mov_b32_e32 v11, 0x7f800000
	v_mul_lo_u32 v8, v14, s11
	v_add3_u32 v8, v8, s8, v15
	v_mov_b32_e32 v18, s7
	s_waitcnt vmcnt(0)
	v_mul_f32_e32 v9, 0xbfb8aa3b, v10
	v_fma_f32 v12, v10, s2, -v9
	v_rndne_f32_e32 v13, v9
	v_fmac_f32_e32 v12, 0xb2a5705f, v10
	v_sub_f32_e32 v9, v9, v13
	v_add_f32_e32 v9, v9, v12
	v_cvt_i32_f32_e32 v13, v13
	v_exp_f32_e32 v12, v9
	v_cmp_nlt_f32_e32 vcc, s3, v10
	v_ashrrev_i32_e32 v9, 31, v8
	v_lshlrev_b64 v[8:9], 2, v[8:9]
	v_ldexp_f32 v12, v12, v13
	v_cndmask_b32_e32 v12, 0, v12, vcc
	v_cmp_ngt_f32_e32 vcc, s12, v10
	v_cndmask_b32_e32 v10, v11, v12, vcc
	v_add_f32_e32 v10, 1.0, v10
	v_div_scale_f32 v11, s[2:3], v10, v10, 1.0
	v_rcp_f32_e32 v12, v11
	v_div_scale_f32 v13, vcc, 1.0, v10, 1.0
	v_fma_f32 v19, -v11, v12, 1.0
	v_fmac_f32_e32 v12, v19, v12
	v_mul_f32_e32 v19, v13, v12
	v_fma_f32 v20, -v11, v19, v13
	v_fmac_f32_e32 v19, v20, v12
	v_fma_f32 v11, -v11, v19, v13
	v_div_fmas_f32 v11, v11, v12, v19
	v_add_co_u32_e32 v8, vcc, s6, v8
	v_div_fixup_f32 v10, v11, v10, 1.0
	v_addc_co_u32_e32 v9, vcc, v18, v9, vcc
	global_store_dword v[8:9], v10, off
.LBB68_6:
	s_or_b64 exec, exec, s[0:1]
	s_waitcnt vmcnt(0)
	v_cmp_lt_f32_e32 vcc, v4, v5
	v_or_b32_e32 v19, 1, v17
	v_cndmask_b32_e32 v9, v4, v5, vcc
	v_cndmask_b32_e32 v8, v17, v19, vcc
	v_cmp_lt_f32_e32 vcc, v9, v6
	v_or_b32_e32 v20, 2, v17
	v_cndmask_b32_e32 v9, v9, v6, vcc
	v_cndmask_b32_e32 v8, v8, v20, vcc
	;; [unrolled: 4-line block ×6, first 2 shown]
	v_or_b32_e32 v25, 7, v17
	v_cmp_lt_f32_e32 vcc, v9, v3
	v_cndmask_b32_e32 v8, v8, v25, vcc
	v_cndmask_b32_e32 v9, v9, v3, vcc
	s_nop 0
	v_mov_b32_dpp v10, v8 quad_perm:[1,0,3,2] row_mask:0xf bank_mask:0xf
	v_mov_b32_dpp v11, v9 quad_perm:[1,0,3,2] row_mask:0xf bank_mask:0xf
	v_cmp_eq_f32_e64 s[0:1], v9, v11
	v_cmp_lt_i32_e64 s[2:3], v10, v8
	v_cmp_lt_f32_e32 vcc, v9, v11
	s_and_b64 s[0:1], s[0:1], s[2:3]
	s_or_b64 vcc, vcc, s[0:1]
	v_cndmask_b32_e32 v9, v9, v11, vcc
	v_cndmask_b32_e32 v8, v8, v10, vcc
	s_nop 0
	v_mov_b32_dpp v11, v9 quad_perm:[2,3,0,1] row_mask:0xf bank_mask:0xf
	v_mov_b32_dpp v10, v8 quad_perm:[2,3,0,1] row_mask:0xf bank_mask:0xf
	v_cmp_eq_f32_e64 s[0:1], v9, v11
	v_cmp_lt_i32_e64 s[2:3], v10, v8
	v_cmp_lt_f32_e32 vcc, v9, v11
	s_and_b64 s[0:1], s[0:1], s[2:3]
	s_or_b64 vcc, vcc, s[0:1]
	v_cndmask_b32_e32 v11, v9, v11, vcc
	v_cndmask_b32_e32 v8, v8, v10, vcc
	s_nop 0
	v_mov_b32_dpp v10, v11 row_half_mirror row_mask:0xf bank_mask:0xf
	v_mov_b32_dpp v9, v8 row_half_mirror row_mask:0xf bank_mask:0xf
	v_cmp_eq_f32_e64 s[0:1], v11, v10
	v_cmp_lt_i32_e64 s[2:3], v9, v8
	v_cmp_lt_f32_e32 vcc, v11, v10
	s_and_b64 s[0:1], s[0:1], s[2:3]
	s_or_b64 s[0:1], vcc, s[0:1]
	s_cmp_gt_i32 s8, 0
	v_cndmask_b32_e64 v18, v11, v10, s[0:1]
	s_cselect_b64 s[18:19], -1, 0
	s_cmp_lt_i32 s8, 1
	v_cmp_eq_u32_e32 vcc, 0, v15
	s_cbranch_scc1 .LBB68_18
; %bb.7:
	s_load_dwordx4 s[12:15], s[4:5], 0x20
	v_cndmask_b32_e64 v28, v8, v9, s[0:1]
	v_mul_lo_u32 v12, v14, s11
	v_mul_lo_u32 v10, v14, s20
	;; [unrolled: 1-line block ×3, first 2 shown]
	v_mov_b32_e32 v16, 0
	s_and_saveexec_b64 s[4:5], vcc
	s_cbranch_execz .LBB68_9
; %bb.8:
	v_sub_f32_e32 v9, v18, v18
	v_mul_f32_e32 v11, 0x3fb8aa3b, v9
	s_mov_b32 s0, 0x3fb8aa3b
	v_rndne_f32_e32 v13, v11
	v_sub_f32_e32 v16, v11, v13
	v_fma_f32 v11, v9, s0, -v11
	v_fmac_f32_e32 v11, 0x32a5705f, v9
	v_add_f32_e32 v11, v16, v11
	v_exp_f32_e32 v11, v11
	v_cvt_i32_f32_e32 v13, v13
	v_cmp_le_i32_e64 s[0:1], s9, v28
	v_cmp_gt_i32_e64 s[2:3], s10, v28
	s_and_b64 s[2:3], s[0:1], s[2:3]
	s_mov_b32 s0, 0xc2ce8ed0
	v_ldexp_f32 v11, v11, v13
	v_cmp_ngt_f32_e64 s[0:1], s0, v9
	v_cndmask_b32_e64 v11, 0, v11, s[0:1]
	s_mov_b32 s0, 0x42b17218
	v_mov_b32_e32 v13, 0x7f800000
	v_cmp_nlt_f32_e64 s[0:1], s0, v9
	v_cndmask_b32_e64 v16, v13, v11, s[0:1]
	v_ashrrev_i32_e32 v13, 31, v12
	v_lshlrev_b64 v[30:31], 2, v[12:13]
	v_mov_b32_e32 v9, s7
	v_add_co_u32_e64 v30, s[0:1], s6, v30
	v_addc_co_u32_e64 v31, s[0:1], v9, v31, s[0:1]
	v_ashrrev_i32_e32 v11, 31, v10
	global_store_dword v[30:31], v16, off
	v_subrev_u32_e32 v9, s9, v28
	s_and_b64 s[0:1], s[16:17], s[2:3]
	v_lshlrev_b64 v[30:31], 2, v[10:11]
	v_cndmask_b32_e64 v9, 64, v9, s[0:1]
	s_waitcnt lgkmcnt(0)
	v_mov_b32_e32 v11, s13
	v_add_co_u32_e64 v30, s[0:1], s12, v30
	v_addc_co_u32_e64 v31, s[0:1], v11, v31, s[0:1]
	global_store_dword v[30:31], v9, off
	v_ashrrev_i32_e32 v9, 31, v8
	v_lshlrev_b64 v[30:31], 2, v[8:9]
	v_mov_b32_e32 v9, s15
	v_add_co_u32_e64 v30, s[0:1], s14, v30
	v_addc_co_u32_e64 v31, s[0:1], v9, v31, s[0:1]
	global_store_dword v[30:31], v14, off
.LBB68_9:
	s_or_b64 exec, exec, s[4:5]
	v_ashrrev_i32_e32 v11, 31, v28
	v_lshrrev_b32_e32 v9, 29, v11
	v_add_u32_e32 v9, v28, v9
	v_ashrrev_i32_e32 v9, 3, v9
	v_lshrrev_b32_e32 v13, 29, v9
	v_add_u32_e32 v13, v9, v13
	v_and_b32_e32 v13, -8, v13
	v_sub_u32_e32 v13, v9, v13
	v_cmp_eq_u32_e64 s[0:1], v15, v13
	s_and_saveexec_b64 s[2:3], s[0:1]
	s_cbranch_execz .LBB68_11
; %bb.10:
	v_lshrrev_b32_e32 v11, 26, v11
	v_add_u32_e32 v11, v28, v11
	v_lshlrev_b32_e32 v9, 3, v9
	v_ashrrev_i32_e32 v11, 6, v11
	v_sub_u32_e32 v9, v28, v9
	v_lshl_add_u32 v9, v11, 3, v9
	v_mov_b32_e32 v11, 0xff800000
	v_cmp_ne_u32_e64 s[0:1], 7, v9
	v_cndmask_b32_e64 v3, v11, v3, s[0:1]
	v_cmp_ne_u32_e64 s[0:1], 6, v9
	v_cndmask_b32_e64 v2, v11, v2, s[0:1]
	;; [unrolled: 2-line block ×8, first 2 shown]
.LBB68_11:
	s_or_b64 exec, exec, s[2:3]
	s_cmp_eq_u32 s8, 1
	s_cbranch_scc1 .LBB68_18
; %bb.12:
	s_add_i32 s23, s23, s22
	s_add_i32 s20, s8, -1
	v_add3_u32 v26, s23, v27, v26
	v_add_u32_e32 v8, 1, v8
	v_add_u32_e32 v10, 1, v10
	;; [unrolled: 1-line block ×3, first 2 shown]
	s_mov_b32 s21, 0x3fb8aa3b
	s_mov_b32 s23, 0xc2ce8ed0
	;; [unrolled: 1-line block ×3, first 2 shown]
	v_mov_b32_e32 v27, 0x7f800000
	v_mov_b32_e32 v28, 0xff800000
	s_branch .LBB68_14
.LBB68_13:                              ;   in Loop: Header=BB68_14 Depth=1
	s_or_b64 exec, exec, s[2:3]
	s_add_i32 s20, s20, -1
	v_add_u32_e32 v26, s22, v26
	v_add_u32_e32 v8, 1, v8
	;; [unrolled: 1-line block ×3, first 2 shown]
	s_cmp_eq_u32 s20, 0
	v_add_u32_e32 v12, 1, v12
	s_cbranch_scc1 .LBB68_18
.LBB68_14:                              ; =>This Inner Loop Header: Depth=1
	v_cmp_gt_f32_e64 s[0:1], v5, v4
	v_cndmask_b32_e64 v11, v4, v5, s[0:1]
	v_cndmask_b32_e64 v9, v17, v19, s[0:1]
	v_cmp_gt_f32_e64 s[0:1], v6, v11
	v_cndmask_b32_e64 v11, v11, v6, s[0:1]
	v_cndmask_b32_e64 v9, v9, v20, s[0:1]
	;; [unrolled: 3-line block ×7, first 2 shown]
	s_nop 0
	v_mov_b32_dpp v13, v9 quad_perm:[1,0,3,2] row_mask:0xf bank_mask:0xf
	v_mov_b32_dpp v29, v11 quad_perm:[1,0,3,2] row_mask:0xf bank_mask:0xf
	v_cmp_eq_f32_e64 s[2:3], v11, v29
	v_cmp_lt_i32_e64 s[4:5], v13, v9
	v_cmp_lt_f32_e64 s[0:1], v11, v29
	s_and_b64 s[2:3], s[2:3], s[4:5]
	s_or_b64 s[0:1], s[0:1], s[2:3]
	v_cndmask_b32_e64 v11, v11, v29, s[0:1]
	v_cndmask_b32_e64 v13, v9, v13, s[0:1]
	s_nop 0
	v_mov_b32_dpp v9, v11 quad_perm:[2,3,0,1] row_mask:0xf bank_mask:0xf
	v_mov_b32_dpp v29, v13 quad_perm:[2,3,0,1] row_mask:0xf bank_mask:0xf
	v_cmp_eq_f32_e64 s[2:3], v11, v9
	v_cmp_lt_i32_e64 s[4:5], v29, v13
	v_cmp_lt_f32_e64 s[0:1], v11, v9
	s_and_b64 s[2:3], s[2:3], s[4:5]
	s_or_b64 s[0:1], s[0:1], s[2:3]
	v_cndmask_b32_e64 v9, v11, v9, s[0:1]
	v_cndmask_b32_e64 v13, v13, v29, s[0:1]
	s_nop 0
	v_mov_b32_dpp v11, v9 row_half_mirror row_mask:0xf bank_mask:0xf
	v_mov_b32_dpp v29, v13 row_half_mirror row_mask:0xf bank_mask:0xf
	v_cmp_eq_f32_e64 s[2:3], v9, v11
	v_cmp_lt_i32_e64 s[4:5], v29, v13
	v_cmp_lt_f32_e64 s[0:1], v9, v11
	s_and_b64 s[2:3], s[2:3], s[4:5]
	s_or_b64 s[0:1], s[0:1], s[2:3]
	v_cndmask_b32_e64 v29, v13, v29, s[0:1]
	s_and_saveexec_b64 s[4:5], vcc
	s_cbranch_execz .LBB68_16
; %bb.15:                               ;   in Loop: Header=BB68_14 Depth=1
	v_cndmask_b32_e64 v9, v9, v11, s[0:1]
	v_sub_f32_e32 v9, v9, v18
	v_mul_f32_e32 v11, 0x3fb8aa3b, v9
	v_fma_f32 v13, v9, s21, -v11
	v_rndne_f32_e32 v30, v11
	v_fmac_f32_e32 v13, 0x32a5705f, v9
	v_sub_f32_e32 v11, v11, v30
	v_add_f32_e32 v11, v11, v13
	v_exp_f32_e32 v11, v11
	v_cvt_i32_f32_e32 v13, v30
	v_cmp_le_i32_e64 s[0:1], s9, v29
	v_cmp_gt_i32_e64 s[2:3], s10, v29
	s_and_b64 s[2:3], s[0:1], s[2:3]
	v_ldexp_f32 v11, v11, v13
	v_cmp_ngt_f32_e64 s[0:1], s23, v9
	v_ashrrev_i32_e32 v13, 31, v12
	v_cndmask_b32_e64 v11, 0, v11, s[0:1]
	v_cmp_nlt_f32_e64 s[0:1], s24, v9
	v_lshlrev_b64 v[30:31], 2, v[12:13]
	v_cndmask_b32_e64 v32, v27, v11, s[0:1]
	v_mov_b32_e32 v9, s7
	v_add_co_u32_e64 v30, s[0:1], s6, v30
	v_addc_co_u32_e64 v31, s[0:1], v9, v31, s[0:1]
	v_ashrrev_i32_e32 v11, 31, v10
	global_store_dword v[30:31], v32, off
	v_subrev_u32_e32 v9, s9, v29
	s_and_b64 s[0:1], s[16:17], s[2:3]
	v_lshlrev_b64 v[30:31], 2, v[10:11]
	v_cndmask_b32_e64 v9, 64, v9, s[0:1]
	s_waitcnt lgkmcnt(0)
	v_mov_b32_e32 v11, s13
	v_add_co_u32_e64 v30, s[0:1], s12, v30
	v_addc_co_u32_e64 v31, s[0:1], v11, v31, s[0:1]
	global_store_dword v[30:31], v9, off
	v_ashrrev_i32_e32 v9, 31, v8
	v_lshlrev_b64 v[30:31], 2, v[8:9]
	v_mov_b32_e32 v9, s15
	v_add_co_u32_e64 v30, s[0:1], s14, v30
	v_addc_co_u32_e64 v31, s[0:1], v9, v31, s[0:1]
	v_add_f32_e32 v16, v16, v32
	global_store_dword v[30:31], v26, off
.LBB68_16:                              ;   in Loop: Header=BB68_14 Depth=1
	s_or_b64 exec, exec, s[4:5]
	v_ashrrev_i32_e32 v11, 31, v29
	v_lshrrev_b32_e32 v9, 29, v11
	v_add_u32_e32 v9, v29, v9
	v_ashrrev_i32_e32 v9, 3, v9
	v_lshrrev_b32_e32 v13, 29, v9
	v_add_u32_e32 v13, v9, v13
	v_and_b32_e32 v13, -8, v13
	v_sub_u32_e32 v13, v9, v13
	v_cmp_eq_u32_e64 s[0:1], v15, v13
	s_and_saveexec_b64 s[2:3], s[0:1]
	s_cbranch_execz .LBB68_13
; %bb.17:                               ;   in Loop: Header=BB68_14 Depth=1
	v_lshrrev_b32_e32 v11, 26, v11
	v_add_u32_e32 v11, v29, v11
	v_lshlrev_b32_e32 v9, 3, v9
	v_ashrrev_i32_e32 v11, 6, v11
	v_sub_u32_e32 v9, v29, v9
	v_lshl_add_u32 v9, v11, 3, v9
	v_cmp_ne_u32_e64 s[0:1], 7, v9
	v_cndmask_b32_e64 v3, v28, v3, s[0:1]
	v_cmp_ne_u32_e64 s[0:1], 6, v9
	v_cndmask_b32_e64 v2, v28, v2, s[0:1]
	;; [unrolled: 2-line block ×8, first 2 shown]
	s_branch .LBB68_13
.LBB68_18:
	v_sub_f32_e32 v4, v4, v18
	s_mov_b32 s0, 0x3fb8aa3b
	v_mul_f32_e32 v8, 0x3fb8aa3b, v4
	v_fma_f32 v9, v4, s0, -v8
	v_rndne_f32_e32 v10, v8
	v_fmac_f32_e32 v9, 0x32a5705f, v4
	v_sub_f32_e32 v8, v8, v10
	v_add_f32_e32 v8, v8, v9
	v_exp_f32_e32 v8, v8
	v_cvt_i32_f32_e32 v9, v10
	v_sub_f32_e32 v5, v5, v18
	s_mov_b32 s1, 0xc2ce8ed0
	v_cmp_ngt_f32_e32 vcc, s1, v4
	v_ldexp_f32 v8, v8, v9
	v_mul_f32_e32 v9, 0x3fb8aa3b, v5
	v_fma_f32 v10, v5, s0, -v9
	v_rndne_f32_e32 v11, v9
	v_fmac_f32_e32 v10, 0x32a5705f, v5
	v_sub_f32_e32 v9, v9, v11
	v_add_f32_e32 v9, v9, v10
	v_exp_f32_e32 v9, v9
	v_cvt_i32_f32_e32 v10, v11
	s_mov_b32 s2, 0x42b17218
	v_cndmask_b32_e32 v8, 0, v8, vcc
	v_mov_b32_e32 v11, 0x7f800000
	v_cmp_nlt_f32_e32 vcc, s2, v4
	v_sub_f32_e32 v6, v6, v18
	v_cndmask_b32_e32 v4, v11, v8, vcc
	v_ldexp_f32 v8, v9, v10
	v_mul_f32_e32 v9, 0x3fb8aa3b, v6
	v_fma_f32 v10, v6, s0, -v9
	v_rndne_f32_e32 v12, v9
	v_fmac_f32_e32 v10, 0x32a5705f, v6
	v_sub_f32_e32 v9, v9, v12
	v_add_f32_e32 v9, v9, v10
	v_exp_f32_e32 v9, v9
	v_cvt_i32_f32_e32 v10, v12
	v_cmp_ngt_f32_e32 vcc, s1, v5
	v_cndmask_b32_e32 v8, 0, v8, vcc
	v_cmp_nlt_f32_e32 vcc, s2, v5
	v_sub_f32_e32 v7, v7, v18
	v_cndmask_b32_e32 v5, v11, v8, vcc
	v_mul_f32_e32 v8, 0x3fb8aa3b, v7
	v_add_f32_e32 v4, v4, v5
	v_ldexp_f32 v5, v9, v10
	v_fma_f32 v9, v7, s0, -v8
	v_rndne_f32_e32 v10, v8
	v_fmac_f32_e32 v9, 0x32a5705f, v7
	v_sub_f32_e32 v8, v8, v10
	v_add_f32_e32 v8, v8, v9
	v_exp_f32_e32 v8, v8
	v_cvt_i32_f32_e32 v9, v10
	v_cmp_ngt_f32_e32 vcc, s1, v6
	v_cndmask_b32_e32 v5, 0, v5, vcc
	v_cmp_nlt_f32_e32 vcc, s2, v6
	v_sub_f32_e32 v0, v0, v18
	v_cndmask_b32_e32 v5, v11, v5, vcc
	v_mul_f32_e32 v6, 0x3fb8aa3b, v0
	v_add_f32_e32 v4, v4, v5
	v_ldexp_f32 v5, v8, v9
	v_fma_f32 v8, v0, s0, -v6
	v_rndne_f32_e32 v9, v6
	v_fmac_f32_e32 v8, 0x32a5705f, v0
	v_sub_f32_e32 v6, v6, v9
	v_add_f32_e32 v6, v6, v8
	v_exp_f32_e32 v6, v6
	v_cvt_i32_f32_e32 v8, v9
	v_cmp_ngt_f32_e32 vcc, s1, v7
	v_cndmask_b32_e32 v5, 0, v5, vcc
	v_cmp_nlt_f32_e32 vcc, s2, v7
	v_cndmask_b32_e32 v5, v11, v5, vcc
	v_sub_f32_e32 v1, v1, v18
	v_add_f32_e32 v4, v4, v5
	v_ldexp_f32 v5, v6, v8
	v_mul_f32_e32 v6, 0x3fb8aa3b, v1
	v_fma_f32 v7, v1, s0, -v6
	v_rndne_f32_e32 v8, v6
	v_fmac_f32_e32 v7, 0x32a5705f, v1
	v_sub_f32_e32 v6, v6, v8
	v_add_f32_e32 v6, v6, v7
	v_exp_f32_e32 v6, v6
	v_cvt_i32_f32_e32 v7, v8
	v_cmp_ngt_f32_e32 vcc, s1, v0
	v_cndmask_b32_e32 v5, 0, v5, vcc
	v_cmp_nlt_f32_e32 vcc, s2, v0
	v_sub_f32_e32 v2, v2, v18
	v_cndmask_b32_e32 v0, v11, v5, vcc
	v_mul_f32_e32 v5, 0x3fb8aa3b, v2
	v_add_f32_e32 v0, v4, v0
	v_ldexp_f32 v4, v6, v7
	v_fma_f32 v6, v2, s0, -v5
	v_rndne_f32_e32 v7, v5
	v_fmac_f32_e32 v6, 0x32a5705f, v2
	v_sub_f32_e32 v5, v5, v7
	v_add_f32_e32 v5, v5, v6
	v_exp_f32_e32 v5, v5
	v_cvt_i32_f32_e32 v6, v7
	v_cmp_ngt_f32_e32 vcc, s1, v1
	v_cndmask_b32_e32 v4, 0, v4, vcc
	v_cmp_nlt_f32_e32 vcc, s2, v1
	v_sub_f32_e32 v3, v3, v18
	v_cndmask_b32_e32 v1, v11, v4, vcc
	v_mul_f32_e32 v4, 0x3fb8aa3b, v3
	v_add_f32_e32 v0, v0, v1
	v_ldexp_f32 v1, v5, v6
	v_fma_f32 v5, v3, s0, -v4
	v_rndne_f32_e32 v6, v4
	v_fmac_f32_e32 v5, 0x32a5705f, v3
	v_sub_f32_e32 v4, v4, v6
	v_add_f32_e32 v4, v4, v5
	v_exp_f32_e32 v4, v4
	v_cvt_i32_f32_e32 v5, v6
	v_cmp_ngt_f32_e32 vcc, s1, v2
	v_cndmask_b32_e32 v1, 0, v1, vcc
	v_cmp_nlt_f32_e32 vcc, s2, v2
	v_cndmask_b32_e32 v1, v11, v1, vcc
	v_add_f32_e32 v0, v0, v1
	v_ldexp_f32 v1, v4, v5
	v_cmp_ngt_f32_e32 vcc, s1, v3
	v_cndmask_b32_e32 v1, 0, v1, vcc
	v_cmp_nlt_f32_e32 vcc, s2, v3
	v_cndmask_b32_e32 v1, v11, v1, vcc
	v_add_f32_e32 v0, v0, v1
	v_cmp_eq_u32_e32 vcc, 0, v15
	s_nop 0
	v_mov_b32_dpp v1, v0 quad_perm:[1,0,3,2] row_mask:0xf bank_mask:0xf
	v_add_f32_e32 v0, v0, v1
	s_nop 1
	v_mov_b32_dpp v1, v0 quad_perm:[2,3,0,1] row_mask:0xf bank_mask:0xf
	v_add_f32_e32 v0, v0, v1
	s_nop 1
	v_mov_b32_dpp v1, v0 row_half_mirror row_mask:0xf bank_mask:0xf
	s_and_b64 exec, exec, vcc
	s_cbranch_execz .LBB68_31
; %bb.19:
	v_add_f32_e32 v0, v0, v1
	v_add_f32_e32 v0, v16, v0
	v_cmp_neq_f32_e32 vcc, 0, v0
	s_and_b64 exec, exec, vcc
	s_cbranch_execz .LBB68_31
; %bb.20:
	s_andn2_b64 vcc, exec, s[18:19]
	s_cbranch_vccnz .LBB68_31
; %bb.21:
	v_div_scale_f32 v1, s[0:1], v0, v0, 1.0
	v_rcp_f32_e32 v2, v1
	v_div_scale_f32 v3, vcc, 1.0, v0, 1.0
	s_cmp_gt_u32 s8, 3
	v_fma_f32 v4, -v1, v2, 1.0
	v_fmac_f32_e32 v2, v4, v2
	v_mul_f32_e32 v4, v3, v2
	v_fma_f32 v5, -v1, v4, v3
	v_fmac_f32_e32 v4, v5, v2
	v_fma_f32 v1, -v1, v4, v3
	v_div_fmas_f32 v1, v1, v2, v4
	v_mul_lo_u32 v2, v14, s11
	v_div_fixup_f32 v0, v1, v0, 1.0
	v_ashrrev_i32_e32 v3, 31, v2
	s_cbranch_scc0 .LBB68_25
; %bb.22:
	v_lshlrev_b64 v[4:5], 2, v[2:3]
	v_mov_b32_e32 v6, s7
	v_add_co_u32_e32 v4, vcc, s6, v4
	v_addc_co_u32_e32 v5, vcc, v5, v6, vcc
	s_and_b32 s4, s8, 0x7ffffffc
	v_add_co_u32_e32 v4, vcc, 8, v4
	v_mov_b32_e32 v1, v0
	v_addc_co_u32_e32 v5, vcc, 0, v5, vcc
	s_mov_b32 s0, s4
.LBB68_23:                              ; =>This Inner Loop Header: Depth=1
	global_load_dwordx4 v[6:9], v[4:5], off offset:-8
	s_add_i32 s0, s0, -4
	s_cmp_lg_u32 s0, 0
	s_waitcnt vmcnt(0)
	v_pk_mul_f32 v[6:7], v[0:1], v[6:7]
	v_pk_mul_f32 v[8:9], v[0:1], v[8:9]
	global_store_dwordx4 v[4:5], v[6:9], off offset:-8
	v_add_co_u32_e32 v4, vcc, 16, v4
	v_addc_co_u32_e32 v5, vcc, 0, v5, vcc
	s_cbranch_scc1 .LBB68_23
; %bb.24:
	s_cmp_lg_u32 s4, s8
	s_mov_b64 s[2:3], 0
	s_cselect_b64 s[0:1], -1, 0
	s_branch .LBB68_26
.LBB68_25:
	s_mov_b64 s[2:3], -1
	s_mov_b64 s[0:1], 0
                                        ; implicit-def: $sgpr4
.LBB68_26:
	s_and_b64 vcc, exec, s[2:3]
	s_cbranch_vccz .LBB68_28
; %bb.27:
	s_mov_b64 s[0:1], -1
	s_mov_b32 s4, 0
.LBB68_28:
	s_andn2_b64 vcc, exec, s[0:1]
	s_cbranch_vccnz .LBB68_31
; %bb.29:
	v_add_co_u32_e32 v2, vcc, s4, v2
	v_addc_co_u32_e32 v3, vcc, 0, v3, vcc
	v_lshlrev_b64 v[2:3], 2, v[2:3]
	v_mov_b32_e32 v1, s7
	v_add_co_u32_e32 v2, vcc, s6, v2
	s_sub_i32 s0, s8, s4
	v_addc_co_u32_e32 v3, vcc, v1, v3, vcc
.LBB68_30:                              ; =>This Inner Loop Header: Depth=1
	global_load_dword v1, v[2:3], off
	s_add_i32 s0, s0, -1
	s_cmp_lg_u32 s0, 0
	s_waitcnt vmcnt(0)
	v_mul_f32_e32 v1, v0, v1
	global_store_dword v[2:3], v1, off
	v_add_co_u32_e32 v2, vcc, 4, v2
	v_addc_co_u32_e32 v3, vcc, 0, v3, vcc
	s_cbranch_scc1 .LBB68_30
.LBB68_31:
	s_endpgm
	.section	.rodata,"a",@progbits
	.p2align	6, 0x0
	.amdhsa_kernel _ZN4vllm3moe17topkGatingSoftmaxIfLi8ELi64ELi8ELi32ELb0ELi4ELNS0_23SharedExpertScoringFuncE1EEEvPKT_PKbPfiPiS9_iiiiii
		.amdhsa_group_segment_fixed_size 0
		.amdhsa_private_segment_fixed_size 0
		.amdhsa_kernarg_size 72
		.amdhsa_user_sgpr_count 6
		.amdhsa_user_sgpr_private_segment_buffer 1
		.amdhsa_user_sgpr_dispatch_ptr 0
		.amdhsa_user_sgpr_queue_ptr 0
		.amdhsa_user_sgpr_kernarg_segment_ptr 1
		.amdhsa_user_sgpr_dispatch_id 0
		.amdhsa_user_sgpr_flat_scratch_init 0
		.amdhsa_user_sgpr_kernarg_preload_length 0
		.amdhsa_user_sgpr_kernarg_preload_offset 0
		.amdhsa_user_sgpr_private_segment_size 0
		.amdhsa_uses_dynamic_stack 0
		.amdhsa_system_sgpr_private_segment_wavefront_offset 0
		.amdhsa_system_sgpr_workgroup_id_x 1
		.amdhsa_system_sgpr_workgroup_id_y 0
		.amdhsa_system_sgpr_workgroup_id_z 0
		.amdhsa_system_sgpr_workgroup_info 0
		.amdhsa_system_vgpr_workitem_id 1
		.amdhsa_next_free_vgpr 33
		.amdhsa_next_free_sgpr 25
		.amdhsa_accum_offset 36
		.amdhsa_reserve_vcc 1
		.amdhsa_reserve_flat_scratch 0
		.amdhsa_float_round_mode_32 0
		.amdhsa_float_round_mode_16_64 0
		.amdhsa_float_denorm_mode_32 3
		.amdhsa_float_denorm_mode_16_64 3
		.amdhsa_dx10_clamp 1
		.amdhsa_ieee_mode 1
		.amdhsa_fp16_overflow 0
		.amdhsa_tg_split 0
		.amdhsa_exception_fp_ieee_invalid_op 0
		.amdhsa_exception_fp_denorm_src 0
		.amdhsa_exception_fp_ieee_div_zero 0
		.amdhsa_exception_fp_ieee_overflow 0
		.amdhsa_exception_fp_ieee_underflow 0
		.amdhsa_exception_fp_ieee_inexact 0
		.amdhsa_exception_int_div_zero 0
	.end_amdhsa_kernel
	.section	.text._ZN4vllm3moe17topkGatingSoftmaxIfLi8ELi64ELi8ELi32ELb0ELi4ELNS0_23SharedExpertScoringFuncE1EEEvPKT_PKbPfiPiS9_iiiiii,"axG",@progbits,_ZN4vllm3moe17topkGatingSoftmaxIfLi8ELi64ELi8ELi32ELb0ELi4ELNS0_23SharedExpertScoringFuncE1EEEvPKT_PKbPfiPiS9_iiiiii,comdat
.Lfunc_end68:
	.size	_ZN4vllm3moe17topkGatingSoftmaxIfLi8ELi64ELi8ELi32ELb0ELi4ELNS0_23SharedExpertScoringFuncE1EEEvPKT_PKbPfiPiS9_iiiiii, .Lfunc_end68-_ZN4vllm3moe17topkGatingSoftmaxIfLi8ELi64ELi8ELi32ELb0ELi4ELNS0_23SharedExpertScoringFuncE1EEEvPKT_PKbPfiPiS9_iiiiii
                                        ; -- End function
	.section	.AMDGPU.csdata,"",@progbits
; Kernel info:
; codeLenInByte = 3348
; NumSgprs: 29
; NumVgprs: 33
; NumAgprs: 0
; TotalNumVgprs: 33
; ScratchSize: 0
; MemoryBound: 0
; FloatMode: 240
; IeeeMode: 1
; LDSByteSize: 0 bytes/workgroup (compile time only)
; SGPRBlocks: 3
; VGPRBlocks: 4
; NumSGPRsForWavesPerEU: 29
; NumVGPRsForWavesPerEU: 33
; AccumOffset: 36
; Occupancy: 8
; WaveLimiterHint : 0
; COMPUTE_PGM_RSRC2:SCRATCH_EN: 0
; COMPUTE_PGM_RSRC2:USER_SGPR: 6
; COMPUTE_PGM_RSRC2:TRAP_HANDLER: 0
; COMPUTE_PGM_RSRC2:TGID_X_EN: 1
; COMPUTE_PGM_RSRC2:TGID_Y_EN: 0
; COMPUTE_PGM_RSRC2:TGID_Z_EN: 0
; COMPUTE_PGM_RSRC2:TIDIG_COMP_CNT: 1
; COMPUTE_PGM_RSRC3_GFX90A:ACCUM_OFFSET: 8
; COMPUTE_PGM_RSRC3_GFX90A:TG_SPLIT: 0
	.section	.text._ZN4vllm3moe17topkGatingSoftmaxIfLi8ELi64ELi8ELi32ELb1ELi8ELNS0_23SharedExpertScoringFuncE1EEEvPKT_PKbPfiPiS9_iiiiii,"axG",@progbits,_ZN4vllm3moe17topkGatingSoftmaxIfLi8ELi64ELi8ELi32ELb1ELi8ELNS0_23SharedExpertScoringFuncE1EEEvPKT_PKbPfiPiS9_iiiiii,comdat
	.protected	_ZN4vllm3moe17topkGatingSoftmaxIfLi8ELi64ELi8ELi32ELb1ELi8ELNS0_23SharedExpertScoringFuncE1EEEvPKT_PKbPfiPiS9_iiiiii ; -- Begin function _ZN4vllm3moe17topkGatingSoftmaxIfLi8ELi64ELi8ELi32ELb1ELi8ELNS0_23SharedExpertScoringFuncE1EEEvPKT_PKbPfiPiS9_iiiiii
	.globl	_ZN4vllm3moe17topkGatingSoftmaxIfLi8ELi64ELi8ELi32ELb1ELi8ELNS0_23SharedExpertScoringFuncE1EEEvPKT_PKbPfiPiS9_iiiiii
	.p2align	8
	.type	_ZN4vllm3moe17topkGatingSoftmaxIfLi8ELi64ELi8ELi32ELb1ELi8ELNS0_23SharedExpertScoringFuncE1EEEvPKT_PKbPfiPiS9_iiiiii,@function
_ZN4vllm3moe17topkGatingSoftmaxIfLi8ELi64ELi8ELi32ELb1ELi8ELNS0_23SharedExpertScoringFuncE1EEEvPKT_PKbPfiPiS9_iiiiii: ; @_ZN4vllm3moe17topkGatingSoftmaxIfLi8ELi64ELi8ELi32ELb1ELi8ELNS0_23SharedExpertScoringFuncE1EEEvPKT_PKbPfiPiS9_iiiiii
; %bb.0:
	s_load_dword s24, s[4:5], 0x18
	v_bfe_u32 v1, v0, 10, 10
	v_and_b32_e32 v0, 0x3ff, v0
	s_lshl_b32 s25, s6, 6
	v_lshlrev_b32_e32 v14, 3, v1
	v_lshrrev_b32_e32 v15, 3, v0
	v_add3_u32 v27, s25, v14, v15
	s_waitcnt lgkmcnt(0)
	v_cmp_gt_i32_e32 vcc, s24, v27
	s_and_saveexec_b64 s[0:1], vcc
	s_cbranch_execz .LBB69_27
; %bb.1:
	s_load_dwordx4 s[0:3], s[4:5], 0x0
	s_load_dwordx2 s[16:17], s[4:5], 0x10
	s_waitcnt lgkmcnt(0)
	s_cmp_eq_u64 s[2:3], 0
	s_cbranch_scc1 .LBB69_3
; %bb.2:
	v_ashrrev_i32_e32 v1, 31, v27
	v_mov_b32_e32 v3, s3
	v_add_co_u32_e32 v2, vcc, s2, v27
	v_addc_co_u32_e32 v3, vcc, v3, v1, vcc
	global_load_ubyte v1, v[2:3], off
	s_waitcnt vmcnt(0)
	v_and_b32_e32 v1, 1, v1
	v_cmp_eq_u32_e32 vcc, 1, v1
	s_xor_b64 s[2:3], vcc, -1
	s_orn2_b64 s[18:19], s[2:3], exec
	s_branch .LBB69_4
.LBB69_3:
	s_mov_b64 s[18:19], -1
.LBB69_4:
	s_load_dwordx2 s[22:23], s[4:5], 0x40
	s_load_dwordx4 s[8:11], s[4:5], 0x30
	v_mov_b32_e32 v1, s1
	v_and_b32_e32 v16, 7, v0
	v_lshlrev_b32_e32 v0, 5, v16
	s_waitcnt lgkmcnt(0)
	v_mul_lo_u32 v2, v27, s23
	v_ashrrev_i32_e32 v3, 31, v2
	v_lshlrev_b64 v[2:3], 2, v[2:3]
	v_add_co_u32_e32 v2, vcc, s0, v2
	v_addc_co_u32_e32 v1, vcc, v1, v3, vcc
	v_add_co_u32_e32 v8, vcc, v2, v0
	v_addc_co_u32_e32 v9, vcc, 0, v1, vcc
	v_lshlrev_b32_e32 v0, 2, v16
	v_add_co_u32_e32 v10, vcc, v2, v0
	v_addc_co_u32_e32 v11, vcc, 0, v1, vcc
	global_load_dword v12, v[10:11], off offset:256
	global_load_dwordx4 v[0:3], v[8:9], off
	global_load_dwordx4 v[4:7], v[8:9], off offset:16
	v_mul_lo_u32 v8, v27, s11
	v_add3_u32 v10, v8, s8, v16
	v_ashrrev_i32_e32 v11, 31, v10
	v_lshlrev_b64 v[10:11], 2, v[10:11]
	v_mov_b32_e32 v13, s17
	v_add_co_u32_e32 v28, vcc, s16, v10
	v_addc_co_u32_e32 v29, vcc, v13, v11, vcc
	s_mov_b32 s0, 0xbfb8aa3b
	v_lshlrev_b32_e32 v18, 3, v16
	v_or_b32_e32 v19, 1, v18
	v_or_b32_e32 v20, 2, v18
	;; [unrolled: 1-line block ×3, first 2 shown]
	s_mov_b32 s1, 0x42ce8ed0
	v_or_b32_e32 v22, 4, v18
	s_mov_b32 s2, 0xc2b17218
	v_or_b32_e32 v23, 5, v18
	v_mov_b32_e32 v9, 0x7f800000
	v_or_b32_e32 v24, 6, v18
	v_or_b32_e32 v25, 7, v18
	v_mov_b32_e32 v17, 0
	s_waitcnt vmcnt(2)
	v_mul_f32_e32 v10, 0xbfb8aa3b, v12
	s_waitcnt vmcnt(1)
	v_cmp_lt_f32_e32 vcc, v0, v1
	v_fma_f32 v13, v12, s0, -v10
	v_rndne_f32_e32 v26, v10
	v_cndmask_b32_e32 v30, v0, v1, vcc
	v_cndmask_b32_e32 v11, v18, v19, vcc
	v_fmac_f32_e32 v13, 0xb2a5705f, v12
	v_sub_f32_e32 v10, v10, v26
	v_cmp_lt_f32_e32 vcc, v30, v2
	v_add_f32_e32 v10, v10, v13
	v_cndmask_b32_e32 v13, v30, v2, vcc
	v_cvt_i32_f32_e32 v26, v26
	v_cndmask_b32_e32 v11, v11, v20, vcc
	v_exp_f32_e32 v10, v10
	v_cmp_lt_f32_e32 vcc, v13, v3
	v_cndmask_b32_e32 v13, v13, v3, vcc
	v_cndmask_b32_e32 v11, v11, v21, vcc
	s_waitcnt vmcnt(0)
	v_cmp_lt_f32_e32 vcc, v13, v4
	v_cndmask_b32_e32 v13, v13, v4, vcc
	v_cndmask_b32_e32 v11, v11, v22, vcc
	v_ldexp_f32 v10, v10, v26
	v_cmp_lt_f32_e32 vcc, v13, v5
	v_cmp_nlt_f32_e64 s[0:1], s1, v12
	v_cndmask_b32_e32 v11, v11, v23, vcc
	v_cndmask_b32_e64 v10, 0, v10, s[0:1]
	v_cndmask_b32_e32 v13, v13, v5, vcc
	v_cmp_ngt_f32_e32 vcc, s2, v12
	v_cndmask_b32_e32 v9, v9, v10, vcc
	v_cmp_lt_f32_e32 vcc, v13, v6
	v_add_f32_e32 v12, 1.0, v9
	v_cndmask_b32_e32 v10, v11, v24, vcc
	v_cndmask_b32_e32 v9, v13, v6, vcc
	v_div_scale_f32 v11, s[0:1], v12, v12, 1.0
	v_cmp_lt_f32_e64 s[0:1], v9, v7
	v_cndmask_b32_e64 v10, v10, v25, s[0:1]
	v_rcp_f32_e32 v26, v11
	v_cndmask_b32_e64 v9, v9, v7, s[0:1]
	v_mov_b32_dpp v30, v10 quad_perm:[1,0,3,2] row_mask:0xf bank_mask:0xf
	v_cmp_lt_i32_e64 s[0:1], v30, v10
	v_mov_b32_dpp v31, v9 quad_perm:[1,0,3,2] row_mask:0xf bank_mask:0xf
	v_cmp_eq_f32_e64 s[6:7], v9, v31
	v_cmp_lt_f32_e64 s[2:3], v9, v31
	s_and_b64 s[0:1], s[6:7], s[0:1]
	v_fma_f32 v32, -v11, v26, 1.0
	s_or_b64 s[0:1], s[2:3], s[0:1]
	v_div_scale_f32 v13, vcc, 1.0, v12, 1.0
	v_cndmask_b32_e64 v9, v9, v31, s[0:1]
	v_fmac_f32_e32 v26, v32, v26
	v_cndmask_b32_e64 v10, v10, v30, s[0:1]
	v_mov_b32_dpp v30, v9 quad_perm:[2,3,0,1] row_mask:0xf bank_mask:0xf
	v_mul_f32_e32 v31, v13, v26
	v_mov_b32_dpp v32, v10 quad_perm:[2,3,0,1] row_mask:0xf bank_mask:0xf
	v_cmp_eq_f32_e64 s[2:3], v9, v30
	v_fma_f32 v33, -v11, v31, v13
	v_cmp_lt_i32_e64 s[6:7], v32, v10
	v_cmp_lt_f32_e64 s[0:1], v9, v30
	v_fmac_f32_e32 v31, v33, v26
	s_and_b64 s[2:3], s[2:3], s[6:7]
	v_fma_f32 v11, -v11, v31, v13
	s_or_b64 s[0:1], s[0:1], s[2:3]
	v_cndmask_b32_e64 v9, v9, v30, s[0:1]
	v_div_fmas_f32 v13, v11, v26, v31
	v_cndmask_b32_e64 v11, v10, v32, s[0:1]
	s_cmp_gt_i32 s8, 0
	v_mov_b32_dpp v10, v9 row_half_mirror row_mask:0xf bank_mask:0xf
	v_div_fixup_f32 v13, v13, v12, 1.0
	v_mov_b32_dpp v12, v11 row_half_mirror row_mask:0xf bank_mask:0xf
	s_cselect_b64 s[20:21], -1, 0
	s_cmp_lt_i32 s8, 1
	v_cmp_eq_u32_e32 vcc, 0, v16
	global_store_dword v[28:29], v13, off
	s_cbranch_scc1 .LBB69_16
; %bb.5:
	s_load_dwordx4 s[12:15], s[4:5], 0x20
	v_cmp_eq_f32_e64 s[2:3], v9, v10
	v_cmp_lt_i32_e64 s[6:7], v12, v11
	v_cmp_lt_f32_e64 s[0:1], v9, v10
	s_and_b64 s[2:3], s[2:3], s[6:7]
	s_or_b64 s[0:1], s[0:1], s[2:3]
	v_cndmask_b32_e64 v28, v11, v12, s[0:1]
	v_cndmask_b32_e64 v26, v9, v10, s[0:1]
	v_mul_lo_u32 v12, v27, s22
	v_mul_lo_u32 v10, v27, s8
	v_mov_b32_e32 v17, 0
	s_and_saveexec_b64 s[4:5], vcc
	s_cbranch_execz .LBB69_7
; %bb.6:
	v_sub_f32_e32 v9, v26, v26
	v_mul_f32_e32 v11, 0x3fb8aa3b, v9
	s_mov_b32 s0, 0x3fb8aa3b
	v_rndne_f32_e32 v13, v11
	v_sub_f32_e32 v17, v11, v13
	v_fma_f32 v11, v9, s0, -v11
	v_fmac_f32_e32 v11, 0x32a5705f, v9
	v_add_f32_e32 v11, v17, v11
	v_exp_f32_e32 v11, v11
	v_cvt_i32_f32_e32 v13, v13
	v_cmp_le_i32_e64 s[0:1], s9, v28
	v_cmp_gt_i32_e64 s[2:3], s10, v28
	s_and_b64 s[2:3], s[0:1], s[2:3]
	s_mov_b32 s0, 0xc2ce8ed0
	v_ldexp_f32 v11, v11, v13
	v_cmp_ngt_f32_e64 s[0:1], s0, v9
	v_cndmask_b32_e64 v11, 0, v11, s[0:1]
	s_mov_b32 s0, 0x42b17218
	v_cmp_nlt_f32_e64 s[0:1], s0, v9
	v_ashrrev_i32_e32 v9, 31, v8
	v_mov_b32_e32 v13, 0x7f800000
	v_lshlrev_b64 v[30:31], 2, v[8:9]
	v_cndmask_b32_e64 v17, v13, v11, s[0:1]
	v_mov_b32_e32 v9, s17
	v_add_co_u32_e64 v30, s[0:1], s16, v30
	v_addc_co_u32_e64 v31, s[0:1], v9, v31, s[0:1]
	v_ashrrev_i32_e32 v13, 31, v12
	global_store_dword v[30:31], v17, off
	v_subrev_u32_e32 v9, s9, v28
	s_and_b64 s[0:1], s[18:19], s[2:3]
	v_lshlrev_b64 v[30:31], 2, v[12:13]
	v_cndmask_b32_e64 v9, 64, v9, s[0:1]
	s_waitcnt lgkmcnt(0)
	v_mov_b32_e32 v11, s13
	v_add_co_u32_e64 v30, s[0:1], s12, v30
	v_addc_co_u32_e64 v31, s[0:1], v11, v31, s[0:1]
	v_ashrrev_i32_e32 v11, 31, v10
	global_store_dword v[30:31], v9, off
	v_lshlrev_b64 v[30:31], 2, v[10:11]
	v_mov_b32_e32 v9, s15
	v_add_co_u32_e64 v30, s[0:1], s14, v30
	v_addc_co_u32_e64 v31, s[0:1], v9, v31, s[0:1]
	global_store_dword v[30:31], v27, off
.LBB69_7:
	s_or_b64 exec, exec, s[4:5]
	v_ashrrev_i32_e32 v11, 31, v28
	v_lshrrev_b32_e32 v9, 29, v11
	v_add_u32_e32 v9, v28, v9
	v_ashrrev_i32_e32 v9, 3, v9
	v_lshrrev_b32_e32 v13, 29, v9
	v_add_u32_e32 v13, v9, v13
	v_and_b32_e32 v13, -8, v13
	v_sub_u32_e32 v13, v9, v13
	v_cmp_eq_u32_e64 s[0:1], v16, v13
	s_and_saveexec_b64 s[2:3], s[0:1]
	s_cbranch_execz .LBB69_9
; %bb.8:
	v_lshrrev_b32_e32 v11, 26, v11
	v_add_u32_e32 v11, v28, v11
	v_lshlrev_b32_e32 v9, 3, v9
	v_ashrrev_i32_e32 v11, 6, v11
	v_sub_u32_e32 v9, v28, v9
	v_lshl_add_u32 v9, v11, 3, v9
	v_mov_b32_e32 v11, 0xff800000
	v_cmp_ne_u32_e64 s[0:1], 7, v9
	v_cndmask_b32_e64 v7, v11, v7, s[0:1]
	v_cmp_ne_u32_e64 s[0:1], 6, v9
	v_cndmask_b32_e64 v6, v11, v6, s[0:1]
	;; [unrolled: 2-line block ×8, first 2 shown]
.LBB69_9:
	s_or_b64 exec, exec, s[2:3]
	s_cmp_eq_u32 s8, 1
	s_cbranch_scc1 .LBB69_16
; %bb.10:
	s_add_i32 s25, s25, s24
	s_add_i32 s6, s8, -1
	v_add3_u32 v9, s25, v15, v14
	v_add_u32_e32 v10, 1, v10
	v_add_u32_e32 v12, 1, v12
	;; [unrolled: 1-line block ×3, first 2 shown]
	s_mov_b32 s7, 0x3fb8aa3b
	s_mov_b32 s11, 0xc2ce8ed0
	;; [unrolled: 1-line block ×3, first 2 shown]
	v_mov_b32_e32 v27, 0x7f800000
	v_mov_b32_e32 v28, 0xff800000
	s_branch .LBB69_12
.LBB69_11:                              ;   in Loop: Header=BB69_12 Depth=1
	s_or_b64 exec, exec, s[2:3]
	s_add_i32 s6, s6, -1
	v_add_u32_e32 v9, s24, v9
	v_add_u32_e32 v10, 1, v10
	;; [unrolled: 1-line block ×3, first 2 shown]
	s_cmp_eq_u32 s6, 0
	v_add_u32_e32 v14, 1, v14
	s_cbranch_scc1 .LBB69_16
.LBB69_12:                              ; =>This Inner Loop Header: Depth=1
	v_cmp_gt_f32_e64 s[0:1], v1, v0
	v_cndmask_b32_e64 v13, v0, v1, s[0:1]
	v_cndmask_b32_e64 v11, v18, v19, s[0:1]
	v_cmp_gt_f32_e64 s[0:1], v2, v13
	v_cndmask_b32_e64 v13, v13, v2, s[0:1]
	v_cndmask_b32_e64 v11, v11, v20, s[0:1]
	;; [unrolled: 3-line block ×7, first 2 shown]
	s_nop 0
	v_mov_b32_dpp v15, v11 quad_perm:[1,0,3,2] row_mask:0xf bank_mask:0xf
	v_mov_b32_dpp v29, v13 quad_perm:[1,0,3,2] row_mask:0xf bank_mask:0xf
	v_cmp_eq_f32_e64 s[2:3], v13, v29
	v_cmp_lt_i32_e64 s[4:5], v15, v11
	v_cmp_lt_f32_e64 s[0:1], v13, v29
	s_and_b64 s[2:3], s[2:3], s[4:5]
	s_or_b64 s[0:1], s[0:1], s[2:3]
	v_cndmask_b32_e64 v13, v13, v29, s[0:1]
	v_cndmask_b32_e64 v15, v11, v15, s[0:1]
	s_nop 0
	v_mov_b32_dpp v11, v13 quad_perm:[2,3,0,1] row_mask:0xf bank_mask:0xf
	v_mov_b32_dpp v29, v15 quad_perm:[2,3,0,1] row_mask:0xf bank_mask:0xf
	v_cmp_eq_f32_e64 s[2:3], v13, v11
	v_cmp_lt_i32_e64 s[4:5], v29, v15
	v_cmp_lt_f32_e64 s[0:1], v13, v11
	s_and_b64 s[2:3], s[2:3], s[4:5]
	s_or_b64 s[0:1], s[0:1], s[2:3]
	v_cndmask_b32_e64 v11, v13, v11, s[0:1]
	v_cndmask_b32_e64 v15, v15, v29, s[0:1]
	s_nop 0
	v_mov_b32_dpp v13, v11 row_half_mirror row_mask:0xf bank_mask:0xf
	v_mov_b32_dpp v29, v15 row_half_mirror row_mask:0xf bank_mask:0xf
	v_cmp_eq_f32_e64 s[2:3], v11, v13
	v_cmp_lt_i32_e64 s[4:5], v29, v15
	v_cmp_lt_f32_e64 s[0:1], v11, v13
	s_and_b64 s[2:3], s[2:3], s[4:5]
	s_or_b64 s[0:1], s[0:1], s[2:3]
	v_cndmask_b32_e64 v29, v15, v29, s[0:1]
	s_and_saveexec_b64 s[4:5], vcc
	s_cbranch_execz .LBB69_14
; %bb.13:                               ;   in Loop: Header=BB69_12 Depth=1
	v_cndmask_b32_e64 v11, v11, v13, s[0:1]
	v_sub_f32_e32 v11, v11, v26
	v_mul_f32_e32 v13, 0x3fb8aa3b, v11
	v_fma_f32 v15, v11, s7, -v13
	v_rndne_f32_e32 v30, v13
	v_fmac_f32_e32 v15, 0x32a5705f, v11
	v_sub_f32_e32 v13, v13, v30
	v_add_f32_e32 v13, v13, v15
	v_exp_f32_e32 v13, v13
	v_cvt_i32_f32_e32 v15, v30
	v_cmp_le_i32_e64 s[0:1], s9, v29
	v_cmp_gt_i32_e64 s[2:3], s10, v29
	s_and_b64 s[2:3], s[0:1], s[2:3]
	v_ldexp_f32 v13, v13, v15
	v_cmp_ngt_f32_e64 s[0:1], s11, v11
	v_ashrrev_i32_e32 v15, 31, v14
	v_cndmask_b32_e64 v13, 0, v13, s[0:1]
	v_cmp_nlt_f32_e64 s[0:1], s22, v11
	v_lshlrev_b64 v[30:31], 2, v[14:15]
	v_cndmask_b32_e64 v32, v27, v13, s[0:1]
	v_mov_b32_e32 v11, s17
	v_add_co_u32_e64 v30, s[0:1], s16, v30
	v_addc_co_u32_e64 v31, s[0:1], v11, v31, s[0:1]
	v_ashrrev_i32_e32 v13, 31, v12
	global_store_dword v[30:31], v32, off
	v_subrev_u32_e32 v11, s9, v29
	s_and_b64 s[0:1], s[18:19], s[2:3]
	v_lshlrev_b64 v[30:31], 2, v[12:13]
	v_cndmask_b32_e64 v11, 64, v11, s[0:1]
	s_waitcnt lgkmcnt(0)
	v_mov_b32_e32 v13, s13
	v_add_co_u32_e64 v30, s[0:1], s12, v30
	v_addc_co_u32_e64 v31, s[0:1], v13, v31, s[0:1]
	global_store_dword v[30:31], v11, off
	v_ashrrev_i32_e32 v11, 31, v10
	v_lshlrev_b64 v[30:31], 2, v[10:11]
	v_mov_b32_e32 v11, s15
	v_add_co_u32_e64 v30, s[0:1], s14, v30
	v_addc_co_u32_e64 v31, s[0:1], v11, v31, s[0:1]
	v_add_f32_e32 v17, v17, v32
	global_store_dword v[30:31], v9, off
.LBB69_14:                              ;   in Loop: Header=BB69_12 Depth=1
	s_or_b64 exec, exec, s[4:5]
	v_ashrrev_i32_e32 v13, 31, v29
	v_lshrrev_b32_e32 v11, 29, v13
	v_add_u32_e32 v11, v29, v11
	v_ashrrev_i32_e32 v11, 3, v11
	v_lshrrev_b32_e32 v15, 29, v11
	v_add_u32_e32 v15, v11, v15
	v_and_b32_e32 v15, -8, v15
	v_sub_u32_e32 v15, v11, v15
	v_cmp_eq_u32_e64 s[0:1], v16, v15
	s_and_saveexec_b64 s[2:3], s[0:1]
	s_cbranch_execz .LBB69_11
; %bb.15:                               ;   in Loop: Header=BB69_12 Depth=1
	v_lshrrev_b32_e32 v13, 26, v13
	v_add_u32_e32 v13, v29, v13
	v_lshlrev_b32_e32 v11, 3, v11
	v_ashrrev_i32_e32 v13, 6, v13
	v_sub_u32_e32 v11, v29, v11
	v_lshl_add_u32 v11, v13, 3, v11
	v_cmp_ne_u32_e64 s[0:1], 7, v11
	v_cndmask_b32_e64 v7, v28, v7, s[0:1]
	v_cmp_ne_u32_e64 s[0:1], 6, v11
	v_cndmask_b32_e64 v6, v28, v6, s[0:1]
	;; [unrolled: 2-line block ×8, first 2 shown]
	s_branch .LBB69_11
.LBB69_16:
	v_cmp_eq_u32_e32 vcc, 0, v16
	v_cmp_neq_f32_e64 s[0:1], 0, v17
	s_and_b64 s[0:1], vcc, s[0:1]
	s_and_b64 exec, exec, s[0:1]
	s_cbranch_execz .LBB69_27
; %bb.17:
	s_andn2_b64 vcc, exec, s[20:21]
	s_cbranch_vccnz .LBB69_27
; %bb.18:
	v_div_scale_f32 v0, s[0:1], v17, v17, 1.0
	v_rcp_f32_e32 v1, v0
	v_div_scale_f32 v2, vcc, 1.0, v17, 1.0
	s_cmp_gt_u32 s8, 3
	v_fma_f32 v3, -v0, v1, 1.0
	v_fmac_f32_e32 v1, v3, v1
	v_mul_f32_e32 v3, v2, v1
	v_fma_f32 v4, -v0, v3, v2
	v_fmac_f32_e32 v3, v4, v1
	v_fma_f32 v0, -v0, v3, v2
	v_div_fmas_f32 v0, v0, v1, v3
	v_div_fixup_f32 v0, v0, v17, 1.0
	v_ashrrev_i32_e32 v9, 31, v8
	s_cbranch_scc0 .LBB69_22
; %bb.19:
	v_lshlrev_b64 v[2:3], 2, v[8:9]
	v_mov_b32_e32 v4, s17
	v_add_co_u32_e32 v2, vcc, s16, v2
	v_addc_co_u32_e32 v3, vcc, v3, v4, vcc
	s_and_b32 s4, s8, 0x7ffffffc
	v_add_co_u32_e32 v2, vcc, 8, v2
	v_mov_b32_e32 v1, v0
	v_addc_co_u32_e32 v3, vcc, 0, v3, vcc
	s_mov_b32 s0, s4
.LBB69_20:                              ; =>This Inner Loop Header: Depth=1
	global_load_dwordx4 v[4:7], v[2:3], off offset:-8
	s_add_i32 s0, s0, -4
	s_cmp_lg_u32 s0, 0
	s_waitcnt vmcnt(0)
	v_pk_mul_f32 v[4:5], v[0:1], v[4:5]
	v_pk_mul_f32 v[6:7], v[0:1], v[6:7]
	global_store_dwordx4 v[2:3], v[4:7], off offset:-8
	v_add_co_u32_e32 v2, vcc, 16, v2
	v_addc_co_u32_e32 v3, vcc, 0, v3, vcc
	s_cbranch_scc1 .LBB69_20
; %bb.21:
	s_cmp_lg_u32 s4, s8
	s_cselect_b64 s[0:1], -1, 0
	s_branch .LBB69_24
.LBB69_22:
	s_mov_b64 s[0:1], 0
                                        ; implicit-def: $sgpr4
	s_cbranch_execz .LBB69_24
; %bb.23:
	s_mov_b64 s[0:1], -1
	s_mov_b32 s4, 0
.LBB69_24:
	s_andn2_b64 vcc, exec, s[0:1]
	s_cbranch_vccnz .LBB69_27
; %bb.25:
	v_add_co_u32_e32 v2, vcc, s4, v8
	v_addc_co_u32_e32 v3, vcc, 0, v9, vcc
	v_lshlrev_b64 v[2:3], 2, v[2:3]
	v_mov_b32_e32 v1, s17
	v_add_co_u32_e32 v2, vcc, s16, v2
	s_sub_i32 s0, s8, s4
	v_addc_co_u32_e32 v3, vcc, v1, v3, vcc
.LBB69_26:                              ; =>This Inner Loop Header: Depth=1
	global_load_dword v1, v[2:3], off
	s_add_i32 s0, s0, -1
	s_cmp_lg_u32 s0, 0
	s_waitcnt vmcnt(0)
	v_mul_f32_e32 v1, v0, v1
	global_store_dword v[2:3], v1, off
	v_add_co_u32_e32 v2, vcc, 4, v2
	v_addc_co_u32_e32 v3, vcc, 0, v3, vcc
	s_cbranch_scc1 .LBB69_26
.LBB69_27:
	s_endpgm
	.section	.rodata,"a",@progbits
	.p2align	6, 0x0
	.amdhsa_kernel _ZN4vllm3moe17topkGatingSoftmaxIfLi8ELi64ELi8ELi32ELb1ELi8ELNS0_23SharedExpertScoringFuncE1EEEvPKT_PKbPfiPiS9_iiiiii
		.amdhsa_group_segment_fixed_size 0
		.amdhsa_private_segment_fixed_size 0
		.amdhsa_kernarg_size 72
		.amdhsa_user_sgpr_count 6
		.amdhsa_user_sgpr_private_segment_buffer 1
		.amdhsa_user_sgpr_dispatch_ptr 0
		.amdhsa_user_sgpr_queue_ptr 0
		.amdhsa_user_sgpr_kernarg_segment_ptr 1
		.amdhsa_user_sgpr_dispatch_id 0
		.amdhsa_user_sgpr_flat_scratch_init 0
		.amdhsa_user_sgpr_kernarg_preload_length 0
		.amdhsa_user_sgpr_kernarg_preload_offset 0
		.amdhsa_user_sgpr_private_segment_size 0
		.amdhsa_uses_dynamic_stack 0
		.amdhsa_system_sgpr_private_segment_wavefront_offset 0
		.amdhsa_system_sgpr_workgroup_id_x 1
		.amdhsa_system_sgpr_workgroup_id_y 0
		.amdhsa_system_sgpr_workgroup_id_z 0
		.amdhsa_system_sgpr_workgroup_info 0
		.amdhsa_system_vgpr_workitem_id 1
		.amdhsa_next_free_vgpr 34
		.amdhsa_next_free_sgpr 26
		.amdhsa_accum_offset 36
		.amdhsa_reserve_vcc 1
		.amdhsa_reserve_flat_scratch 0
		.amdhsa_float_round_mode_32 0
		.amdhsa_float_round_mode_16_64 0
		.amdhsa_float_denorm_mode_32 3
		.amdhsa_float_denorm_mode_16_64 3
		.amdhsa_dx10_clamp 1
		.amdhsa_ieee_mode 1
		.amdhsa_fp16_overflow 0
		.amdhsa_tg_split 0
		.amdhsa_exception_fp_ieee_invalid_op 0
		.amdhsa_exception_fp_denorm_src 0
		.amdhsa_exception_fp_ieee_div_zero 0
		.amdhsa_exception_fp_ieee_overflow 0
		.amdhsa_exception_fp_ieee_underflow 0
		.amdhsa_exception_fp_ieee_inexact 0
		.amdhsa_exception_int_div_zero 0
	.end_amdhsa_kernel
	.section	.text._ZN4vllm3moe17topkGatingSoftmaxIfLi8ELi64ELi8ELi32ELb1ELi8ELNS0_23SharedExpertScoringFuncE1EEEvPKT_PKbPfiPiS9_iiiiii,"axG",@progbits,_ZN4vllm3moe17topkGatingSoftmaxIfLi8ELi64ELi8ELi32ELb1ELi8ELNS0_23SharedExpertScoringFuncE1EEEvPKT_PKbPfiPiS9_iiiiii,comdat
.Lfunc_end69:
	.size	_ZN4vllm3moe17topkGatingSoftmaxIfLi8ELi64ELi8ELi32ELb1ELi8ELNS0_23SharedExpertScoringFuncE1EEEvPKT_PKbPfiPiS9_iiiiii, .Lfunc_end69-_ZN4vllm3moe17topkGatingSoftmaxIfLi8ELi64ELi8ELi32ELb1ELi8ELNS0_23SharedExpertScoringFuncE1EEEvPKT_PKbPfiPiS9_iiiiii
                                        ; -- End function
	.section	.AMDGPU.csdata,"",@progbits
; Kernel info:
; codeLenInByte = 2656
; NumSgprs: 30
; NumVgprs: 34
; NumAgprs: 0
; TotalNumVgprs: 34
; ScratchSize: 0
; MemoryBound: 0
; FloatMode: 240
; IeeeMode: 1
; LDSByteSize: 0 bytes/workgroup (compile time only)
; SGPRBlocks: 3
; VGPRBlocks: 4
; NumSGPRsForWavesPerEU: 30
; NumVGPRsForWavesPerEU: 34
; AccumOffset: 36
; Occupancy: 8
; WaveLimiterHint : 0
; COMPUTE_PGM_RSRC2:SCRATCH_EN: 0
; COMPUTE_PGM_RSRC2:USER_SGPR: 6
; COMPUTE_PGM_RSRC2:TRAP_HANDLER: 0
; COMPUTE_PGM_RSRC2:TGID_X_EN: 1
; COMPUTE_PGM_RSRC2:TGID_Y_EN: 0
; COMPUTE_PGM_RSRC2:TGID_Z_EN: 0
; COMPUTE_PGM_RSRC2:TIDIG_COMP_CNT: 1
; COMPUTE_PGM_RSRC3_GFX90A:ACCUM_OFFSET: 8
; COMPUTE_PGM_RSRC3_GFX90A:TG_SPLIT: 0
	.section	.text._ZN4vllm3moe17topkGatingSoftmaxIfLi8ELi64ELi8ELi32ELb0ELi8ELNS0_23SharedExpertScoringFuncE1EEEvPKT_PKbPfiPiS9_iiiiii,"axG",@progbits,_ZN4vllm3moe17topkGatingSoftmaxIfLi8ELi64ELi8ELi32ELb0ELi8ELNS0_23SharedExpertScoringFuncE1EEEvPKT_PKbPfiPiS9_iiiiii,comdat
	.protected	_ZN4vllm3moe17topkGatingSoftmaxIfLi8ELi64ELi8ELi32ELb0ELi8ELNS0_23SharedExpertScoringFuncE1EEEvPKT_PKbPfiPiS9_iiiiii ; -- Begin function _ZN4vllm3moe17topkGatingSoftmaxIfLi8ELi64ELi8ELi32ELb0ELi8ELNS0_23SharedExpertScoringFuncE1EEEvPKT_PKbPfiPiS9_iiiiii
	.globl	_ZN4vllm3moe17topkGatingSoftmaxIfLi8ELi64ELi8ELi32ELb0ELi8ELNS0_23SharedExpertScoringFuncE1EEEvPKT_PKbPfiPiS9_iiiiii
	.p2align	8
	.type	_ZN4vllm3moe17topkGatingSoftmaxIfLi8ELi64ELi8ELi32ELb0ELi8ELNS0_23SharedExpertScoringFuncE1EEEvPKT_PKbPfiPiS9_iiiiii,@function
_ZN4vllm3moe17topkGatingSoftmaxIfLi8ELi64ELi8ELi32ELb0ELi8ELNS0_23SharedExpertScoringFuncE1EEEvPKT_PKbPfiPiS9_iiiiii: ; @_ZN4vllm3moe17topkGatingSoftmaxIfLi8ELi64ELi8ELi32ELb0ELi8ELNS0_23SharedExpertScoringFuncE1EEEvPKT_PKbPfiPiS9_iiiiii
; %bb.0:
	s_load_dword s22, s[4:5], 0x18
	v_bfe_u32 v1, v0, 10, 10
	v_and_b32_e32 v0, 0x3ff, v0
	s_lshl_b32 s23, s6, 6
	v_lshlrev_b32_e32 v14, 3, v1
	v_lshrrev_b32_e32 v15, 3, v0
	v_add3_u32 v27, s23, v14, v15
	s_waitcnt lgkmcnt(0)
	v_cmp_gt_i32_e32 vcc, s22, v27
	s_and_saveexec_b64 s[0:1], vcc
	s_cbranch_execz .LBB70_29
; %bb.1:
	s_load_dwordx4 s[0:3], s[4:5], 0x0
	s_load_dwordx2 s[16:17], s[4:5], 0x10
	s_waitcnt lgkmcnt(0)
	s_cmp_eq_u64 s[2:3], 0
	s_cbranch_scc1 .LBB70_3
; %bb.2:
	v_ashrrev_i32_e32 v1, 31, v27
	v_mov_b32_e32 v3, s3
	v_add_co_u32_e32 v2, vcc, s2, v27
	v_addc_co_u32_e32 v3, vcc, v3, v1, vcc
	global_load_ubyte v1, v[2:3], off
	s_waitcnt vmcnt(0)
	v_and_b32_e32 v1, 1, v1
	v_cmp_eq_u32_e32 vcc, 1, v1
	s_xor_b64 s[2:3], vcc, -1
	s_orn2_b64 s[18:19], s[2:3], exec
	s_branch .LBB70_4
.LBB70_3:
	s_mov_b64 s[18:19], -1
.LBB70_4:
	s_load_dwordx2 s[20:21], s[4:5], 0x40
	s_load_dwordx4 s[8:11], s[4:5], 0x30
	v_mov_b32_e32 v1, s1
	v_and_b32_e32 v16, 7, v0
	v_lshlrev_b32_e32 v0, 5, v16
	s_waitcnt lgkmcnt(0)
	v_mul_lo_u32 v2, v27, s21
	v_ashrrev_i32_e32 v3, 31, v2
	v_lshlrev_b64 v[2:3], 2, v[2:3]
	v_add_co_u32_e32 v2, vcc, s0, v2
	v_addc_co_u32_e32 v1, vcc, v1, v3, vcc
	v_add_co_u32_e32 v8, vcc, v2, v0
	v_addc_co_u32_e32 v9, vcc, 0, v1, vcc
	v_lshlrev_b32_e32 v0, 2, v16
	v_add_co_u32_e32 v10, vcc, v2, v0
	v_addc_co_u32_e32 v11, vcc, 0, v1, vcc
	global_load_dword v18, v[10:11], off offset:256
	global_load_dwordx4 v[4:7], v[8:9], off
	global_load_dwordx4 v[0:3], v[8:9], off offset:16
	v_mul_lo_u32 v8, v27, s11
	v_add3_u32 v10, v8, s8, v16
	v_ashrrev_i32_e32 v11, 31, v10
	v_lshlrev_b64 v[10:11], 2, v[10:11]
	v_mov_b32_e32 v13, s17
	v_add_co_u32_e32 v12, vcc, s16, v10
	v_addc_co_u32_e32 v13, vcc, v13, v11, vcc
	s_mov_b32 s0, 0xbfb8aa3b
	v_lshlrev_b32_e32 v19, 3, v16
	v_or_b32_e32 v20, 1, v19
	v_or_b32_e32 v21, 2, v19
	v_or_b32_e32 v22, 3, v19
	s_mov_b32 s1, 0x42ce8ed0
	v_or_b32_e32 v23, 4, v19
	s_mov_b32 s2, 0xc2b17218
	v_or_b32_e32 v24, 5, v19
	v_mov_b32_e32 v9, 0x7f800000
	v_or_b32_e32 v25, 6, v19
	v_or_b32_e32 v26, 7, v19
	v_mov_b32_e32 v17, 0
	s_waitcnt vmcnt(2)
	v_mul_f32_e32 v10, 0xbfb8aa3b, v18
	s_waitcnt vmcnt(1)
	v_cmp_lt_f32_e32 vcc, v4, v5
	v_fma_f32 v28, v18, s0, -v10
	v_rndne_f32_e32 v29, v10
	v_cndmask_b32_e32 v30, v4, v5, vcc
	v_cndmask_b32_e32 v11, v19, v20, vcc
	v_fmac_f32_e32 v28, 0xb2a5705f, v18
	v_sub_f32_e32 v10, v10, v29
	v_cmp_lt_f32_e32 vcc, v30, v6
	v_add_f32_e32 v10, v10, v28
	v_cndmask_b32_e32 v28, v30, v6, vcc
	v_cvt_i32_f32_e32 v29, v29
	v_cndmask_b32_e32 v11, v11, v21, vcc
	v_exp_f32_e32 v10, v10
	v_cmp_lt_f32_e32 vcc, v28, v7
	v_cndmask_b32_e32 v28, v28, v7, vcc
	v_cndmask_b32_e32 v11, v11, v22, vcc
	s_waitcnt vmcnt(0)
	v_cmp_lt_f32_e32 vcc, v28, v0
	v_cndmask_b32_e32 v28, v28, v0, vcc
	v_cndmask_b32_e32 v11, v11, v23, vcc
	v_ldexp_f32 v10, v10, v29
	v_cmp_lt_f32_e32 vcc, v28, v1
	v_cmp_nlt_f32_e64 s[0:1], s1, v18
	v_cndmask_b32_e32 v11, v11, v24, vcc
	v_cndmask_b32_e64 v10, 0, v10, s[0:1]
	v_cndmask_b32_e32 v28, v28, v1, vcc
	v_cmp_ngt_f32_e32 vcc, s2, v18
	v_cndmask_b32_e32 v9, v9, v10, vcc
	v_cmp_lt_f32_e32 vcc, v28, v2
	v_cndmask_b32_e32 v10, v11, v25, vcc
	v_add_f32_e32 v11, 1.0, v9
	v_cndmask_b32_e32 v9, v28, v2, vcc
	v_div_scale_f32 v18, s[0:1], v11, v11, 1.0
	v_cmp_lt_f32_e64 s[0:1], v9, v3
	v_cndmask_b32_e64 v10, v10, v26, s[0:1]
	v_cndmask_b32_e64 v9, v9, v3, s[0:1]
	v_rcp_f32_e32 v29, v18
	v_mov_b32_dpp v30, v10 quad_perm:[1,0,3,2] row_mask:0xf bank_mask:0xf
	v_mov_b32_dpp v31, v9 quad_perm:[1,0,3,2] row_mask:0xf bank_mask:0xf
	v_cmp_lt_i32_e64 s[0:1], v30, v10
	v_cmp_eq_f32_e64 s[6:7], v9, v31
	v_cmp_lt_f32_e64 s[2:3], v9, v31
	s_and_b64 s[0:1], s[6:7], s[0:1]
	s_or_b64 s[0:1], s[2:3], s[0:1]
	v_fma_f32 v32, -v18, v29, 1.0
	v_cndmask_b32_e64 v9, v9, v31, s[0:1]
	v_cndmask_b32_e64 v10, v10, v30, s[0:1]
	v_div_scale_f32 v28, vcc, 1.0, v11, 1.0
	v_fmac_f32_e32 v29, v32, v29
	v_mov_b32_dpp v30, v9 quad_perm:[2,3,0,1] row_mask:0xf bank_mask:0xf
	v_mov_b32_dpp v32, v10 quad_perm:[2,3,0,1] row_mask:0xf bank_mask:0xf
	v_mul_f32_e32 v31, v28, v29
	v_cmp_eq_f32_e64 s[2:3], v9, v30
	v_cmp_lt_i32_e64 s[6:7], v32, v10
	v_cmp_lt_f32_e64 s[0:1], v9, v30
	v_fma_f32 v33, -v18, v31, v28
	s_and_b64 s[2:3], s[2:3], s[6:7]
	v_fmac_f32_e32 v31, v33, v29
	s_or_b64 s[0:1], s[0:1], s[2:3]
	v_fma_f32 v18, -v18, v31, v28
	v_cndmask_b32_e64 v28, v9, v30, s[0:1]
	v_cndmask_b32_e64 v9, v10, v32, s[0:1]
	v_div_fmas_f32 v18, v18, v29, v31
	v_mov_b32_dpp v29, v28 row_half_mirror row_mask:0xf bank_mask:0xf
	v_mov_b32_dpp v10, v9 row_half_mirror row_mask:0xf bank_mask:0xf
	v_cmp_eq_f32_e64 s[0:1], v28, v29
	v_cmp_lt_i32_e64 s[2:3], v10, v9
	v_cmp_lt_f32_e32 vcc, v28, v29
	s_and_b64 s[0:1], s[0:1], s[2:3]
	s_or_b64 s[0:1], vcc, s[0:1]
	s_cmp_gt_i32 s8, 0
	v_div_fixup_f32 v11, v18, v11, 1.0
	v_cndmask_b32_e64 v18, v28, v29, s[0:1]
	s_cselect_b64 s[6:7], -1, 0
	s_cmp_lt_i32 s8, 1
	v_cmp_eq_u32_e32 vcc, 0, v16
	global_store_dword v[12:13], v11, off
	s_cbranch_scc1 .LBB70_16
; %bb.5:
	s_load_dwordx4 s[12:15], s[4:5], 0x20
	v_cndmask_b32_e64 v28, v9, v10, s[0:1]
	v_mul_lo_u32 v12, v27, s20
	v_mul_lo_u32 v10, v27, s8
	v_mov_b32_e32 v17, 0
	s_and_saveexec_b64 s[4:5], vcc
	s_cbranch_execz .LBB70_7
; %bb.6:
	v_sub_f32_e32 v9, v18, v18
	v_mul_f32_e32 v11, 0x3fb8aa3b, v9
	s_mov_b32 s0, 0x3fb8aa3b
	v_rndne_f32_e32 v13, v11
	v_sub_f32_e32 v17, v11, v13
	v_fma_f32 v11, v9, s0, -v11
	v_fmac_f32_e32 v11, 0x32a5705f, v9
	v_add_f32_e32 v11, v17, v11
	v_exp_f32_e32 v11, v11
	v_cvt_i32_f32_e32 v13, v13
	v_cmp_le_i32_e64 s[0:1], s9, v28
	v_cmp_gt_i32_e64 s[2:3], s10, v28
	s_and_b64 s[2:3], s[0:1], s[2:3]
	s_mov_b32 s0, 0xc2ce8ed0
	v_ldexp_f32 v11, v11, v13
	v_cmp_ngt_f32_e64 s[0:1], s0, v9
	v_cndmask_b32_e64 v11, 0, v11, s[0:1]
	s_mov_b32 s0, 0x42b17218
	v_cmp_nlt_f32_e64 s[0:1], s0, v9
	v_ashrrev_i32_e32 v9, 31, v8
	v_mov_b32_e32 v13, 0x7f800000
	v_lshlrev_b64 v[30:31], 2, v[8:9]
	v_cndmask_b32_e64 v17, v13, v11, s[0:1]
	v_mov_b32_e32 v9, s17
	v_add_co_u32_e64 v30, s[0:1], s16, v30
	v_addc_co_u32_e64 v31, s[0:1], v9, v31, s[0:1]
	v_ashrrev_i32_e32 v13, 31, v12
	global_store_dword v[30:31], v17, off
	v_subrev_u32_e32 v9, s9, v28
	s_and_b64 s[0:1], s[18:19], s[2:3]
	v_lshlrev_b64 v[30:31], 2, v[12:13]
	v_cndmask_b32_e64 v9, 64, v9, s[0:1]
	s_waitcnt lgkmcnt(0)
	v_mov_b32_e32 v11, s13
	v_add_co_u32_e64 v30, s[0:1], s12, v30
	v_addc_co_u32_e64 v31, s[0:1], v11, v31, s[0:1]
	v_ashrrev_i32_e32 v11, 31, v10
	global_store_dword v[30:31], v9, off
	v_lshlrev_b64 v[30:31], 2, v[10:11]
	v_mov_b32_e32 v9, s15
	v_add_co_u32_e64 v30, s[0:1], s14, v30
	v_addc_co_u32_e64 v31, s[0:1], v9, v31, s[0:1]
	global_store_dword v[30:31], v27, off
.LBB70_7:
	s_or_b64 exec, exec, s[4:5]
	v_ashrrev_i32_e32 v11, 31, v28
	v_lshrrev_b32_e32 v9, 29, v11
	v_add_u32_e32 v9, v28, v9
	v_ashrrev_i32_e32 v9, 3, v9
	v_lshrrev_b32_e32 v13, 29, v9
	v_add_u32_e32 v13, v9, v13
	v_and_b32_e32 v13, -8, v13
	v_sub_u32_e32 v13, v9, v13
	v_cmp_eq_u32_e64 s[0:1], v16, v13
	s_and_saveexec_b64 s[2:3], s[0:1]
	s_cbranch_execz .LBB70_9
; %bb.8:
	v_lshrrev_b32_e32 v11, 26, v11
	v_add_u32_e32 v11, v28, v11
	v_lshlrev_b32_e32 v9, 3, v9
	v_ashrrev_i32_e32 v11, 6, v11
	v_sub_u32_e32 v9, v28, v9
	v_lshl_add_u32 v9, v11, 3, v9
	v_mov_b32_e32 v11, 0xff800000
	v_cmp_ne_u32_e64 s[0:1], 7, v9
	v_cndmask_b32_e64 v3, v11, v3, s[0:1]
	v_cmp_ne_u32_e64 s[0:1], 6, v9
	v_cndmask_b32_e64 v2, v11, v2, s[0:1]
	;; [unrolled: 2-line block ×8, first 2 shown]
.LBB70_9:
	s_or_b64 exec, exec, s[2:3]
	s_cmp_eq_u32 s8, 1
	s_cbranch_scc1 .LBB70_16
; %bb.10:
	s_add_i32 s23, s23, s22
	s_add_i32 s11, s8, -1
	v_add3_u32 v9, s23, v15, v14
	v_add_u32_e32 v10, 1, v10
	v_add_u32_e32 v12, 1, v12
	;; [unrolled: 1-line block ×3, first 2 shown]
	s_mov_b32 s20, 0x3fb8aa3b
	s_mov_b32 s21, 0xc2ce8ed0
	;; [unrolled: 1-line block ×3, first 2 shown]
	v_mov_b32_e32 v27, 0x7f800000
	v_mov_b32_e32 v28, 0xff800000
	s_branch .LBB70_12
.LBB70_11:                              ;   in Loop: Header=BB70_12 Depth=1
	s_or_b64 exec, exec, s[2:3]
	s_add_i32 s11, s11, -1
	v_add_u32_e32 v9, s22, v9
	v_add_u32_e32 v10, 1, v10
	v_add_u32_e32 v12, 1, v12
	s_cmp_eq_u32 s11, 0
	v_add_u32_e32 v14, 1, v14
	s_cbranch_scc1 .LBB70_16
.LBB70_12:                              ; =>This Inner Loop Header: Depth=1
	v_cmp_gt_f32_e64 s[0:1], v5, v4
	v_cndmask_b32_e64 v13, v4, v5, s[0:1]
	v_cndmask_b32_e64 v11, v19, v20, s[0:1]
	v_cmp_gt_f32_e64 s[0:1], v6, v13
	v_cndmask_b32_e64 v13, v13, v6, s[0:1]
	v_cndmask_b32_e64 v11, v11, v21, s[0:1]
	;; [unrolled: 3-line block ×7, first 2 shown]
	s_nop 0
	v_mov_b32_dpp v15, v11 quad_perm:[1,0,3,2] row_mask:0xf bank_mask:0xf
	v_mov_b32_dpp v29, v13 quad_perm:[1,0,3,2] row_mask:0xf bank_mask:0xf
	v_cmp_eq_f32_e64 s[2:3], v13, v29
	v_cmp_lt_i32_e64 s[4:5], v15, v11
	v_cmp_lt_f32_e64 s[0:1], v13, v29
	s_and_b64 s[2:3], s[2:3], s[4:5]
	s_or_b64 s[0:1], s[0:1], s[2:3]
	v_cndmask_b32_e64 v13, v13, v29, s[0:1]
	v_cndmask_b32_e64 v15, v11, v15, s[0:1]
	s_nop 0
	v_mov_b32_dpp v11, v13 quad_perm:[2,3,0,1] row_mask:0xf bank_mask:0xf
	v_mov_b32_dpp v29, v15 quad_perm:[2,3,0,1] row_mask:0xf bank_mask:0xf
	v_cmp_eq_f32_e64 s[2:3], v13, v11
	v_cmp_lt_i32_e64 s[4:5], v29, v15
	v_cmp_lt_f32_e64 s[0:1], v13, v11
	s_and_b64 s[2:3], s[2:3], s[4:5]
	s_or_b64 s[0:1], s[0:1], s[2:3]
	v_cndmask_b32_e64 v11, v13, v11, s[0:1]
	v_cndmask_b32_e64 v15, v15, v29, s[0:1]
	s_nop 0
	v_mov_b32_dpp v13, v11 row_half_mirror row_mask:0xf bank_mask:0xf
	v_mov_b32_dpp v29, v15 row_half_mirror row_mask:0xf bank_mask:0xf
	v_cmp_eq_f32_e64 s[2:3], v11, v13
	v_cmp_lt_i32_e64 s[4:5], v29, v15
	v_cmp_lt_f32_e64 s[0:1], v11, v13
	s_and_b64 s[2:3], s[2:3], s[4:5]
	s_or_b64 s[0:1], s[0:1], s[2:3]
	v_cndmask_b32_e64 v29, v15, v29, s[0:1]
	s_and_saveexec_b64 s[4:5], vcc
	s_cbranch_execz .LBB70_14
; %bb.13:                               ;   in Loop: Header=BB70_12 Depth=1
	v_cndmask_b32_e64 v11, v11, v13, s[0:1]
	v_sub_f32_e32 v11, v11, v18
	v_mul_f32_e32 v13, 0x3fb8aa3b, v11
	v_fma_f32 v15, v11, s20, -v13
	v_rndne_f32_e32 v30, v13
	v_fmac_f32_e32 v15, 0x32a5705f, v11
	v_sub_f32_e32 v13, v13, v30
	v_add_f32_e32 v13, v13, v15
	v_exp_f32_e32 v13, v13
	v_cvt_i32_f32_e32 v15, v30
	v_cmp_le_i32_e64 s[0:1], s9, v29
	v_cmp_gt_i32_e64 s[2:3], s10, v29
	s_and_b64 s[2:3], s[0:1], s[2:3]
	v_ldexp_f32 v13, v13, v15
	v_cmp_ngt_f32_e64 s[0:1], s21, v11
	v_ashrrev_i32_e32 v15, 31, v14
	v_cndmask_b32_e64 v13, 0, v13, s[0:1]
	v_cmp_nlt_f32_e64 s[0:1], s23, v11
	v_lshlrev_b64 v[30:31], 2, v[14:15]
	v_cndmask_b32_e64 v32, v27, v13, s[0:1]
	v_mov_b32_e32 v11, s17
	v_add_co_u32_e64 v30, s[0:1], s16, v30
	v_addc_co_u32_e64 v31, s[0:1], v11, v31, s[0:1]
	v_ashrrev_i32_e32 v13, 31, v12
	global_store_dword v[30:31], v32, off
	v_subrev_u32_e32 v11, s9, v29
	s_and_b64 s[0:1], s[18:19], s[2:3]
	v_lshlrev_b64 v[30:31], 2, v[12:13]
	v_cndmask_b32_e64 v11, 64, v11, s[0:1]
	s_waitcnt lgkmcnt(0)
	v_mov_b32_e32 v13, s13
	v_add_co_u32_e64 v30, s[0:1], s12, v30
	v_addc_co_u32_e64 v31, s[0:1], v13, v31, s[0:1]
	global_store_dword v[30:31], v11, off
	v_ashrrev_i32_e32 v11, 31, v10
	v_lshlrev_b64 v[30:31], 2, v[10:11]
	v_mov_b32_e32 v11, s15
	v_add_co_u32_e64 v30, s[0:1], s14, v30
	v_addc_co_u32_e64 v31, s[0:1], v11, v31, s[0:1]
	v_add_f32_e32 v17, v17, v32
	global_store_dword v[30:31], v9, off
.LBB70_14:                              ;   in Loop: Header=BB70_12 Depth=1
	s_or_b64 exec, exec, s[4:5]
	v_ashrrev_i32_e32 v13, 31, v29
	v_lshrrev_b32_e32 v11, 29, v13
	v_add_u32_e32 v11, v29, v11
	v_ashrrev_i32_e32 v11, 3, v11
	v_lshrrev_b32_e32 v15, 29, v11
	v_add_u32_e32 v15, v11, v15
	v_and_b32_e32 v15, -8, v15
	v_sub_u32_e32 v15, v11, v15
	v_cmp_eq_u32_e64 s[0:1], v16, v15
	s_and_saveexec_b64 s[2:3], s[0:1]
	s_cbranch_execz .LBB70_11
; %bb.15:                               ;   in Loop: Header=BB70_12 Depth=1
	v_lshrrev_b32_e32 v13, 26, v13
	v_add_u32_e32 v13, v29, v13
	v_lshlrev_b32_e32 v11, 3, v11
	v_ashrrev_i32_e32 v13, 6, v13
	v_sub_u32_e32 v11, v29, v11
	v_lshl_add_u32 v11, v13, 3, v11
	v_cmp_ne_u32_e64 s[0:1], 7, v11
	v_cndmask_b32_e64 v3, v28, v3, s[0:1]
	v_cmp_ne_u32_e64 s[0:1], 6, v11
	v_cndmask_b32_e64 v2, v28, v2, s[0:1]
	;; [unrolled: 2-line block ×8, first 2 shown]
	s_branch .LBB70_11
.LBB70_16:
	v_sub_f32_e32 v4, v4, v18
	s_mov_b32 s0, 0x3fb8aa3b
	v_mul_f32_e32 v9, 0x3fb8aa3b, v4
	v_fma_f32 v10, v4, s0, -v9
	v_rndne_f32_e32 v11, v9
	v_fmac_f32_e32 v10, 0x32a5705f, v4
	v_sub_f32_e32 v9, v9, v11
	v_add_f32_e32 v9, v9, v10
	v_exp_f32_e32 v9, v9
	v_cvt_i32_f32_e32 v10, v11
	v_sub_f32_e32 v5, v5, v18
	s_mov_b32 s1, 0xc2ce8ed0
	v_cmp_ngt_f32_e32 vcc, s1, v4
	v_ldexp_f32 v9, v9, v10
	v_mul_f32_e32 v10, 0x3fb8aa3b, v5
	v_fma_f32 v11, v5, s0, -v10
	v_rndne_f32_e32 v12, v10
	v_fmac_f32_e32 v11, 0x32a5705f, v5
	v_sub_f32_e32 v10, v10, v12
	v_add_f32_e32 v10, v10, v11
	v_exp_f32_e32 v10, v10
	v_cvt_i32_f32_e32 v11, v12
	s_mov_b32 s2, 0x42b17218
	v_cndmask_b32_e32 v9, 0, v9, vcc
	v_mov_b32_e32 v12, 0x7f800000
	v_cmp_nlt_f32_e32 vcc, s2, v4
	v_sub_f32_e32 v6, v6, v18
	v_cndmask_b32_e32 v4, v12, v9, vcc
	v_ldexp_f32 v9, v10, v11
	v_mul_f32_e32 v10, 0x3fb8aa3b, v6
	v_fma_f32 v11, v6, s0, -v10
	v_rndne_f32_e32 v13, v10
	v_fmac_f32_e32 v11, 0x32a5705f, v6
	v_sub_f32_e32 v10, v10, v13
	v_add_f32_e32 v10, v10, v11
	v_exp_f32_e32 v10, v10
	v_cvt_i32_f32_e32 v11, v13
	v_cmp_ngt_f32_e32 vcc, s1, v5
	v_cndmask_b32_e32 v9, 0, v9, vcc
	v_cmp_nlt_f32_e32 vcc, s2, v5
	v_sub_f32_e32 v7, v7, v18
	v_cndmask_b32_e32 v5, v12, v9, vcc
	v_mul_f32_e32 v9, 0x3fb8aa3b, v7
	v_add_f32_e32 v4, v4, v5
	v_ldexp_f32 v5, v10, v11
	v_fma_f32 v10, v7, s0, -v9
	v_rndne_f32_e32 v11, v9
	v_fmac_f32_e32 v10, 0x32a5705f, v7
	v_sub_f32_e32 v9, v9, v11
	v_add_f32_e32 v9, v9, v10
	v_exp_f32_e32 v9, v9
	v_cvt_i32_f32_e32 v10, v11
	v_cmp_ngt_f32_e32 vcc, s1, v6
	v_cndmask_b32_e32 v5, 0, v5, vcc
	v_cmp_nlt_f32_e32 vcc, s2, v6
	v_sub_f32_e32 v0, v0, v18
	v_cndmask_b32_e32 v5, v12, v5, vcc
	v_mul_f32_e32 v6, 0x3fb8aa3b, v0
	v_add_f32_e32 v4, v4, v5
	v_ldexp_f32 v5, v9, v10
	v_fma_f32 v9, v0, s0, -v6
	v_rndne_f32_e32 v10, v6
	v_fmac_f32_e32 v9, 0x32a5705f, v0
	v_sub_f32_e32 v6, v6, v10
	v_add_f32_e32 v6, v6, v9
	v_exp_f32_e32 v6, v6
	v_cvt_i32_f32_e32 v9, v10
	v_cmp_ngt_f32_e32 vcc, s1, v7
	v_cndmask_b32_e32 v5, 0, v5, vcc
	v_cmp_nlt_f32_e32 vcc, s2, v7
	v_cndmask_b32_e32 v5, v12, v5, vcc
	v_sub_f32_e32 v1, v1, v18
	v_add_f32_e32 v4, v4, v5
	v_ldexp_f32 v5, v6, v9
	v_mul_f32_e32 v6, 0x3fb8aa3b, v1
	v_fma_f32 v7, v1, s0, -v6
	v_rndne_f32_e32 v9, v6
	v_fmac_f32_e32 v7, 0x32a5705f, v1
	v_sub_f32_e32 v6, v6, v9
	v_add_f32_e32 v6, v6, v7
	v_exp_f32_e32 v6, v6
	v_cvt_i32_f32_e32 v7, v9
	v_cmp_ngt_f32_e32 vcc, s1, v0
	v_cndmask_b32_e32 v5, 0, v5, vcc
	v_cmp_nlt_f32_e32 vcc, s2, v0
	v_sub_f32_e32 v2, v2, v18
	v_cndmask_b32_e32 v0, v12, v5, vcc
	v_mul_f32_e32 v5, 0x3fb8aa3b, v2
	v_add_f32_e32 v0, v4, v0
	v_ldexp_f32 v4, v6, v7
	v_fma_f32 v6, v2, s0, -v5
	v_rndne_f32_e32 v7, v5
	v_fmac_f32_e32 v6, 0x32a5705f, v2
	v_sub_f32_e32 v5, v5, v7
	v_add_f32_e32 v5, v5, v6
	v_exp_f32_e32 v5, v5
	v_cvt_i32_f32_e32 v6, v7
	v_cmp_ngt_f32_e32 vcc, s1, v1
	v_cndmask_b32_e32 v4, 0, v4, vcc
	v_cmp_nlt_f32_e32 vcc, s2, v1
	v_sub_f32_e32 v3, v3, v18
	v_cndmask_b32_e32 v1, v12, v4, vcc
	v_mul_f32_e32 v4, 0x3fb8aa3b, v3
	v_add_f32_e32 v0, v0, v1
	v_ldexp_f32 v1, v5, v6
	v_fma_f32 v5, v3, s0, -v4
	v_rndne_f32_e32 v6, v4
	v_fmac_f32_e32 v5, 0x32a5705f, v3
	v_sub_f32_e32 v4, v4, v6
	v_add_f32_e32 v4, v4, v5
	v_exp_f32_e32 v4, v4
	v_cvt_i32_f32_e32 v5, v6
	v_cmp_ngt_f32_e32 vcc, s1, v2
	v_cndmask_b32_e32 v1, 0, v1, vcc
	v_cmp_nlt_f32_e32 vcc, s2, v2
	v_cndmask_b32_e32 v1, v12, v1, vcc
	v_add_f32_e32 v0, v0, v1
	v_ldexp_f32 v1, v4, v5
	v_cmp_ngt_f32_e32 vcc, s1, v3
	v_cndmask_b32_e32 v1, 0, v1, vcc
	v_cmp_nlt_f32_e32 vcc, s2, v3
	v_cndmask_b32_e32 v1, v12, v1, vcc
	v_add_f32_e32 v0, v0, v1
	v_cmp_eq_u32_e32 vcc, 0, v16
	s_nop 0
	v_mov_b32_dpp v1, v0 quad_perm:[1,0,3,2] row_mask:0xf bank_mask:0xf
	v_add_f32_e32 v0, v0, v1
	s_nop 1
	v_mov_b32_dpp v1, v0 quad_perm:[2,3,0,1] row_mask:0xf bank_mask:0xf
	v_add_f32_e32 v0, v0, v1
	s_nop 1
	v_mov_b32_dpp v1, v0 row_half_mirror row_mask:0xf bank_mask:0xf
	s_and_b64 exec, exec, vcc
	s_cbranch_execz .LBB70_29
; %bb.17:
	v_add_f32_e32 v0, v0, v1
	v_add_f32_e32 v0, v17, v0
	v_cmp_neq_f32_e32 vcc, 0, v0
	s_and_b64 exec, exec, vcc
	s_cbranch_execz .LBB70_29
; %bb.18:
	s_andn2_b64 vcc, exec, s[6:7]
	s_cbranch_vccnz .LBB70_29
; %bb.19:
	v_div_scale_f32 v1, s[0:1], v0, v0, 1.0
	v_rcp_f32_e32 v2, v1
	v_div_scale_f32 v3, vcc, 1.0, v0, 1.0
	s_cmp_gt_u32 s8, 3
	v_fma_f32 v4, -v1, v2, 1.0
	v_fmac_f32_e32 v2, v4, v2
	v_mul_f32_e32 v4, v3, v2
	v_fma_f32 v5, -v1, v4, v3
	v_fmac_f32_e32 v4, v5, v2
	v_fma_f32 v1, -v1, v4, v3
	v_div_fmas_f32 v1, v1, v2, v4
	v_div_fixup_f32 v0, v1, v0, 1.0
	v_ashrrev_i32_e32 v9, 31, v8
	s_cbranch_scc0 .LBB70_23
; %bb.20:
	v_lshlrev_b64 v[2:3], 2, v[8:9]
	v_mov_b32_e32 v4, s17
	v_add_co_u32_e32 v2, vcc, s16, v2
	v_addc_co_u32_e32 v3, vcc, v3, v4, vcc
	s_and_b32 s4, s8, 0x7ffffffc
	v_add_co_u32_e32 v2, vcc, 8, v2
	v_mov_b32_e32 v1, v0
	v_addc_co_u32_e32 v3, vcc, 0, v3, vcc
	s_mov_b32 s0, s4
.LBB70_21:                              ; =>This Inner Loop Header: Depth=1
	global_load_dwordx4 v[4:7], v[2:3], off offset:-8
	s_add_i32 s0, s0, -4
	s_cmp_lg_u32 s0, 0
	s_waitcnt vmcnt(0)
	v_pk_mul_f32 v[4:5], v[0:1], v[4:5]
	v_pk_mul_f32 v[6:7], v[0:1], v[6:7]
	global_store_dwordx4 v[2:3], v[4:7], off offset:-8
	v_add_co_u32_e32 v2, vcc, 16, v2
	v_addc_co_u32_e32 v3, vcc, 0, v3, vcc
	s_cbranch_scc1 .LBB70_21
; %bb.22:
	s_cmp_lg_u32 s4, s8
	s_mov_b64 s[2:3], 0
	s_cselect_b64 s[0:1], -1, 0
	s_branch .LBB70_24
.LBB70_23:
	s_mov_b64 s[2:3], -1
	s_mov_b64 s[0:1], 0
                                        ; implicit-def: $sgpr4
.LBB70_24:
	s_and_b64 vcc, exec, s[2:3]
	s_cbranch_vccz .LBB70_26
; %bb.25:
	s_mov_b64 s[0:1], -1
	s_mov_b32 s4, 0
.LBB70_26:
	s_andn2_b64 vcc, exec, s[0:1]
	s_cbranch_vccnz .LBB70_29
; %bb.27:
	v_add_co_u32_e32 v2, vcc, s4, v8
	v_addc_co_u32_e32 v3, vcc, 0, v9, vcc
	v_lshlrev_b64 v[2:3], 2, v[2:3]
	v_mov_b32_e32 v1, s17
	v_add_co_u32_e32 v2, vcc, s16, v2
	s_sub_i32 s0, s8, s4
	v_addc_co_u32_e32 v3, vcc, v1, v3, vcc
.LBB70_28:                              ; =>This Inner Loop Header: Depth=1
	global_load_dword v1, v[2:3], off
	s_add_i32 s0, s0, -1
	s_cmp_lg_u32 s0, 0
	s_waitcnt vmcnt(0)
	v_mul_f32_e32 v1, v0, v1
	global_store_dword v[2:3], v1, off
	v_add_co_u32_e32 v2, vcc, 4, v2
	v_addc_co_u32_e32 v3, vcc, 0, v3, vcc
	s_cbranch_scc1 .LBB70_28
.LBB70_29:
	s_endpgm
	.section	.rodata,"a",@progbits
	.p2align	6, 0x0
	.amdhsa_kernel _ZN4vllm3moe17topkGatingSoftmaxIfLi8ELi64ELi8ELi32ELb0ELi8ELNS0_23SharedExpertScoringFuncE1EEEvPKT_PKbPfiPiS9_iiiiii
		.amdhsa_group_segment_fixed_size 0
		.amdhsa_private_segment_fixed_size 0
		.amdhsa_kernarg_size 72
		.amdhsa_user_sgpr_count 6
		.amdhsa_user_sgpr_private_segment_buffer 1
		.amdhsa_user_sgpr_dispatch_ptr 0
		.amdhsa_user_sgpr_queue_ptr 0
		.amdhsa_user_sgpr_kernarg_segment_ptr 1
		.amdhsa_user_sgpr_dispatch_id 0
		.amdhsa_user_sgpr_flat_scratch_init 0
		.amdhsa_user_sgpr_kernarg_preload_length 0
		.amdhsa_user_sgpr_kernarg_preload_offset 0
		.amdhsa_user_sgpr_private_segment_size 0
		.amdhsa_uses_dynamic_stack 0
		.amdhsa_system_sgpr_private_segment_wavefront_offset 0
		.amdhsa_system_sgpr_workgroup_id_x 1
		.amdhsa_system_sgpr_workgroup_id_y 0
		.amdhsa_system_sgpr_workgroup_id_z 0
		.amdhsa_system_sgpr_workgroup_info 0
		.amdhsa_system_vgpr_workitem_id 1
		.amdhsa_next_free_vgpr 34
		.amdhsa_next_free_sgpr 24
		.amdhsa_accum_offset 36
		.amdhsa_reserve_vcc 1
		.amdhsa_reserve_flat_scratch 0
		.amdhsa_float_round_mode_32 0
		.amdhsa_float_round_mode_16_64 0
		.amdhsa_float_denorm_mode_32 3
		.amdhsa_float_denorm_mode_16_64 3
		.amdhsa_dx10_clamp 1
		.amdhsa_ieee_mode 1
		.amdhsa_fp16_overflow 0
		.amdhsa_tg_split 0
		.amdhsa_exception_fp_ieee_invalid_op 0
		.amdhsa_exception_fp_denorm_src 0
		.amdhsa_exception_fp_ieee_div_zero 0
		.amdhsa_exception_fp_ieee_overflow 0
		.amdhsa_exception_fp_ieee_underflow 0
		.amdhsa_exception_fp_ieee_inexact 0
		.amdhsa_exception_int_div_zero 0
	.end_amdhsa_kernel
	.section	.text._ZN4vllm3moe17topkGatingSoftmaxIfLi8ELi64ELi8ELi32ELb0ELi8ELNS0_23SharedExpertScoringFuncE1EEEvPKT_PKbPfiPiS9_iiiiii,"axG",@progbits,_ZN4vllm3moe17topkGatingSoftmaxIfLi8ELi64ELi8ELi32ELb0ELi8ELNS0_23SharedExpertScoringFuncE1EEEvPKT_PKbPfiPiS9_iiiiii,comdat
.Lfunc_end70:
	.size	_ZN4vllm3moe17topkGatingSoftmaxIfLi8ELi64ELi8ELi32ELb0ELi8ELNS0_23SharedExpertScoringFuncE1EEEvPKT_PKbPfiPiS9_iiiiii, .Lfunc_end70-_ZN4vllm3moe17topkGatingSoftmaxIfLi8ELi64ELi8ELi32ELb0ELi8ELNS0_23SharedExpertScoringFuncE1EEEvPKT_PKbPfiPiS9_iiiiii
                                        ; -- End function
	.section	.AMDGPU.csdata,"",@progbits
; Kernel info:
; codeLenInByte = 3352
; NumSgprs: 28
; NumVgprs: 34
; NumAgprs: 0
; TotalNumVgprs: 34
; ScratchSize: 0
; MemoryBound: 0
; FloatMode: 240
; IeeeMode: 1
; LDSByteSize: 0 bytes/workgroup (compile time only)
; SGPRBlocks: 3
; VGPRBlocks: 4
; NumSGPRsForWavesPerEU: 28
; NumVGPRsForWavesPerEU: 34
; AccumOffset: 36
; Occupancy: 8
; WaveLimiterHint : 0
; COMPUTE_PGM_RSRC2:SCRATCH_EN: 0
; COMPUTE_PGM_RSRC2:USER_SGPR: 6
; COMPUTE_PGM_RSRC2:TRAP_HANDLER: 0
; COMPUTE_PGM_RSRC2:TGID_X_EN: 1
; COMPUTE_PGM_RSRC2:TGID_Y_EN: 0
; COMPUTE_PGM_RSRC2:TGID_Z_EN: 0
; COMPUTE_PGM_RSRC2:TIDIG_COMP_CNT: 1
; COMPUTE_PGM_RSRC3_GFX90A:ACCUM_OFFSET: 8
; COMPUTE_PGM_RSRC3_GFX90A:TG_SPLIT: 0
	.section	.text._ZN4vllm3moe17topkGatingSoftmaxIfLi8ELi128ELi8ELi32ELb1ELi0ELNS0_23SharedExpertScoringFuncE0EEEvPKT_PKbPfiPiS9_iiiiii,"axG",@progbits,_ZN4vllm3moe17topkGatingSoftmaxIfLi8ELi128ELi8ELi32ELb1ELi0ELNS0_23SharedExpertScoringFuncE0EEEvPKT_PKbPfiPiS9_iiiiii,comdat
	.protected	_ZN4vllm3moe17topkGatingSoftmaxIfLi8ELi128ELi8ELi32ELb1ELi0ELNS0_23SharedExpertScoringFuncE0EEEvPKT_PKbPfiPiS9_iiiiii ; -- Begin function _ZN4vllm3moe17topkGatingSoftmaxIfLi8ELi128ELi8ELi32ELb1ELi0ELNS0_23SharedExpertScoringFuncE0EEEvPKT_PKbPfiPiS9_iiiiii
	.globl	_ZN4vllm3moe17topkGatingSoftmaxIfLi8ELi128ELi8ELi32ELb1ELi0ELNS0_23SharedExpertScoringFuncE0EEEvPKT_PKbPfiPiS9_iiiiii
	.p2align	8
	.type	_ZN4vllm3moe17topkGatingSoftmaxIfLi8ELi128ELi8ELi32ELb1ELi0ELNS0_23SharedExpertScoringFuncE0EEEvPKT_PKbPfiPiS9_iiiiii,@function
_ZN4vllm3moe17topkGatingSoftmaxIfLi8ELi128ELi8ELi32ELb1ELi0ELNS0_23SharedExpertScoringFuncE0EEEvPKT_PKbPfiPiS9_iiiiii: ; @_ZN4vllm3moe17topkGatingSoftmaxIfLi8ELi128ELi8ELi32ELb1ELi0ELNS0_23SharedExpertScoringFuncE0EEEvPKT_PKbPfiPiS9_iiiiii
; %bb.0:
	s_load_dword s24, s[4:5], 0x18
	v_bfe_u32 v1, v0, 10, 10
	v_and_b32_e32 v0, 0x3ff, v0
	s_lshl_b32 s25, s6, 5
	v_lshlrev_b32_e32 v26, 2, v1
	v_lshrrev_b32_e32 v27, 4, v0
	v_add3_u32 v14, s25, v26, v27
	s_waitcnt lgkmcnt(0)
	v_cmp_gt_i32_e32 vcc, s24, v14
	s_and_saveexec_b64 s[0:1], vcc
	s_cbranch_execz .LBB71_27
; %bb.1:
	s_load_dwordx4 s[0:3], s[4:5], 0x0
	s_load_dwordx2 s[16:17], s[4:5], 0x10
	s_waitcnt lgkmcnt(0)
	s_cmp_eq_u64 s[2:3], 0
	s_cbranch_scc1 .LBB71_3
; %bb.2:
	v_ashrrev_i32_e32 v1, 31, v14
	v_mov_b32_e32 v3, s3
	v_add_co_u32_e32 v2, vcc, s2, v14
	v_addc_co_u32_e32 v3, vcc, v3, v1, vcc
	global_load_ubyte v1, v[2:3], off
	s_waitcnt vmcnt(0)
	v_and_b32_e32 v1, 1, v1
	v_cmp_eq_u32_e32 vcc, 1, v1
	s_xor_b64 s[2:3], vcc, -1
	s_orn2_b64 s[18:19], s[2:3], exec
	s_branch .LBB71_4
.LBB71_3:
	s_mov_b64 s[18:19], -1
.LBB71_4:
	s_load_dwordx2 s[22:23], s[4:5], 0x40
	s_load_dwordx4 s[8:11], s[4:5], 0x30
	v_mov_b32_e32 v1, s1
	v_and_b32_e32 v15, 15, v0
	v_lshlrev_b32_e32 v0, 5, v15
	s_waitcnt lgkmcnt(0)
	v_mul_lo_u32 v2, v14, s23
	v_ashrrev_i32_e32 v3, 31, v2
	v_lshlrev_b64 v[2:3], 2, v[2:3]
	v_add_co_u32_e32 v2, vcc, s0, v2
	v_addc_co_u32_e32 v1, vcc, v1, v3, vcc
	v_add_co_u32_e32 v8, vcc, v2, v0
	v_addc_co_u32_e32 v9, vcc, 0, v1, vcc
	global_load_dwordx4 v[0:3], v[8:9], off
	global_load_dwordx4 v[4:7], v[8:9], off offset:16
	v_lshlrev_b32_e32 v17, 3, v15
	v_or_b32_e32 v18, 1, v17
	v_or_b32_e32 v19, 2, v17
	;; [unrolled: 1-line block ×7, first 2 shown]
	v_mov_b32_e32 v16, 0
	s_waitcnt vmcnt(1)
	v_cmp_lt_f32_e32 vcc, v0, v1
	v_cndmask_b32_e32 v9, v0, v1, vcc
	v_cndmask_b32_e32 v8, v17, v18, vcc
	v_cmp_lt_f32_e32 vcc, v9, v2
	v_cndmask_b32_e32 v9, v9, v2, vcc
	v_cndmask_b32_e32 v8, v8, v19, vcc
	;; [unrolled: 3-line block ×3, first 2 shown]
	s_waitcnt vmcnt(0)
	v_cmp_lt_f32_e32 vcc, v9, v4
	v_cndmask_b32_e32 v9, v9, v4, vcc
	v_cndmask_b32_e32 v8, v8, v21, vcc
	v_cmp_lt_f32_e32 vcc, v9, v5
	v_cndmask_b32_e32 v9, v9, v5, vcc
	v_cndmask_b32_e32 v8, v8, v22, vcc
	;; [unrolled: 3-line block ×4, first 2 shown]
	s_nop 0
	v_mov_b32_dpp v10, v8 quad_perm:[1,0,3,2] row_mask:0xf bank_mask:0xf
	v_mov_b32_dpp v11, v9 quad_perm:[1,0,3,2] row_mask:0xf bank_mask:0xf
	v_cmp_lt_i32_e32 vcc, v10, v8
	v_cmp_eq_f32_e64 s[2:3], v9, v11
	v_cmp_lt_f32_e64 s[0:1], v9, v11
	s_and_b64 s[2:3], s[2:3], vcc
	s_or_b64 vcc, s[0:1], s[2:3]
	v_cndmask_b32_e32 v9, v9, v11, vcc
	v_cndmask_b32_e32 v8, v8, v10, vcc
	s_nop 0
	v_mov_b32_dpp v10, v9 quad_perm:[2,3,0,1] row_mask:0xf bank_mask:0xf
	v_mov_b32_dpp v11, v8 quad_perm:[2,3,0,1] row_mask:0xf bank_mask:0xf
	v_cmp_eq_f32_e64 s[0:1], v9, v10
	v_cmp_lt_i32_e64 s[2:3], v11, v8
	v_cmp_lt_f32_e32 vcc, v9, v10
	s_and_b64 s[0:1], s[0:1], s[2:3]
	s_or_b64 vcc, vcc, s[0:1]
	v_cndmask_b32_e32 v9, v9, v10, vcc
	v_cndmask_b32_e32 v10, v8, v11, vcc
	s_nop 0
	v_mov_b32_dpp v8, v9 row_half_mirror row_mask:0xf bank_mask:0xf
	v_mov_b32_dpp v11, v10 row_half_mirror row_mask:0xf bank_mask:0xf
	v_cmp_eq_f32_e64 s[0:1], v9, v8
	v_cmp_lt_i32_e64 s[2:3], v11, v10
	v_cmp_lt_f32_e32 vcc, v9, v8
	s_and_b64 s[0:1], s[0:1], s[2:3]
	s_or_b64 vcc, vcc, s[0:1]
	v_cndmask_b32_e32 v8, v9, v8, vcc
	v_cndmask_b32_e32 v9, v10, v11, vcc
	s_cmp_gt_i32 s8, 0
	v_mov_b32_dpp v10, v8 row_mirror row_mask:0xf bank_mask:0xf
	v_mov_b32_dpp v11, v9 row_mirror row_mask:0xf bank_mask:0xf
	s_cselect_b64 s[20:21], -1, 0
	s_cmp_lt_i32 s8, 1
	v_cmp_eq_u32_e32 vcc, 0, v15
	s_cbranch_scc1 .LBB71_16
; %bb.5:
	s_load_dwordx4 s[12:15], s[4:5], 0x20
	v_cmp_eq_f32_e64 s[2:3], v8, v10
	v_cmp_lt_i32_e64 s[6:7], v11, v9
	v_cmp_lt_f32_e64 s[0:1], v8, v10
	s_and_b64 s[2:3], s[2:3], s[6:7]
	s_or_b64 s[0:1], s[0:1], s[2:3]
	v_cndmask_b32_e64 v28, v9, v11, s[0:1]
	v_cndmask_b32_e64 v25, v8, v10, s[0:1]
	v_mul_lo_u32 v12, v14, s11
	v_mul_lo_u32 v10, v14, s22
	;; [unrolled: 1-line block ×3, first 2 shown]
	v_mov_b32_e32 v16, 0
	s_and_saveexec_b64 s[4:5], vcc
	s_cbranch_execz .LBB71_7
; %bb.6:
	v_sub_f32_e32 v9, v25, v25
	v_mul_f32_e32 v11, 0x3fb8aa3b, v9
	s_mov_b32 s0, 0x3fb8aa3b
	v_rndne_f32_e32 v13, v11
	v_sub_f32_e32 v16, v11, v13
	v_fma_f32 v11, v9, s0, -v11
	v_fmac_f32_e32 v11, 0x32a5705f, v9
	v_add_f32_e32 v11, v16, v11
	v_exp_f32_e32 v11, v11
	v_cvt_i32_f32_e32 v13, v13
	v_cmp_le_i32_e64 s[0:1], s9, v28
	v_cmp_gt_i32_e64 s[2:3], s10, v28
	s_and_b64 s[2:3], s[0:1], s[2:3]
	s_mov_b32 s0, 0xc2ce8ed0
	v_ldexp_f32 v11, v11, v13
	v_cmp_ngt_f32_e64 s[0:1], s0, v9
	v_cndmask_b32_e64 v11, 0, v11, s[0:1]
	s_mov_b32 s0, 0x42b17218
	v_mov_b32_e32 v13, 0x7f800000
	v_cmp_nlt_f32_e64 s[0:1], s0, v9
	v_cndmask_b32_e64 v16, v13, v11, s[0:1]
	v_ashrrev_i32_e32 v13, 31, v12
	v_lshlrev_b64 v[30:31], 2, v[12:13]
	v_mov_b32_e32 v9, s17
	v_add_co_u32_e64 v30, s[0:1], s16, v30
	v_addc_co_u32_e64 v31, s[0:1], v9, v31, s[0:1]
	v_subrev_u32_e32 v9, s9, v28
	v_mov_b32_e32 v11, 0x80
	s_and_b64 s[0:1], s[18:19], s[2:3]
	v_cndmask_b32_e64 v9, v11, v9, s[0:1]
	v_ashrrev_i32_e32 v11, 31, v10
	global_store_dword v[30:31], v16, off
	v_lshlrev_b64 v[30:31], 2, v[10:11]
	s_waitcnt lgkmcnt(0)
	v_mov_b32_e32 v11, s13
	v_add_co_u32_e64 v30, s[0:1], s12, v30
	v_addc_co_u32_e64 v31, s[0:1], v11, v31, s[0:1]
	global_store_dword v[30:31], v9, off
	v_ashrrev_i32_e32 v9, 31, v8
	v_lshlrev_b64 v[30:31], 2, v[8:9]
	v_mov_b32_e32 v9, s15
	v_add_co_u32_e64 v30, s[0:1], s14, v30
	v_addc_co_u32_e64 v31, s[0:1], v9, v31, s[0:1]
	global_store_dword v[30:31], v14, off
.LBB71_7:
	s_or_b64 exec, exec, s[4:5]
	v_ashrrev_i32_e32 v11, 31, v28
	v_lshrrev_b32_e32 v9, 29, v11
	v_add_u32_e32 v9, v28, v9
	v_ashrrev_i32_e32 v9, 3, v9
	v_lshrrev_b32_e32 v13, 28, v9
	v_add_u32_e32 v13, v9, v13
	v_and_b32_e32 v13, -16, v13
	v_sub_u32_e32 v13, v9, v13
	v_cmp_eq_u32_e64 s[0:1], v15, v13
	s_and_saveexec_b64 s[2:3], s[0:1]
	s_cbranch_execz .LBB71_9
; %bb.8:
	v_lshrrev_b32_e32 v11, 25, v11
	v_add_u32_e32 v11, v28, v11
	v_lshlrev_b32_e32 v9, 3, v9
	v_ashrrev_i32_e32 v11, 7, v11
	v_sub_u32_e32 v9, v28, v9
	v_lshl_add_u32 v9, v11, 3, v9
	v_mov_b32_e32 v11, 0xff800000
	v_cmp_ne_u32_e64 s[0:1], 7, v9
	v_cndmask_b32_e64 v7, v11, v7, s[0:1]
	v_cmp_ne_u32_e64 s[0:1], 6, v9
	v_cndmask_b32_e64 v6, v11, v6, s[0:1]
	;; [unrolled: 2-line block ×8, first 2 shown]
.LBB71_9:
	s_or_b64 exec, exec, s[2:3]
	s_cmp_eq_u32 s8, 1
	s_cbranch_scc1 .LBB71_16
; %bb.10:
	s_add_i32 s25, s25, s24
	s_add_i32 s6, s8, -1
	v_add3_u32 v26, s25, v27, v26
	v_add_u32_e32 v8, 1, v8
	v_add_u32_e32 v10, 1, v10
	;; [unrolled: 1-line block ×3, first 2 shown]
	s_mov_b32 s7, 0x3fb8aa3b
	s_mov_b32 s22, 0xc2ce8ed0
	;; [unrolled: 1-line block ×3, first 2 shown]
	v_mov_b32_e32 v27, 0x7f800000
	v_mov_b32_e32 v28, 0x80
	;; [unrolled: 1-line block ×3, first 2 shown]
	s_branch .LBB71_12
.LBB71_11:                              ;   in Loop: Header=BB71_12 Depth=1
	s_or_b64 exec, exec, s[2:3]
	s_add_i32 s6, s6, -1
	v_add_u32_e32 v26, s24, v26
	v_add_u32_e32 v8, 1, v8
	;; [unrolled: 1-line block ×3, first 2 shown]
	s_cmp_eq_u32 s6, 0
	v_add_u32_e32 v12, 1, v12
	s_cbranch_scc1 .LBB71_16
.LBB71_12:                              ; =>This Inner Loop Header: Depth=1
	v_cmp_gt_f32_e64 s[0:1], v1, v0
	v_cndmask_b32_e64 v11, v0, v1, s[0:1]
	v_cndmask_b32_e64 v9, v17, v18, s[0:1]
	v_cmp_gt_f32_e64 s[0:1], v2, v11
	v_cndmask_b32_e64 v11, v11, v2, s[0:1]
	v_cndmask_b32_e64 v9, v9, v19, s[0:1]
	;; [unrolled: 3-line block ×7, first 2 shown]
	s_nop 0
	v_mov_b32_dpp v13, v9 quad_perm:[1,0,3,2] row_mask:0xf bank_mask:0xf
	v_mov_b32_dpp v30, v11 quad_perm:[1,0,3,2] row_mask:0xf bank_mask:0xf
	v_cmp_eq_f32_e64 s[2:3], v11, v30
	v_cmp_lt_i32_e64 s[4:5], v13, v9
	v_cmp_lt_f32_e64 s[0:1], v11, v30
	s_and_b64 s[2:3], s[2:3], s[4:5]
	s_or_b64 s[0:1], s[0:1], s[2:3]
	v_cndmask_b32_e64 v11, v11, v30, s[0:1]
	v_cndmask_b32_e64 v9, v9, v13, s[0:1]
	s_nop 0
	v_mov_b32_dpp v30, v11 quad_perm:[2,3,0,1] row_mask:0xf bank_mask:0xf
	v_mov_b32_dpp v13, v9 quad_perm:[2,3,0,1] row_mask:0xf bank_mask:0xf
	v_cmp_eq_f32_e64 s[2:3], v11, v30
	v_cmp_lt_i32_e64 s[4:5], v13, v9
	v_cmp_lt_f32_e64 s[0:1], v11, v30
	s_and_b64 s[2:3], s[2:3], s[4:5]
	s_or_b64 s[0:1], s[0:1], s[2:3]
	v_cndmask_b32_e64 v11, v11, v30, s[0:1]
	v_cndmask_b32_e64 v13, v9, v13, s[0:1]
	s_nop 0
	v_mov_b32_dpp v9, v11 row_half_mirror row_mask:0xf bank_mask:0xf
	v_mov_b32_dpp v30, v13 row_half_mirror row_mask:0xf bank_mask:0xf
	v_cmp_eq_f32_e64 s[2:3], v11, v9
	v_cmp_lt_i32_e64 s[4:5], v30, v13
	v_cmp_lt_f32_e64 s[0:1], v11, v9
	s_and_b64 s[2:3], s[2:3], s[4:5]
	s_or_b64 s[0:1], s[0:1], s[2:3]
	v_cndmask_b32_e64 v9, v11, v9, s[0:1]
	v_cndmask_b32_e64 v13, v13, v30, s[0:1]
	s_nop 0
	v_mov_b32_dpp v11, v9 row_mirror row_mask:0xf bank_mask:0xf
	v_mov_b32_dpp v30, v13 row_mirror row_mask:0xf bank_mask:0xf
	v_cmp_eq_f32_e64 s[2:3], v9, v11
	v_cmp_lt_i32_e64 s[4:5], v30, v13
	v_cmp_lt_f32_e64 s[0:1], v9, v11
	s_and_b64 s[2:3], s[2:3], s[4:5]
	s_or_b64 s[0:1], s[0:1], s[2:3]
	v_cndmask_b32_e64 v30, v13, v30, s[0:1]
	s_and_saveexec_b64 s[4:5], vcc
	s_cbranch_execz .LBB71_14
; %bb.13:                               ;   in Loop: Header=BB71_12 Depth=1
	v_cndmask_b32_e64 v9, v9, v11, s[0:1]
	v_sub_f32_e32 v9, v9, v25
	v_mul_f32_e32 v11, 0x3fb8aa3b, v9
	v_fma_f32 v13, v9, s7, -v11
	v_rndne_f32_e32 v31, v11
	v_fmac_f32_e32 v13, 0x32a5705f, v9
	v_sub_f32_e32 v11, v11, v31
	v_add_f32_e32 v11, v11, v13
	v_exp_f32_e32 v11, v11
	v_cvt_i32_f32_e32 v13, v31
	v_cmp_le_i32_e64 s[0:1], s9, v30
	v_cmp_gt_i32_e64 s[2:3], s10, v30
	s_and_b64 s[2:3], s[0:1], s[2:3]
	v_ldexp_f32 v11, v11, v13
	v_cmp_ngt_f32_e64 s[0:1], s22, v9
	v_ashrrev_i32_e32 v13, 31, v12
	v_cndmask_b32_e64 v11, 0, v11, s[0:1]
	v_cmp_nlt_f32_e64 s[0:1], s23, v9
	v_lshlrev_b64 v[32:33], 2, v[12:13]
	v_cndmask_b32_e64 v31, v27, v11, s[0:1]
	v_mov_b32_e32 v9, s17
	v_add_co_u32_e64 v32, s[0:1], s16, v32
	v_addc_co_u32_e64 v33, s[0:1], v9, v33, s[0:1]
	v_ashrrev_i32_e32 v11, 31, v10
	global_store_dword v[32:33], v31, off
	v_subrev_u32_e32 v9, s9, v30
	s_and_b64 s[0:1], s[18:19], s[2:3]
	v_lshlrev_b64 v[32:33], 2, v[10:11]
	v_cndmask_b32_e64 v9, v28, v9, s[0:1]
	s_waitcnt lgkmcnt(0)
	v_mov_b32_e32 v11, s13
	v_add_co_u32_e64 v32, s[0:1], s12, v32
	v_addc_co_u32_e64 v33, s[0:1], v11, v33, s[0:1]
	global_store_dword v[32:33], v9, off
	v_ashrrev_i32_e32 v9, 31, v8
	v_lshlrev_b64 v[32:33], 2, v[8:9]
	v_mov_b32_e32 v9, s15
	v_add_co_u32_e64 v32, s[0:1], s14, v32
	v_addc_co_u32_e64 v33, s[0:1], v9, v33, s[0:1]
	v_add_f32_e32 v16, v16, v31
	global_store_dword v[32:33], v26, off
.LBB71_14:                              ;   in Loop: Header=BB71_12 Depth=1
	s_or_b64 exec, exec, s[4:5]
	v_ashrrev_i32_e32 v11, 31, v30
	v_lshrrev_b32_e32 v9, 29, v11
	v_add_u32_e32 v9, v30, v9
	v_ashrrev_i32_e32 v9, 3, v9
	v_lshrrev_b32_e32 v13, 28, v9
	v_add_u32_e32 v13, v9, v13
	v_and_b32_e32 v13, -16, v13
	v_sub_u32_e32 v13, v9, v13
	v_cmp_eq_u32_e64 s[0:1], v15, v13
	s_and_saveexec_b64 s[2:3], s[0:1]
	s_cbranch_execz .LBB71_11
; %bb.15:                               ;   in Loop: Header=BB71_12 Depth=1
	v_lshrrev_b32_e32 v11, 25, v11
	v_add_u32_e32 v11, v30, v11
	v_lshlrev_b32_e32 v9, 3, v9
	v_ashrrev_i32_e32 v11, 7, v11
	v_sub_u32_e32 v9, v30, v9
	v_lshl_add_u32 v9, v11, 3, v9
	v_cmp_ne_u32_e64 s[0:1], 7, v9
	v_cndmask_b32_e64 v7, v29, v7, s[0:1]
	v_cmp_ne_u32_e64 s[0:1], 6, v9
	v_cndmask_b32_e64 v6, v29, v6, s[0:1]
	;; [unrolled: 2-line block ×8, first 2 shown]
	s_branch .LBB71_11
.LBB71_16:
	v_cmp_eq_u32_e32 vcc, 0, v15
	v_cmp_neq_f32_e64 s[0:1], 0, v16
	s_and_b64 s[0:1], vcc, s[0:1]
	s_and_b64 exec, exec, s[0:1]
	s_cbranch_execz .LBB71_27
; %bb.17:
	s_andn2_b64 vcc, exec, s[20:21]
	s_cbranch_vccnz .LBB71_27
; %bb.18:
	v_div_scale_f32 v0, s[0:1], v16, v16, 1.0
	v_rcp_f32_e32 v1, v0
	v_div_scale_f32 v2, vcc, 1.0, v16, 1.0
	s_cmp_gt_u32 s8, 3
	v_fma_f32 v3, -v0, v1, 1.0
	v_fmac_f32_e32 v1, v3, v1
	v_mul_f32_e32 v3, v2, v1
	v_fma_f32 v4, -v0, v3, v2
	v_fmac_f32_e32 v3, v4, v1
	v_fma_f32 v0, -v0, v3, v2
	v_div_fmas_f32 v0, v0, v1, v3
	v_mul_lo_u32 v2, v14, s11
	v_div_fixup_f32 v0, v0, v16, 1.0
	v_ashrrev_i32_e32 v3, 31, v2
	s_cbranch_scc0 .LBB71_22
; %bb.19:
	v_lshlrev_b64 v[4:5], 2, v[2:3]
	v_mov_b32_e32 v6, s17
	v_add_co_u32_e32 v4, vcc, s16, v4
	v_addc_co_u32_e32 v5, vcc, v5, v6, vcc
	s_and_b32 s4, s8, 0x7ffffffc
	v_add_co_u32_e32 v4, vcc, 8, v4
	v_mov_b32_e32 v1, v0
	v_addc_co_u32_e32 v5, vcc, 0, v5, vcc
	s_mov_b32 s0, s4
.LBB71_20:                              ; =>This Inner Loop Header: Depth=1
	global_load_dwordx4 v[6:9], v[4:5], off offset:-8
	s_add_i32 s0, s0, -4
	s_cmp_lg_u32 s0, 0
	s_waitcnt vmcnt(0)
	v_pk_mul_f32 v[6:7], v[0:1], v[6:7]
	v_pk_mul_f32 v[8:9], v[0:1], v[8:9]
	global_store_dwordx4 v[4:5], v[6:9], off offset:-8
	v_add_co_u32_e32 v4, vcc, 16, v4
	v_addc_co_u32_e32 v5, vcc, 0, v5, vcc
	s_cbranch_scc1 .LBB71_20
; %bb.21:
	s_cmp_lg_u32 s4, s8
	s_cselect_b64 s[0:1], -1, 0
	s_branch .LBB71_24
.LBB71_22:
	s_mov_b64 s[0:1], 0
                                        ; implicit-def: $sgpr4
	s_cbranch_execz .LBB71_24
; %bb.23:
	s_mov_b64 s[0:1], -1
	s_mov_b32 s4, 0
.LBB71_24:
	s_andn2_b64 vcc, exec, s[0:1]
	s_cbranch_vccnz .LBB71_27
; %bb.25:
	v_add_co_u32_e32 v2, vcc, s4, v2
	v_addc_co_u32_e32 v3, vcc, 0, v3, vcc
	v_lshlrev_b64 v[2:3], 2, v[2:3]
	v_mov_b32_e32 v1, s17
	v_add_co_u32_e32 v2, vcc, s16, v2
	s_sub_i32 s0, s8, s4
	v_addc_co_u32_e32 v3, vcc, v1, v3, vcc
.LBB71_26:                              ; =>This Inner Loop Header: Depth=1
	global_load_dword v1, v[2:3], off
	s_add_i32 s0, s0, -1
	s_cmp_lg_u32 s0, 0
	s_waitcnt vmcnt(0)
	v_mul_f32_e32 v1, v0, v1
	global_store_dword v[2:3], v1, off
	v_add_co_u32_e32 v2, vcc, 4, v2
	v_addc_co_u32_e32 v3, vcc, 0, v3, vcc
	s_cbranch_scc1 .LBB71_26
.LBB71_27:
	s_endpgm
	.section	.rodata,"a",@progbits
	.p2align	6, 0x0
	.amdhsa_kernel _ZN4vllm3moe17topkGatingSoftmaxIfLi8ELi128ELi8ELi32ELb1ELi0ELNS0_23SharedExpertScoringFuncE0EEEvPKT_PKbPfiPiS9_iiiiii
		.amdhsa_group_segment_fixed_size 0
		.amdhsa_private_segment_fixed_size 0
		.amdhsa_kernarg_size 72
		.amdhsa_user_sgpr_count 6
		.amdhsa_user_sgpr_private_segment_buffer 1
		.amdhsa_user_sgpr_dispatch_ptr 0
		.amdhsa_user_sgpr_queue_ptr 0
		.amdhsa_user_sgpr_kernarg_segment_ptr 1
		.amdhsa_user_sgpr_dispatch_id 0
		.amdhsa_user_sgpr_flat_scratch_init 0
		.amdhsa_user_sgpr_kernarg_preload_length 0
		.amdhsa_user_sgpr_kernarg_preload_offset 0
		.amdhsa_user_sgpr_private_segment_size 0
		.amdhsa_uses_dynamic_stack 0
		.amdhsa_system_sgpr_private_segment_wavefront_offset 0
		.amdhsa_system_sgpr_workgroup_id_x 1
		.amdhsa_system_sgpr_workgroup_id_y 0
		.amdhsa_system_sgpr_workgroup_id_z 0
		.amdhsa_system_sgpr_workgroup_info 0
		.amdhsa_system_vgpr_workitem_id 1
		.amdhsa_next_free_vgpr 34
		.amdhsa_next_free_sgpr 26
		.amdhsa_accum_offset 36
		.amdhsa_reserve_vcc 1
		.amdhsa_reserve_flat_scratch 0
		.amdhsa_float_round_mode_32 0
		.amdhsa_float_round_mode_16_64 0
		.amdhsa_float_denorm_mode_32 3
		.amdhsa_float_denorm_mode_16_64 3
		.amdhsa_dx10_clamp 1
		.amdhsa_ieee_mode 1
		.amdhsa_fp16_overflow 0
		.amdhsa_tg_split 0
		.amdhsa_exception_fp_ieee_invalid_op 0
		.amdhsa_exception_fp_denorm_src 0
		.amdhsa_exception_fp_ieee_div_zero 0
		.amdhsa_exception_fp_ieee_overflow 0
		.amdhsa_exception_fp_ieee_underflow 0
		.amdhsa_exception_fp_ieee_inexact 0
		.amdhsa_exception_int_div_zero 0
	.end_amdhsa_kernel
	.section	.text._ZN4vllm3moe17topkGatingSoftmaxIfLi8ELi128ELi8ELi32ELb1ELi0ELNS0_23SharedExpertScoringFuncE0EEEvPKT_PKbPfiPiS9_iiiiii,"axG",@progbits,_ZN4vllm3moe17topkGatingSoftmaxIfLi8ELi128ELi8ELi32ELb1ELi0ELNS0_23SharedExpertScoringFuncE0EEEvPKT_PKbPfiPiS9_iiiiii,comdat
.Lfunc_end71:
	.size	_ZN4vllm3moe17topkGatingSoftmaxIfLi8ELi128ELi8ELi32ELb1ELi0ELNS0_23SharedExpertScoringFuncE0EEEvPKT_PKbPfiPiS9_iiiiii, .Lfunc_end71-_ZN4vllm3moe17topkGatingSoftmaxIfLi8ELi128ELi8ELi32ELb1ELi0ELNS0_23SharedExpertScoringFuncE0EEEvPKT_PKbPfiPiS9_iiiiii
                                        ; -- End function
	.section	.AMDGPU.csdata,"",@progbits
; Kernel info:
; codeLenInByte = 2528
; NumSgprs: 30
; NumVgprs: 34
; NumAgprs: 0
; TotalNumVgprs: 34
; ScratchSize: 0
; MemoryBound: 0
; FloatMode: 240
; IeeeMode: 1
; LDSByteSize: 0 bytes/workgroup (compile time only)
; SGPRBlocks: 3
; VGPRBlocks: 4
; NumSGPRsForWavesPerEU: 30
; NumVGPRsForWavesPerEU: 34
; AccumOffset: 36
; Occupancy: 8
; WaveLimiterHint : 0
; COMPUTE_PGM_RSRC2:SCRATCH_EN: 0
; COMPUTE_PGM_RSRC2:USER_SGPR: 6
; COMPUTE_PGM_RSRC2:TRAP_HANDLER: 0
; COMPUTE_PGM_RSRC2:TGID_X_EN: 1
; COMPUTE_PGM_RSRC2:TGID_Y_EN: 0
; COMPUTE_PGM_RSRC2:TGID_Z_EN: 0
; COMPUTE_PGM_RSRC2:TIDIG_COMP_CNT: 1
; COMPUTE_PGM_RSRC3_GFX90A:ACCUM_OFFSET: 8
; COMPUTE_PGM_RSRC3_GFX90A:TG_SPLIT: 0
	.section	.text._ZN4vllm3moe17topkGatingSoftmaxIfLi8ELi128ELi8ELi32ELb0ELi0ELNS0_23SharedExpertScoringFuncE0EEEvPKT_PKbPfiPiS9_iiiiii,"axG",@progbits,_ZN4vllm3moe17topkGatingSoftmaxIfLi8ELi128ELi8ELi32ELb0ELi0ELNS0_23SharedExpertScoringFuncE0EEEvPKT_PKbPfiPiS9_iiiiii,comdat
	.protected	_ZN4vllm3moe17topkGatingSoftmaxIfLi8ELi128ELi8ELi32ELb0ELi0ELNS0_23SharedExpertScoringFuncE0EEEvPKT_PKbPfiPiS9_iiiiii ; -- Begin function _ZN4vllm3moe17topkGatingSoftmaxIfLi8ELi128ELi8ELi32ELb0ELi0ELNS0_23SharedExpertScoringFuncE0EEEvPKT_PKbPfiPiS9_iiiiii
	.globl	_ZN4vllm3moe17topkGatingSoftmaxIfLi8ELi128ELi8ELi32ELb0ELi0ELNS0_23SharedExpertScoringFuncE0EEEvPKT_PKbPfiPiS9_iiiiii
	.p2align	8
	.type	_ZN4vllm3moe17topkGatingSoftmaxIfLi8ELi128ELi8ELi32ELb0ELi0ELNS0_23SharedExpertScoringFuncE0EEEvPKT_PKbPfiPiS9_iiiiii,@function
_ZN4vllm3moe17topkGatingSoftmaxIfLi8ELi128ELi8ELi32ELb0ELi0ELNS0_23SharedExpertScoringFuncE0EEEvPKT_PKbPfiPiS9_iiiiii: ; @_ZN4vllm3moe17topkGatingSoftmaxIfLi8ELi128ELi8ELi32ELb0ELi0ELNS0_23SharedExpertScoringFuncE0EEEvPKT_PKbPfiPiS9_iiiiii
; %bb.0:
	s_load_dword s22, s[4:5], 0x18
	v_bfe_u32 v1, v0, 10, 10
	v_and_b32_e32 v0, 0x3ff, v0
	s_lshl_b32 s23, s6, 5
	v_lshlrev_b32_e32 v26, 2, v1
	v_lshrrev_b32_e32 v27, 4, v0
	v_add3_u32 v14, s23, v26, v27
	s_waitcnt lgkmcnt(0)
	v_cmp_gt_i32_e32 vcc, s22, v14
	s_and_saveexec_b64 s[0:1], vcc
	s_cbranch_execz .LBB72_29
; %bb.1:
	s_load_dwordx4 s[0:3], s[4:5], 0x0
	s_load_dwordx2 s[6:7], s[4:5], 0x10
	s_waitcnt lgkmcnt(0)
	s_cmp_eq_u64 s[2:3], 0
	s_cbranch_scc1 .LBB72_3
; %bb.2:
	v_ashrrev_i32_e32 v1, 31, v14
	v_mov_b32_e32 v3, s3
	v_add_co_u32_e32 v2, vcc, s2, v14
	v_addc_co_u32_e32 v3, vcc, v3, v1, vcc
	global_load_ubyte v1, v[2:3], off
	s_waitcnt vmcnt(0)
	v_and_b32_e32 v1, 1, v1
	v_cmp_eq_u32_e32 vcc, 1, v1
	s_xor_b64 s[2:3], vcc, -1
	s_orn2_b64 s[18:19], s[2:3], exec
	s_branch .LBB72_4
.LBB72_3:
	s_mov_b64 s[18:19], -1
.LBB72_4:
	s_load_dwordx2 s[20:21], s[4:5], 0x40
	s_load_dwordx4 s[8:11], s[4:5], 0x30
	v_mov_b32_e32 v1, s1
	v_and_b32_e32 v15, 15, v0
	v_lshlrev_b32_e32 v0, 5, v15
	s_waitcnt lgkmcnt(0)
	v_mul_lo_u32 v2, v14, s21
	v_ashrrev_i32_e32 v3, 31, v2
	v_lshlrev_b64 v[2:3], 2, v[2:3]
	v_add_co_u32_e32 v2, vcc, s0, v2
	v_addc_co_u32_e32 v1, vcc, v1, v3, vcc
	v_add_co_u32_e32 v8, vcc, v2, v0
	v_addc_co_u32_e32 v9, vcc, 0, v1, vcc
	global_load_dwordx4 v[4:7], v[8:9], off
	global_load_dwordx4 v[0:3], v[8:9], off offset:16
	v_lshlrev_b32_e32 v18, 3, v15
	v_or_b32_e32 v19, 1, v18
	v_or_b32_e32 v20, 2, v18
	;; [unrolled: 1-line block ×7, first 2 shown]
	v_mov_b32_e32 v16, 0
	s_waitcnt vmcnt(1)
	v_cmp_lt_f32_e32 vcc, v4, v5
	v_cndmask_b32_e32 v9, v4, v5, vcc
	v_cndmask_b32_e32 v8, v18, v19, vcc
	v_cmp_lt_f32_e32 vcc, v9, v6
	v_cndmask_b32_e32 v9, v9, v6, vcc
	v_cndmask_b32_e32 v8, v8, v20, vcc
	;; [unrolled: 3-line block ×3, first 2 shown]
	s_waitcnt vmcnt(0)
	v_cmp_lt_f32_e32 vcc, v9, v0
	v_cndmask_b32_e32 v9, v9, v0, vcc
	v_cndmask_b32_e32 v8, v8, v22, vcc
	v_cmp_lt_f32_e32 vcc, v9, v1
	v_cndmask_b32_e32 v9, v9, v1, vcc
	v_cndmask_b32_e32 v8, v8, v23, vcc
	;; [unrolled: 3-line block ×4, first 2 shown]
	s_nop 0
	v_mov_b32_dpp v10, v8 quad_perm:[1,0,3,2] row_mask:0xf bank_mask:0xf
	v_mov_b32_dpp v11, v9 quad_perm:[1,0,3,2] row_mask:0xf bank_mask:0xf
	v_cmp_lt_i32_e32 vcc, v10, v8
	v_cmp_eq_f32_e64 s[2:3], v9, v11
	v_cmp_lt_f32_e64 s[0:1], v9, v11
	s_and_b64 s[2:3], s[2:3], vcc
	s_or_b64 vcc, s[0:1], s[2:3]
	v_cndmask_b32_e32 v9, v9, v11, vcc
	v_cndmask_b32_e32 v8, v8, v10, vcc
	s_nop 0
	v_mov_b32_dpp v10, v9 quad_perm:[2,3,0,1] row_mask:0xf bank_mask:0xf
	v_mov_b32_dpp v11, v8 quad_perm:[2,3,0,1] row_mask:0xf bank_mask:0xf
	v_cmp_eq_f32_e64 s[0:1], v9, v10
	v_cmp_lt_i32_e64 s[2:3], v11, v8
	v_cmp_lt_f32_e32 vcc, v9, v10
	s_and_b64 s[0:1], s[0:1], s[2:3]
	s_or_b64 vcc, vcc, s[0:1]
	v_cndmask_b32_e32 v9, v9, v10, vcc
	v_cndmask_b32_e32 v8, v8, v11, vcc
	s_nop 0
	v_mov_b32_dpp v10, v9 row_half_mirror row_mask:0xf bank_mask:0xf
	v_mov_b32_dpp v11, v8 row_half_mirror row_mask:0xf bank_mask:0xf
	v_cmp_eq_f32_e64 s[0:1], v9, v10
	v_cmp_lt_i32_e64 s[2:3], v11, v8
	v_cmp_lt_f32_e32 vcc, v9, v10
	s_and_b64 s[0:1], s[0:1], s[2:3]
	s_or_b64 vcc, vcc, s[0:1]
	v_cndmask_b32_e32 v10, v9, v10, vcc
	v_cndmask_b32_e32 v8, v8, v11, vcc
	s_nop 0
	v_mov_b32_dpp v11, v10 row_mirror row_mask:0xf bank_mask:0xf
	v_mov_b32_dpp v9, v8 row_mirror row_mask:0xf bank_mask:0xf
	v_cmp_eq_f32_e64 s[0:1], v10, v11
	v_cmp_lt_i32_e64 s[2:3], v9, v8
	v_cmp_lt_f32_e32 vcc, v10, v11
	s_and_b64 s[0:1], s[0:1], s[2:3]
	s_or_b64 s[0:1], vcc, s[0:1]
	s_cmp_gt_i32 s8, 0
	v_cndmask_b32_e64 v17, v10, v11, s[0:1]
	s_cselect_b64 s[16:17], -1, 0
	s_cmp_lt_i32 s8, 1
	v_cmp_eq_u32_e32 vcc, 0, v15
	s_cbranch_scc1 .LBB72_16
; %bb.5:
	s_load_dwordx4 s[12:15], s[4:5], 0x20
	v_cndmask_b32_e64 v28, v8, v9, s[0:1]
	v_mul_lo_u32 v12, v14, s11
	v_mul_lo_u32 v10, v14, s20
	;; [unrolled: 1-line block ×3, first 2 shown]
	v_mov_b32_e32 v16, 0
	s_and_saveexec_b64 s[4:5], vcc
	s_cbranch_execz .LBB72_7
; %bb.6:
	v_sub_f32_e32 v9, v17, v17
	v_mul_f32_e32 v11, 0x3fb8aa3b, v9
	s_mov_b32 s0, 0x3fb8aa3b
	v_rndne_f32_e32 v13, v11
	v_sub_f32_e32 v16, v11, v13
	v_fma_f32 v11, v9, s0, -v11
	v_fmac_f32_e32 v11, 0x32a5705f, v9
	v_add_f32_e32 v11, v16, v11
	v_exp_f32_e32 v11, v11
	v_cvt_i32_f32_e32 v13, v13
	v_cmp_le_i32_e64 s[0:1], s9, v28
	v_cmp_gt_i32_e64 s[2:3], s10, v28
	s_and_b64 s[2:3], s[0:1], s[2:3]
	s_mov_b32 s0, 0xc2ce8ed0
	v_ldexp_f32 v11, v11, v13
	v_cmp_ngt_f32_e64 s[0:1], s0, v9
	v_cndmask_b32_e64 v11, 0, v11, s[0:1]
	s_mov_b32 s0, 0x42b17218
	v_mov_b32_e32 v13, 0x7f800000
	v_cmp_nlt_f32_e64 s[0:1], s0, v9
	v_cndmask_b32_e64 v16, v13, v11, s[0:1]
	v_ashrrev_i32_e32 v13, 31, v12
	v_lshlrev_b64 v[30:31], 2, v[12:13]
	v_mov_b32_e32 v9, s7
	v_add_co_u32_e64 v30, s[0:1], s6, v30
	v_addc_co_u32_e64 v31, s[0:1], v9, v31, s[0:1]
	v_subrev_u32_e32 v9, s9, v28
	v_mov_b32_e32 v11, 0x80
	s_and_b64 s[0:1], s[18:19], s[2:3]
	v_cndmask_b32_e64 v9, v11, v9, s[0:1]
	v_ashrrev_i32_e32 v11, 31, v10
	global_store_dword v[30:31], v16, off
	v_lshlrev_b64 v[30:31], 2, v[10:11]
	s_waitcnt lgkmcnt(0)
	v_mov_b32_e32 v11, s13
	v_add_co_u32_e64 v30, s[0:1], s12, v30
	v_addc_co_u32_e64 v31, s[0:1], v11, v31, s[0:1]
	global_store_dword v[30:31], v9, off
	v_ashrrev_i32_e32 v9, 31, v8
	v_lshlrev_b64 v[30:31], 2, v[8:9]
	v_mov_b32_e32 v9, s15
	v_add_co_u32_e64 v30, s[0:1], s14, v30
	v_addc_co_u32_e64 v31, s[0:1], v9, v31, s[0:1]
	global_store_dword v[30:31], v14, off
.LBB72_7:
	s_or_b64 exec, exec, s[4:5]
	v_ashrrev_i32_e32 v11, 31, v28
	v_lshrrev_b32_e32 v9, 29, v11
	v_add_u32_e32 v9, v28, v9
	v_ashrrev_i32_e32 v9, 3, v9
	v_lshrrev_b32_e32 v13, 28, v9
	v_add_u32_e32 v13, v9, v13
	v_and_b32_e32 v13, -16, v13
	v_sub_u32_e32 v13, v9, v13
	v_cmp_eq_u32_e64 s[0:1], v15, v13
	s_and_saveexec_b64 s[2:3], s[0:1]
	s_cbranch_execz .LBB72_9
; %bb.8:
	v_lshrrev_b32_e32 v11, 25, v11
	v_add_u32_e32 v11, v28, v11
	v_lshlrev_b32_e32 v9, 3, v9
	v_ashrrev_i32_e32 v11, 7, v11
	v_sub_u32_e32 v9, v28, v9
	v_lshl_add_u32 v9, v11, 3, v9
	v_mov_b32_e32 v11, 0xff800000
	v_cmp_ne_u32_e64 s[0:1], 7, v9
	v_cndmask_b32_e64 v3, v11, v3, s[0:1]
	v_cmp_ne_u32_e64 s[0:1], 6, v9
	v_cndmask_b32_e64 v2, v11, v2, s[0:1]
	v_cmp_ne_u32_e64 s[0:1], 5, v9
	v_cndmask_b32_e64 v1, v11, v1, s[0:1]
	v_cmp_ne_u32_e64 s[0:1], 4, v9
	v_cndmask_b32_e64 v0, v11, v0, s[0:1]
	v_cmp_ne_u32_e64 s[0:1], 3, v9
	v_cndmask_b32_e64 v7, v11, v7, s[0:1]
	v_cmp_ne_u32_e64 s[0:1], 2, v9
	v_cndmask_b32_e64 v6, v11, v6, s[0:1]
	v_cmp_ne_u32_e64 s[0:1], 1, v9
	v_cndmask_b32_e64 v5, v11, v5, s[0:1]
	v_cmp_ne_u32_e64 s[0:1], 0, v9
	v_cndmask_b32_e64 v4, v11, v4, s[0:1]
.LBB72_9:
	s_or_b64 exec, exec, s[2:3]
	s_cmp_eq_u32 s8, 1
	s_cbranch_scc1 .LBB72_16
; %bb.10:
	s_add_i32 s23, s23, s22
	s_add_i32 s20, s8, -1
	v_add3_u32 v26, s23, v27, v26
	v_add_u32_e32 v8, 1, v8
	v_add_u32_e32 v10, 1, v10
	;; [unrolled: 1-line block ×3, first 2 shown]
	s_mov_b32 s21, 0x3fb8aa3b
	s_mov_b32 s23, 0xc2ce8ed0
	;; [unrolled: 1-line block ×3, first 2 shown]
	v_mov_b32_e32 v27, 0x7f800000
	v_mov_b32_e32 v28, 0x80
	;; [unrolled: 1-line block ×3, first 2 shown]
	s_branch .LBB72_12
.LBB72_11:                              ;   in Loop: Header=BB72_12 Depth=1
	s_or_b64 exec, exec, s[2:3]
	s_add_i32 s20, s20, -1
	v_add_u32_e32 v26, s22, v26
	v_add_u32_e32 v8, 1, v8
	;; [unrolled: 1-line block ×3, first 2 shown]
	s_cmp_eq_u32 s20, 0
	v_add_u32_e32 v12, 1, v12
	s_cbranch_scc1 .LBB72_16
.LBB72_12:                              ; =>This Inner Loop Header: Depth=1
	v_cmp_gt_f32_e64 s[0:1], v5, v4
	v_cndmask_b32_e64 v11, v4, v5, s[0:1]
	v_cndmask_b32_e64 v9, v18, v19, s[0:1]
	v_cmp_gt_f32_e64 s[0:1], v6, v11
	v_cndmask_b32_e64 v11, v11, v6, s[0:1]
	v_cndmask_b32_e64 v9, v9, v20, s[0:1]
	v_cmp_gt_f32_e64 s[0:1], v7, v11
	v_cndmask_b32_e64 v11, v11, v7, s[0:1]
	v_cndmask_b32_e64 v9, v9, v21, s[0:1]
	v_cmp_gt_f32_e64 s[0:1], v0, v11
	v_cndmask_b32_e64 v11, v11, v0, s[0:1]
	v_cndmask_b32_e64 v9, v9, v22, s[0:1]
	v_cmp_gt_f32_e64 s[0:1], v1, v11
	v_cndmask_b32_e64 v11, v11, v1, s[0:1]
	v_cndmask_b32_e64 v9, v9, v23, s[0:1]
	v_cmp_gt_f32_e64 s[0:1], v2, v11
	v_cndmask_b32_e64 v11, v11, v2, s[0:1]
	v_cndmask_b32_e64 v9, v9, v24, s[0:1]
	v_cmp_gt_f32_e64 s[0:1], v3, v11
	v_cndmask_b32_e64 v9, v9, v25, s[0:1]
	v_cndmask_b32_e64 v11, v11, v3, s[0:1]
	s_nop 0
	v_mov_b32_dpp v13, v9 quad_perm:[1,0,3,2] row_mask:0xf bank_mask:0xf
	v_mov_b32_dpp v30, v11 quad_perm:[1,0,3,2] row_mask:0xf bank_mask:0xf
	v_cmp_eq_f32_e64 s[2:3], v11, v30
	v_cmp_lt_i32_e64 s[4:5], v13, v9
	v_cmp_lt_f32_e64 s[0:1], v11, v30
	s_and_b64 s[2:3], s[2:3], s[4:5]
	s_or_b64 s[0:1], s[0:1], s[2:3]
	v_cndmask_b32_e64 v11, v11, v30, s[0:1]
	v_cndmask_b32_e64 v9, v9, v13, s[0:1]
	s_nop 0
	v_mov_b32_dpp v30, v11 quad_perm:[2,3,0,1] row_mask:0xf bank_mask:0xf
	v_mov_b32_dpp v13, v9 quad_perm:[2,3,0,1] row_mask:0xf bank_mask:0xf
	v_cmp_eq_f32_e64 s[2:3], v11, v30
	v_cmp_lt_i32_e64 s[4:5], v13, v9
	v_cmp_lt_f32_e64 s[0:1], v11, v30
	s_and_b64 s[2:3], s[2:3], s[4:5]
	s_or_b64 s[0:1], s[0:1], s[2:3]
	v_cndmask_b32_e64 v11, v11, v30, s[0:1]
	v_cndmask_b32_e64 v13, v9, v13, s[0:1]
	s_nop 0
	v_mov_b32_dpp v9, v11 row_half_mirror row_mask:0xf bank_mask:0xf
	v_mov_b32_dpp v30, v13 row_half_mirror row_mask:0xf bank_mask:0xf
	v_cmp_eq_f32_e64 s[2:3], v11, v9
	v_cmp_lt_i32_e64 s[4:5], v30, v13
	v_cmp_lt_f32_e64 s[0:1], v11, v9
	s_and_b64 s[2:3], s[2:3], s[4:5]
	s_or_b64 s[0:1], s[0:1], s[2:3]
	v_cndmask_b32_e64 v9, v11, v9, s[0:1]
	v_cndmask_b32_e64 v13, v13, v30, s[0:1]
	s_nop 0
	v_mov_b32_dpp v11, v9 row_mirror row_mask:0xf bank_mask:0xf
	v_mov_b32_dpp v30, v13 row_mirror row_mask:0xf bank_mask:0xf
	v_cmp_eq_f32_e64 s[2:3], v9, v11
	v_cmp_lt_i32_e64 s[4:5], v30, v13
	v_cmp_lt_f32_e64 s[0:1], v9, v11
	s_and_b64 s[2:3], s[2:3], s[4:5]
	s_or_b64 s[0:1], s[0:1], s[2:3]
	v_cndmask_b32_e64 v30, v13, v30, s[0:1]
	s_and_saveexec_b64 s[4:5], vcc
	s_cbranch_execz .LBB72_14
; %bb.13:                               ;   in Loop: Header=BB72_12 Depth=1
	v_cndmask_b32_e64 v9, v9, v11, s[0:1]
	v_sub_f32_e32 v9, v9, v17
	v_mul_f32_e32 v11, 0x3fb8aa3b, v9
	v_fma_f32 v13, v9, s21, -v11
	v_rndne_f32_e32 v31, v11
	v_fmac_f32_e32 v13, 0x32a5705f, v9
	v_sub_f32_e32 v11, v11, v31
	v_add_f32_e32 v11, v11, v13
	v_exp_f32_e32 v11, v11
	v_cvt_i32_f32_e32 v13, v31
	v_cmp_le_i32_e64 s[0:1], s9, v30
	v_cmp_gt_i32_e64 s[2:3], s10, v30
	s_and_b64 s[2:3], s[0:1], s[2:3]
	v_ldexp_f32 v11, v11, v13
	v_cmp_ngt_f32_e64 s[0:1], s23, v9
	v_ashrrev_i32_e32 v13, 31, v12
	v_cndmask_b32_e64 v11, 0, v11, s[0:1]
	v_cmp_nlt_f32_e64 s[0:1], s24, v9
	v_lshlrev_b64 v[32:33], 2, v[12:13]
	v_cndmask_b32_e64 v31, v27, v11, s[0:1]
	v_mov_b32_e32 v9, s7
	v_add_co_u32_e64 v32, s[0:1], s6, v32
	v_addc_co_u32_e64 v33, s[0:1], v9, v33, s[0:1]
	v_ashrrev_i32_e32 v11, 31, v10
	global_store_dword v[32:33], v31, off
	v_subrev_u32_e32 v9, s9, v30
	s_and_b64 s[0:1], s[18:19], s[2:3]
	v_lshlrev_b64 v[32:33], 2, v[10:11]
	v_cndmask_b32_e64 v9, v28, v9, s[0:1]
	s_waitcnt lgkmcnt(0)
	v_mov_b32_e32 v11, s13
	v_add_co_u32_e64 v32, s[0:1], s12, v32
	v_addc_co_u32_e64 v33, s[0:1], v11, v33, s[0:1]
	global_store_dword v[32:33], v9, off
	v_ashrrev_i32_e32 v9, 31, v8
	v_lshlrev_b64 v[32:33], 2, v[8:9]
	v_mov_b32_e32 v9, s15
	v_add_co_u32_e64 v32, s[0:1], s14, v32
	v_addc_co_u32_e64 v33, s[0:1], v9, v33, s[0:1]
	v_add_f32_e32 v16, v16, v31
	global_store_dword v[32:33], v26, off
.LBB72_14:                              ;   in Loop: Header=BB72_12 Depth=1
	s_or_b64 exec, exec, s[4:5]
	v_ashrrev_i32_e32 v11, 31, v30
	v_lshrrev_b32_e32 v9, 29, v11
	v_add_u32_e32 v9, v30, v9
	v_ashrrev_i32_e32 v9, 3, v9
	v_lshrrev_b32_e32 v13, 28, v9
	v_add_u32_e32 v13, v9, v13
	v_and_b32_e32 v13, -16, v13
	v_sub_u32_e32 v13, v9, v13
	v_cmp_eq_u32_e64 s[0:1], v15, v13
	s_and_saveexec_b64 s[2:3], s[0:1]
	s_cbranch_execz .LBB72_11
; %bb.15:                               ;   in Loop: Header=BB72_12 Depth=1
	v_lshrrev_b32_e32 v11, 25, v11
	v_add_u32_e32 v11, v30, v11
	v_lshlrev_b32_e32 v9, 3, v9
	v_ashrrev_i32_e32 v11, 7, v11
	v_sub_u32_e32 v9, v30, v9
	v_lshl_add_u32 v9, v11, 3, v9
	v_cmp_ne_u32_e64 s[0:1], 7, v9
	v_cndmask_b32_e64 v3, v29, v3, s[0:1]
	v_cmp_ne_u32_e64 s[0:1], 6, v9
	v_cndmask_b32_e64 v2, v29, v2, s[0:1]
	;; [unrolled: 2-line block ×8, first 2 shown]
	s_branch .LBB72_11
.LBB72_16:
	v_sub_f32_e32 v4, v4, v17
	s_mov_b32 s0, 0x3fb8aa3b
	v_mul_f32_e32 v8, 0x3fb8aa3b, v4
	v_fma_f32 v9, v4, s0, -v8
	v_rndne_f32_e32 v10, v8
	v_fmac_f32_e32 v9, 0x32a5705f, v4
	v_sub_f32_e32 v8, v8, v10
	v_add_f32_e32 v8, v8, v9
	v_exp_f32_e32 v8, v8
	v_cvt_i32_f32_e32 v9, v10
	v_sub_f32_e32 v5, v5, v17
	s_mov_b32 s1, 0xc2ce8ed0
	v_cmp_ngt_f32_e32 vcc, s1, v4
	v_ldexp_f32 v8, v8, v9
	v_mul_f32_e32 v9, 0x3fb8aa3b, v5
	v_fma_f32 v10, v5, s0, -v9
	v_rndne_f32_e32 v11, v9
	v_fmac_f32_e32 v10, 0x32a5705f, v5
	v_sub_f32_e32 v9, v9, v11
	v_add_f32_e32 v9, v9, v10
	v_exp_f32_e32 v9, v9
	v_cvt_i32_f32_e32 v10, v11
	s_mov_b32 s2, 0x42b17218
	v_cndmask_b32_e32 v8, 0, v8, vcc
	v_mov_b32_e32 v11, 0x7f800000
	v_cmp_nlt_f32_e32 vcc, s2, v4
	v_sub_f32_e32 v6, v6, v17
	v_cndmask_b32_e32 v4, v11, v8, vcc
	v_ldexp_f32 v8, v9, v10
	v_mul_f32_e32 v9, 0x3fb8aa3b, v6
	v_fma_f32 v10, v6, s0, -v9
	v_rndne_f32_e32 v12, v9
	v_fmac_f32_e32 v10, 0x32a5705f, v6
	v_sub_f32_e32 v9, v9, v12
	v_add_f32_e32 v9, v9, v10
	v_exp_f32_e32 v9, v9
	v_cvt_i32_f32_e32 v10, v12
	v_cmp_ngt_f32_e32 vcc, s1, v5
	v_cndmask_b32_e32 v8, 0, v8, vcc
	v_cmp_nlt_f32_e32 vcc, s2, v5
	v_sub_f32_e32 v7, v7, v17
	v_cndmask_b32_e32 v5, v11, v8, vcc
	v_mul_f32_e32 v8, 0x3fb8aa3b, v7
	v_add_f32_e32 v4, v4, v5
	v_ldexp_f32 v5, v9, v10
	v_fma_f32 v9, v7, s0, -v8
	v_rndne_f32_e32 v10, v8
	v_fmac_f32_e32 v9, 0x32a5705f, v7
	v_sub_f32_e32 v8, v8, v10
	v_add_f32_e32 v8, v8, v9
	v_exp_f32_e32 v8, v8
	v_cvt_i32_f32_e32 v9, v10
	v_cmp_ngt_f32_e32 vcc, s1, v6
	v_cndmask_b32_e32 v5, 0, v5, vcc
	v_cmp_nlt_f32_e32 vcc, s2, v6
	v_sub_f32_e32 v0, v0, v17
	v_cndmask_b32_e32 v5, v11, v5, vcc
	v_mul_f32_e32 v6, 0x3fb8aa3b, v0
	v_add_f32_e32 v4, v4, v5
	v_ldexp_f32 v5, v8, v9
	v_fma_f32 v8, v0, s0, -v6
	v_rndne_f32_e32 v9, v6
	v_fmac_f32_e32 v8, 0x32a5705f, v0
	v_sub_f32_e32 v6, v6, v9
	v_add_f32_e32 v6, v6, v8
	v_exp_f32_e32 v6, v6
	v_cvt_i32_f32_e32 v8, v9
	v_cmp_ngt_f32_e32 vcc, s1, v7
	v_cndmask_b32_e32 v5, 0, v5, vcc
	v_cmp_nlt_f32_e32 vcc, s2, v7
	v_cndmask_b32_e32 v5, v11, v5, vcc
	v_sub_f32_e32 v1, v1, v17
	v_add_f32_e32 v4, v4, v5
	v_ldexp_f32 v5, v6, v8
	v_mul_f32_e32 v6, 0x3fb8aa3b, v1
	v_fma_f32 v7, v1, s0, -v6
	v_rndne_f32_e32 v8, v6
	v_fmac_f32_e32 v7, 0x32a5705f, v1
	v_sub_f32_e32 v6, v6, v8
	v_add_f32_e32 v6, v6, v7
	v_exp_f32_e32 v6, v6
	v_cvt_i32_f32_e32 v7, v8
	v_cmp_ngt_f32_e32 vcc, s1, v0
	v_cndmask_b32_e32 v5, 0, v5, vcc
	v_cmp_nlt_f32_e32 vcc, s2, v0
	v_sub_f32_e32 v2, v2, v17
	v_cndmask_b32_e32 v0, v11, v5, vcc
	v_mul_f32_e32 v5, 0x3fb8aa3b, v2
	v_add_f32_e32 v0, v4, v0
	v_ldexp_f32 v4, v6, v7
	v_fma_f32 v6, v2, s0, -v5
	v_rndne_f32_e32 v7, v5
	v_fmac_f32_e32 v6, 0x32a5705f, v2
	v_sub_f32_e32 v5, v5, v7
	v_add_f32_e32 v5, v5, v6
	v_exp_f32_e32 v5, v5
	v_cvt_i32_f32_e32 v6, v7
	v_cmp_ngt_f32_e32 vcc, s1, v1
	v_cndmask_b32_e32 v4, 0, v4, vcc
	v_cmp_nlt_f32_e32 vcc, s2, v1
	v_sub_f32_e32 v3, v3, v17
	v_cndmask_b32_e32 v1, v11, v4, vcc
	v_mul_f32_e32 v4, 0x3fb8aa3b, v3
	v_add_f32_e32 v0, v0, v1
	v_ldexp_f32 v1, v5, v6
	v_fma_f32 v5, v3, s0, -v4
	v_rndne_f32_e32 v6, v4
	v_fmac_f32_e32 v5, 0x32a5705f, v3
	v_sub_f32_e32 v4, v4, v6
	v_add_f32_e32 v4, v4, v5
	v_exp_f32_e32 v4, v4
	v_cvt_i32_f32_e32 v5, v6
	v_cmp_ngt_f32_e32 vcc, s1, v2
	v_cndmask_b32_e32 v1, 0, v1, vcc
	v_cmp_nlt_f32_e32 vcc, s2, v2
	v_cndmask_b32_e32 v1, v11, v1, vcc
	v_add_f32_e32 v0, v0, v1
	v_ldexp_f32 v1, v4, v5
	v_cmp_ngt_f32_e32 vcc, s1, v3
	v_cndmask_b32_e32 v1, 0, v1, vcc
	v_cmp_nlt_f32_e32 vcc, s2, v3
	v_cndmask_b32_e32 v1, v11, v1, vcc
	v_add_f32_e32 v0, v0, v1
	v_cmp_eq_u32_e32 vcc, 0, v15
	s_nop 0
	v_mov_b32_dpp v1, v0 quad_perm:[1,0,3,2] row_mask:0xf bank_mask:0xf
	v_add_f32_e32 v0, v0, v1
	s_nop 1
	v_mov_b32_dpp v1, v0 quad_perm:[2,3,0,1] row_mask:0xf bank_mask:0xf
	v_add_f32_e32 v0, v0, v1
	s_nop 1
	v_mov_b32_dpp v1, v0 row_half_mirror row_mask:0xf bank_mask:0xf
	v_add_f32_e32 v0, v0, v1
	s_nop 1
	v_mov_b32_dpp v1, v0 row_mirror row_mask:0xf bank_mask:0xf
	s_and_b64 exec, exec, vcc
	s_cbranch_execz .LBB72_29
; %bb.17:
	v_add_f32_e32 v0, v0, v1
	v_add_f32_e32 v0, v16, v0
	v_cmp_neq_f32_e32 vcc, 0, v0
	s_and_b64 exec, exec, vcc
	s_cbranch_execz .LBB72_29
; %bb.18:
	s_andn2_b64 vcc, exec, s[16:17]
	s_cbranch_vccnz .LBB72_29
; %bb.19:
	v_div_scale_f32 v1, s[0:1], v0, v0, 1.0
	v_rcp_f32_e32 v2, v1
	v_div_scale_f32 v3, vcc, 1.0, v0, 1.0
	s_cmp_gt_u32 s8, 3
	v_fma_f32 v4, -v1, v2, 1.0
	v_fmac_f32_e32 v2, v4, v2
	v_mul_f32_e32 v4, v3, v2
	v_fma_f32 v5, -v1, v4, v3
	v_fmac_f32_e32 v4, v5, v2
	v_fma_f32 v1, -v1, v4, v3
	v_div_fmas_f32 v1, v1, v2, v4
	v_mul_lo_u32 v2, v14, s11
	v_div_fixup_f32 v0, v1, v0, 1.0
	v_ashrrev_i32_e32 v3, 31, v2
	s_cbranch_scc0 .LBB72_23
; %bb.20:
	v_lshlrev_b64 v[4:5], 2, v[2:3]
	v_mov_b32_e32 v6, s7
	v_add_co_u32_e32 v4, vcc, s6, v4
	v_addc_co_u32_e32 v5, vcc, v5, v6, vcc
	s_and_b32 s4, s8, 0x7ffffffc
	v_add_co_u32_e32 v4, vcc, 8, v4
	v_mov_b32_e32 v1, v0
	v_addc_co_u32_e32 v5, vcc, 0, v5, vcc
	s_mov_b32 s0, s4
.LBB72_21:                              ; =>This Inner Loop Header: Depth=1
	global_load_dwordx4 v[6:9], v[4:5], off offset:-8
	s_add_i32 s0, s0, -4
	s_cmp_lg_u32 s0, 0
	s_waitcnt vmcnt(0)
	v_pk_mul_f32 v[6:7], v[0:1], v[6:7]
	v_pk_mul_f32 v[8:9], v[0:1], v[8:9]
	global_store_dwordx4 v[4:5], v[6:9], off offset:-8
	v_add_co_u32_e32 v4, vcc, 16, v4
	v_addc_co_u32_e32 v5, vcc, 0, v5, vcc
	s_cbranch_scc1 .LBB72_21
; %bb.22:
	s_cmp_lg_u32 s4, s8
	s_mov_b64 s[2:3], 0
	s_cselect_b64 s[0:1], -1, 0
	s_branch .LBB72_24
.LBB72_23:
	s_mov_b64 s[2:3], -1
	s_mov_b64 s[0:1], 0
                                        ; implicit-def: $sgpr4
.LBB72_24:
	s_and_b64 vcc, exec, s[2:3]
	s_cbranch_vccz .LBB72_26
; %bb.25:
	s_mov_b64 s[0:1], -1
	s_mov_b32 s4, 0
.LBB72_26:
	s_andn2_b64 vcc, exec, s[0:1]
	s_cbranch_vccnz .LBB72_29
; %bb.27:
	v_add_co_u32_e32 v2, vcc, s4, v2
	v_addc_co_u32_e32 v3, vcc, 0, v3, vcc
	v_lshlrev_b64 v[2:3], 2, v[2:3]
	v_mov_b32_e32 v1, s7
	v_add_co_u32_e32 v2, vcc, s6, v2
	s_sub_i32 s0, s8, s4
	v_addc_co_u32_e32 v3, vcc, v1, v3, vcc
.LBB72_28:                              ; =>This Inner Loop Header: Depth=1
	global_load_dword v1, v[2:3], off
	s_add_i32 s0, s0, -1
	s_cmp_lg_u32 s0, 0
	s_waitcnt vmcnt(0)
	v_mul_f32_e32 v1, v0, v1
	global_store_dword v[2:3], v1, off
	v_add_co_u32_e32 v2, vcc, 4, v2
	v_addc_co_u32_e32 v3, vcc, 0, v3, vcc
	s_cbranch_scc1 .LBB72_28
.LBB72_29:
	s_endpgm
	.section	.rodata,"a",@progbits
	.p2align	6, 0x0
	.amdhsa_kernel _ZN4vllm3moe17topkGatingSoftmaxIfLi8ELi128ELi8ELi32ELb0ELi0ELNS0_23SharedExpertScoringFuncE0EEEvPKT_PKbPfiPiS9_iiiiii
		.amdhsa_group_segment_fixed_size 0
		.amdhsa_private_segment_fixed_size 0
		.amdhsa_kernarg_size 72
		.amdhsa_user_sgpr_count 6
		.amdhsa_user_sgpr_private_segment_buffer 1
		.amdhsa_user_sgpr_dispatch_ptr 0
		.amdhsa_user_sgpr_queue_ptr 0
		.amdhsa_user_sgpr_kernarg_segment_ptr 1
		.amdhsa_user_sgpr_dispatch_id 0
		.amdhsa_user_sgpr_flat_scratch_init 0
		.amdhsa_user_sgpr_kernarg_preload_length 0
		.amdhsa_user_sgpr_kernarg_preload_offset 0
		.amdhsa_user_sgpr_private_segment_size 0
		.amdhsa_uses_dynamic_stack 0
		.amdhsa_system_sgpr_private_segment_wavefront_offset 0
		.amdhsa_system_sgpr_workgroup_id_x 1
		.amdhsa_system_sgpr_workgroup_id_y 0
		.amdhsa_system_sgpr_workgroup_id_z 0
		.amdhsa_system_sgpr_workgroup_info 0
		.amdhsa_system_vgpr_workitem_id 1
		.amdhsa_next_free_vgpr 34
		.amdhsa_next_free_sgpr 25
		.amdhsa_accum_offset 36
		.amdhsa_reserve_vcc 1
		.amdhsa_reserve_flat_scratch 0
		.amdhsa_float_round_mode_32 0
		.amdhsa_float_round_mode_16_64 0
		.amdhsa_float_denorm_mode_32 3
		.amdhsa_float_denorm_mode_16_64 3
		.amdhsa_dx10_clamp 1
		.amdhsa_ieee_mode 1
		.amdhsa_fp16_overflow 0
		.amdhsa_tg_split 0
		.amdhsa_exception_fp_ieee_invalid_op 0
		.amdhsa_exception_fp_denorm_src 0
		.amdhsa_exception_fp_ieee_div_zero 0
		.amdhsa_exception_fp_ieee_overflow 0
		.amdhsa_exception_fp_ieee_underflow 0
		.amdhsa_exception_fp_ieee_inexact 0
		.amdhsa_exception_int_div_zero 0
	.end_amdhsa_kernel
	.section	.text._ZN4vllm3moe17topkGatingSoftmaxIfLi8ELi128ELi8ELi32ELb0ELi0ELNS0_23SharedExpertScoringFuncE0EEEvPKT_PKbPfiPiS9_iiiiii,"axG",@progbits,_ZN4vllm3moe17topkGatingSoftmaxIfLi8ELi128ELi8ELi32ELb0ELi0ELNS0_23SharedExpertScoringFuncE0EEEvPKT_PKbPfiPiS9_iiiiii,comdat
.Lfunc_end72:
	.size	_ZN4vllm3moe17topkGatingSoftmaxIfLi8ELi128ELi8ELi32ELb0ELi0ELNS0_23SharedExpertScoringFuncE0EEEvPKT_PKbPfiPiS9_iiiiii, .Lfunc_end72-_ZN4vllm3moe17topkGatingSoftmaxIfLi8ELi128ELi8ELi32ELb0ELi0ELNS0_23SharedExpertScoringFuncE0EEEvPKT_PKbPfiPiS9_iiiiii
                                        ; -- End function
	.section	.AMDGPU.csdata,"",@progbits
; Kernel info:
; codeLenInByte = 3244
; NumSgprs: 29
; NumVgprs: 34
; NumAgprs: 0
; TotalNumVgprs: 34
; ScratchSize: 0
; MemoryBound: 0
; FloatMode: 240
; IeeeMode: 1
; LDSByteSize: 0 bytes/workgroup (compile time only)
; SGPRBlocks: 3
; VGPRBlocks: 4
; NumSGPRsForWavesPerEU: 29
; NumVGPRsForWavesPerEU: 34
; AccumOffset: 36
; Occupancy: 8
; WaveLimiterHint : 0
; COMPUTE_PGM_RSRC2:SCRATCH_EN: 0
; COMPUTE_PGM_RSRC2:USER_SGPR: 6
; COMPUTE_PGM_RSRC2:TRAP_HANDLER: 0
; COMPUTE_PGM_RSRC2:TGID_X_EN: 1
; COMPUTE_PGM_RSRC2:TGID_Y_EN: 0
; COMPUTE_PGM_RSRC2:TGID_Z_EN: 0
; COMPUTE_PGM_RSRC2:TIDIG_COMP_CNT: 1
; COMPUTE_PGM_RSRC3_GFX90A:ACCUM_OFFSET: 8
; COMPUTE_PGM_RSRC3_GFX90A:TG_SPLIT: 0
	.section	.text._ZN4vllm3moe17topkGatingSoftmaxIfLi8ELi128ELi8ELi32ELb1ELi1ELNS0_23SharedExpertScoringFuncE1EEEvPKT_PKbPfiPiS9_iiiiii,"axG",@progbits,_ZN4vllm3moe17topkGatingSoftmaxIfLi8ELi128ELi8ELi32ELb1ELi1ELNS0_23SharedExpertScoringFuncE1EEEvPKT_PKbPfiPiS9_iiiiii,comdat
	.protected	_ZN4vllm3moe17topkGatingSoftmaxIfLi8ELi128ELi8ELi32ELb1ELi1ELNS0_23SharedExpertScoringFuncE1EEEvPKT_PKbPfiPiS9_iiiiii ; -- Begin function _ZN4vllm3moe17topkGatingSoftmaxIfLi8ELi128ELi8ELi32ELb1ELi1ELNS0_23SharedExpertScoringFuncE1EEEvPKT_PKbPfiPiS9_iiiiii
	.globl	_ZN4vllm3moe17topkGatingSoftmaxIfLi8ELi128ELi8ELi32ELb1ELi1ELNS0_23SharedExpertScoringFuncE1EEEvPKT_PKbPfiPiS9_iiiiii
	.p2align	8
	.type	_ZN4vllm3moe17topkGatingSoftmaxIfLi8ELi128ELi8ELi32ELb1ELi1ELNS0_23SharedExpertScoringFuncE1EEEvPKT_PKbPfiPiS9_iiiiii,@function
_ZN4vllm3moe17topkGatingSoftmaxIfLi8ELi128ELi8ELi32ELb1ELi1ELNS0_23SharedExpertScoringFuncE1EEEvPKT_PKbPfiPiS9_iiiiii: ; @_ZN4vllm3moe17topkGatingSoftmaxIfLi8ELi128ELi8ELi32ELb1ELi1ELNS0_23SharedExpertScoringFuncE1EEEvPKT_PKbPfiPiS9_iiiiii
; %bb.0:
	s_load_dword s24, s[4:5], 0x18
	v_bfe_u32 v1, v0, 10, 10
	v_and_b32_e32 v0, 0x3ff, v0
	s_lshl_b32 s25, s6, 5
	v_lshlrev_b32_e32 v25, 2, v1
	v_lshrrev_b32_e32 v26, 4, v0
	v_add3_u32 v14, s25, v25, v26
	s_waitcnt lgkmcnt(0)
	v_cmp_gt_i32_e32 vcc, s24, v14
	s_and_saveexec_b64 s[0:1], vcc
	s_cbranch_execz .LBB73_29
; %bb.1:
	s_load_dwordx4 s[0:3], s[4:5], 0x0
	s_load_dwordx2 s[16:17], s[4:5], 0x10
	s_waitcnt lgkmcnt(0)
	s_cmp_eq_u64 s[2:3], 0
	s_cbranch_scc1 .LBB73_3
; %bb.2:
	v_ashrrev_i32_e32 v1, 31, v14
	v_mov_b32_e32 v3, s3
	v_add_co_u32_e32 v2, vcc, s2, v14
	v_addc_co_u32_e32 v3, vcc, v3, v1, vcc
	global_load_ubyte v1, v[2:3], off
	s_waitcnt vmcnt(0)
	v_and_b32_e32 v1, 1, v1
	v_cmp_eq_u32_e32 vcc, 1, v1
	s_xor_b64 s[2:3], vcc, -1
	s_orn2_b64 s[18:19], s[2:3], exec
	s_branch .LBB73_4
.LBB73_3:
	s_mov_b64 s[18:19], -1
.LBB73_4:
	s_load_dwordx2 s[22:23], s[4:5], 0x40
	s_load_dwordx4 s[8:11], s[4:5], 0x30
	v_mov_b32_e32 v1, s1
	v_and_b32_e32 v15, 15, v0
	v_lshlrev_b32_e32 v0, 5, v15
	s_waitcnt lgkmcnt(0)
	v_mul_lo_u32 v2, v14, s23
	v_ashrrev_i32_e32 v3, 31, v2
	v_lshlrev_b64 v[2:3], 2, v[2:3]
	v_add_co_u32_e32 v8, vcc, s0, v2
	v_addc_co_u32_e32 v9, vcc, v1, v3, vcc
	v_add_co_u32_e32 v10, vcc, v8, v0
	v_addc_co_u32_e32 v11, vcc, 0, v9, vcc
	global_load_dwordx4 v[0:3], v[10:11], off offset:16
	global_load_dwordx4 v[4:7], v[10:11], off
	v_lshlrev_b32_e32 v17, 3, v15
	v_mov_b32_e32 v16, 0
	v_cmp_eq_u32_e64 s[0:1], 0, v15
	s_and_saveexec_b64 s[2:3], s[0:1]
	s_cbranch_execz .LBB73_6
; %bb.5:
	global_load_dword v10, v[8:9], off offset:512
	s_mov_b32 s6, 0xbfb8aa3b
	s_mov_b32 s7, 0x42ce8ed0
	;; [unrolled: 1-line block ×3, first 2 shown]
	v_mov_b32_e32 v11, 0x7f800000
	v_mul_lo_u32 v8, v14, s11
	v_add_u32_e32 v8, s8, v8
	v_mov_b32_e32 v18, s17
	s_waitcnt vmcnt(0)
	v_mul_f32_e32 v9, 0xbfb8aa3b, v10
	v_rndne_f32_e32 v12, v9
	v_fma_f32 v13, v10, s6, -v9
	v_sub_f32_e32 v9, v9, v12
	v_fmac_f32_e32 v13, 0xb2a5705f, v10
	v_add_f32_e32 v9, v9, v13
	v_cvt_i32_f32_e32 v12, v12
	v_exp_f32_e32 v13, v9
	v_cmp_nlt_f32_e32 vcc, s7, v10
	v_ashrrev_i32_e32 v9, 31, v8
	v_lshlrev_b64 v[8:9], 2, v[8:9]
	v_ldexp_f32 v12, v13, v12
	v_cndmask_b32_e32 v12, 0, v12, vcc
	v_cmp_ngt_f32_e32 vcc, s12, v10
	v_cndmask_b32_e32 v10, v11, v12, vcc
	v_add_f32_e32 v10, 1.0, v10
	v_div_scale_f32 v11, s[6:7], v10, v10, 1.0
	v_rcp_f32_e32 v12, v11
	v_div_scale_f32 v13, vcc, 1.0, v10, 1.0
	v_fma_f32 v19, -v11, v12, 1.0
	v_fmac_f32_e32 v12, v19, v12
	v_mul_f32_e32 v19, v13, v12
	v_fma_f32 v20, -v11, v19, v13
	v_fmac_f32_e32 v19, v20, v12
	v_fma_f32 v11, -v11, v19, v13
	v_div_fmas_f32 v11, v11, v12, v19
	v_add_co_u32_e32 v8, vcc, s16, v8
	v_div_fixup_f32 v10, v11, v10, 1.0
	v_addc_co_u32_e32 v9, vcc, v18, v9, vcc
	global_store_dword v[8:9], v10, off
.LBB73_6:
	s_or_b64 exec, exec, s[2:3]
	s_waitcnt vmcnt(0)
	v_cmp_lt_f32_e32 vcc, v4, v5
	v_or_b32_e32 v18, 1, v17
	v_cndmask_b32_e32 v9, v4, v5, vcc
	v_cndmask_b32_e32 v8, v17, v18, vcc
	v_cmp_lt_f32_e32 vcc, v9, v6
	v_or_b32_e32 v19, 2, v17
	v_cndmask_b32_e32 v9, v9, v6, vcc
	v_cndmask_b32_e32 v8, v8, v19, vcc
	;; [unrolled: 4-line block ×6, first 2 shown]
	v_or_b32_e32 v24, 7, v17
	v_cmp_lt_f32_e32 vcc, v9, v3
	v_cndmask_b32_e32 v8, v8, v24, vcc
	v_cndmask_b32_e32 v9, v9, v3, vcc
	s_nop 0
	v_mov_b32_dpp v10, v8 quad_perm:[1,0,3,2] row_mask:0xf bank_mask:0xf
	v_mov_b32_dpp v11, v9 quad_perm:[1,0,3,2] row_mask:0xf bank_mask:0xf
	v_cmp_eq_f32_e64 s[2:3], v9, v11
	v_cmp_lt_i32_e64 s[6:7], v10, v8
	v_cmp_lt_f32_e32 vcc, v9, v11
	s_and_b64 s[2:3], s[2:3], s[6:7]
	s_or_b64 vcc, vcc, s[2:3]
	v_cndmask_b32_e32 v9, v9, v11, vcc
	v_cndmask_b32_e32 v8, v8, v10, vcc
	s_nop 0
	v_mov_b32_dpp v11, v9 quad_perm:[2,3,0,1] row_mask:0xf bank_mask:0xf
	v_mov_b32_dpp v10, v8 quad_perm:[2,3,0,1] row_mask:0xf bank_mask:0xf
	v_cmp_eq_f32_e64 s[2:3], v9, v11
	v_cmp_lt_i32_e64 s[6:7], v10, v8
	v_cmp_lt_f32_e32 vcc, v9, v11
	s_and_b64 s[2:3], s[2:3], s[6:7]
	s_or_b64 vcc, vcc, s[2:3]
	v_cndmask_b32_e32 v9, v9, v11, vcc
	v_cndmask_b32_e32 v10, v8, v10, vcc
	s_nop 0
	v_mov_b32_dpp v8, v9 row_half_mirror row_mask:0xf bank_mask:0xf
	v_mov_b32_dpp v11, v10 row_half_mirror row_mask:0xf bank_mask:0xf
	v_cmp_eq_f32_e64 s[2:3], v9, v8
	v_cmp_lt_i32_e64 s[6:7], v11, v10
	v_cmp_lt_f32_e32 vcc, v9, v8
	s_and_b64 s[2:3], s[2:3], s[6:7]
	s_or_b64 vcc, vcc, s[2:3]
	s_cmp_gt_i32 s8, 0
	v_cndmask_b32_e32 v8, v9, v8, vcc
	v_cndmask_b32_e32 v9, v10, v11, vcc
	s_cselect_b64 s[20:21], -1, 0
	v_mov_b32_dpp v11, v8 row_mirror row_mask:0xf bank_mask:0xf
	v_mov_b32_dpp v10, v9 row_mirror row_mask:0xf bank_mask:0xf
	s_and_b64 vcc, exec, s[20:21]
	s_cbranch_vccz .LBB73_18
; %bb.7:
	s_load_dwordx4 s[12:15], s[4:5], 0x20
	v_cmp_eq_f32_e64 s[2:3], v8, v11
	v_cmp_lt_i32_e64 s[6:7], v10, v9
	v_cmp_lt_f32_e32 vcc, v8, v11
	s_and_b64 s[2:3], s[2:3], s[6:7]
	s_or_b64 vcc, vcc, s[2:3]
	v_cndmask_b32_e32 v28, v9, v10, vcc
	v_cndmask_b32_e32 v27, v8, v11, vcc
	v_mul_lo_u32 v12, v14, s11
	v_mul_lo_u32 v10, v14, s22
	;; [unrolled: 1-line block ×3, first 2 shown]
	v_mov_b32_e32 v16, 0
	s_and_saveexec_b64 s[4:5], s[0:1]
	s_cbranch_execz .LBB73_9
; %bb.8:
	v_sub_f32_e32 v9, v27, v27
	v_mul_f32_e32 v11, 0x3fb8aa3b, v9
	s_mov_b32 s2, 0x3fb8aa3b
	v_rndne_f32_e32 v13, v11
	v_sub_f32_e32 v16, v11, v13
	v_fma_f32 v11, v9, s2, -v11
	v_fmac_f32_e32 v11, 0x32a5705f, v9
	v_add_f32_e32 v11, v16, v11
	v_exp_f32_e32 v11, v11
	v_cvt_i32_f32_e32 v13, v13
	v_cmp_le_i32_e32 vcc, s9, v28
	v_cmp_gt_i32_e64 s[2:3], s10, v28
	s_mov_b32 s6, 0xc2ce8ed0
	s_and_b64 s[2:3], vcc, s[2:3]
	v_ldexp_f32 v11, v11, v13
	v_cmp_ngt_f32_e32 vcc, s6, v9
	s_mov_b32 s6, 0x42b17218
	v_cndmask_b32_e32 v11, 0, v11, vcc
	v_mov_b32_e32 v13, 0x7f800000
	v_cmp_nlt_f32_e32 vcc, s6, v9
	v_cndmask_b32_e32 v16, v13, v11, vcc
	v_ashrrev_i32_e32 v13, 31, v12
	v_lshlrev_b64 v[30:31], 2, v[12:13]
	v_mov_b32_e32 v9, s17
	v_add_co_u32_e32 v30, vcc, s16, v30
	v_addc_co_u32_e32 v31, vcc, v9, v31, vcc
	v_subrev_u32_e32 v9, s9, v28
	v_mov_b32_e32 v11, 0x80
	s_and_b64 vcc, s[18:19], s[2:3]
	v_cndmask_b32_e32 v9, v11, v9, vcc
	v_ashrrev_i32_e32 v11, 31, v10
	global_store_dword v[30:31], v16, off
	v_lshlrev_b64 v[30:31], 2, v[10:11]
	s_waitcnt lgkmcnt(0)
	v_mov_b32_e32 v11, s13
	v_add_co_u32_e32 v30, vcc, s12, v30
	v_addc_co_u32_e32 v31, vcc, v11, v31, vcc
	global_store_dword v[30:31], v9, off
	v_ashrrev_i32_e32 v9, 31, v8
	v_lshlrev_b64 v[30:31], 2, v[8:9]
	v_mov_b32_e32 v9, s15
	v_add_co_u32_e32 v30, vcc, s14, v30
	v_addc_co_u32_e32 v31, vcc, v9, v31, vcc
	global_store_dword v[30:31], v14, off
.LBB73_9:
	s_or_b64 exec, exec, s[4:5]
	v_ashrrev_i32_e32 v11, 31, v28
	v_lshrrev_b32_e32 v9, 29, v11
	v_add_u32_e32 v9, v28, v9
	v_ashrrev_i32_e32 v9, 3, v9
	v_lshrrev_b32_e32 v13, 28, v9
	v_add_u32_e32 v13, v9, v13
	v_and_b32_e32 v13, -16, v13
	v_sub_u32_e32 v13, v9, v13
	v_cmp_eq_u32_e32 vcc, v15, v13
	s_and_saveexec_b64 s[2:3], vcc
	s_cbranch_execz .LBB73_11
; %bb.10:
	v_lshrrev_b32_e32 v11, 25, v11
	v_add_u32_e32 v11, v28, v11
	v_lshlrev_b32_e32 v9, 3, v9
	v_ashrrev_i32_e32 v11, 7, v11
	v_sub_u32_e32 v9, v28, v9
	v_lshl_add_u32 v9, v11, 3, v9
	v_mov_b32_e32 v11, 0xff800000
	v_cmp_ne_u32_e32 vcc, 7, v9
	v_cndmask_b32_e32 v3, v11, v3, vcc
	v_cmp_ne_u32_e32 vcc, 6, v9
	v_cndmask_b32_e32 v2, v11, v2, vcc
	;; [unrolled: 2-line block ×8, first 2 shown]
.LBB73_11:
	s_or_b64 exec, exec, s[2:3]
	s_cmp_eq_u32 s8, 1
	s_cbranch_scc1 .LBB73_18
; %bb.12:
	s_add_i32 s25, s25, s24
	s_add_i32 s6, s8, -1
	v_add3_u32 v25, s25, v26, v25
	v_add_u32_e32 v8, 1, v8
	v_add_u32_e32 v10, 1, v10
	;; [unrolled: 1-line block ×3, first 2 shown]
	s_mov_b32 s7, 0x3fb8aa3b
	s_mov_b32 s22, 0xc2ce8ed0
	;; [unrolled: 1-line block ×3, first 2 shown]
	v_mov_b32_e32 v26, 0x7f800000
	v_mov_b32_e32 v28, 0x80
	;; [unrolled: 1-line block ×3, first 2 shown]
	s_branch .LBB73_14
.LBB73_13:                              ;   in Loop: Header=BB73_14 Depth=1
	s_or_b64 exec, exec, s[2:3]
	s_add_i32 s6, s6, -1
	v_add_u32_e32 v25, s24, v25
	v_add_u32_e32 v8, 1, v8
	;; [unrolled: 1-line block ×3, first 2 shown]
	s_cmp_eq_u32 s6, 0
	v_add_u32_e32 v12, 1, v12
	s_cbranch_scc1 .LBB73_18
.LBB73_14:                              ; =>This Inner Loop Header: Depth=1
	v_cmp_gt_f32_e32 vcc, v5, v4
	v_cndmask_b32_e32 v11, v4, v5, vcc
	v_cndmask_b32_e32 v9, v17, v18, vcc
	v_cmp_gt_f32_e32 vcc, v6, v11
	v_cndmask_b32_e32 v11, v11, v6, vcc
	v_cndmask_b32_e32 v9, v9, v19, vcc
	;; [unrolled: 3-line block ×7, first 2 shown]
	s_nop 0
	v_mov_b32_dpp v13, v9 quad_perm:[1,0,3,2] row_mask:0xf bank_mask:0xf
	v_mov_b32_dpp v30, v11 quad_perm:[1,0,3,2] row_mask:0xf bank_mask:0xf
	v_cmp_eq_f32_e64 s[2:3], v11, v30
	v_cmp_lt_i32_e64 s[4:5], v13, v9
	v_cmp_lt_f32_e32 vcc, v11, v30
	s_and_b64 s[2:3], s[2:3], s[4:5]
	s_or_b64 vcc, vcc, s[2:3]
	v_cndmask_b32_e32 v11, v11, v30, vcc
	v_cndmask_b32_e32 v9, v9, v13, vcc
	s_nop 0
	v_mov_b32_dpp v30, v11 quad_perm:[2,3,0,1] row_mask:0xf bank_mask:0xf
	v_mov_b32_dpp v13, v9 quad_perm:[2,3,0,1] row_mask:0xf bank_mask:0xf
	v_cmp_eq_f32_e64 s[2:3], v11, v30
	v_cmp_lt_i32_e64 s[4:5], v13, v9
	v_cmp_lt_f32_e32 vcc, v11, v30
	s_and_b64 s[2:3], s[2:3], s[4:5]
	s_or_b64 vcc, vcc, s[2:3]
	v_cndmask_b32_e32 v11, v11, v30, vcc
	v_cndmask_b32_e32 v13, v9, v13, vcc
	s_nop 0
	v_mov_b32_dpp v9, v11 row_half_mirror row_mask:0xf bank_mask:0xf
	v_mov_b32_dpp v30, v13 row_half_mirror row_mask:0xf bank_mask:0xf
	v_cmp_eq_f32_e64 s[2:3], v11, v9
	v_cmp_lt_i32_e64 s[4:5], v30, v13
	v_cmp_lt_f32_e32 vcc, v11, v9
	s_and_b64 s[2:3], s[2:3], s[4:5]
	s_or_b64 vcc, vcc, s[2:3]
	v_cndmask_b32_e32 v9, v11, v9, vcc
	v_cndmask_b32_e32 v13, v13, v30, vcc
	s_nop 0
	v_mov_b32_dpp v11, v9 row_mirror row_mask:0xf bank_mask:0xf
	v_mov_b32_dpp v30, v13 row_mirror row_mask:0xf bank_mask:0xf
	v_cmp_eq_f32_e64 s[2:3], v9, v11
	v_cmp_lt_i32_e64 s[4:5], v30, v13
	v_cmp_lt_f32_e32 vcc, v9, v11
	s_and_b64 s[2:3], s[2:3], s[4:5]
	s_or_b64 vcc, vcc, s[2:3]
	v_cndmask_b32_e32 v30, v13, v30, vcc
	s_and_saveexec_b64 s[4:5], s[0:1]
	s_cbranch_execz .LBB73_16
; %bb.15:                               ;   in Loop: Header=BB73_14 Depth=1
	v_cndmask_b32_e32 v9, v9, v11, vcc
	v_sub_f32_e32 v9, v9, v27
	v_mul_f32_e32 v11, 0x3fb8aa3b, v9
	v_fma_f32 v13, v9, s7, -v11
	v_rndne_f32_e32 v31, v11
	v_fmac_f32_e32 v13, 0x32a5705f, v9
	v_sub_f32_e32 v11, v11, v31
	v_add_f32_e32 v11, v11, v13
	v_exp_f32_e32 v11, v11
	v_cvt_i32_f32_e32 v13, v31
	v_cmp_le_i32_e32 vcc, s9, v30
	v_cmp_gt_i32_e64 s[2:3], s10, v30
	s_and_b64 s[2:3], vcc, s[2:3]
	v_ldexp_f32 v11, v11, v13
	v_cmp_ngt_f32_e32 vcc, s22, v9
	v_ashrrev_i32_e32 v13, 31, v12
	v_cndmask_b32_e32 v11, 0, v11, vcc
	v_cmp_nlt_f32_e32 vcc, s23, v9
	v_lshlrev_b64 v[32:33], 2, v[12:13]
	v_cndmask_b32_e32 v31, v26, v11, vcc
	v_mov_b32_e32 v9, s17
	v_add_co_u32_e32 v32, vcc, s16, v32
	v_addc_co_u32_e32 v33, vcc, v9, v33, vcc
	v_ashrrev_i32_e32 v11, 31, v10
	global_store_dword v[32:33], v31, off
	v_subrev_u32_e32 v9, s9, v30
	s_and_b64 vcc, s[18:19], s[2:3]
	v_lshlrev_b64 v[32:33], 2, v[10:11]
	v_cndmask_b32_e32 v9, v28, v9, vcc
	s_waitcnt lgkmcnt(0)
	v_mov_b32_e32 v11, s13
	v_add_co_u32_e32 v32, vcc, s12, v32
	v_addc_co_u32_e32 v33, vcc, v11, v33, vcc
	global_store_dword v[32:33], v9, off
	v_ashrrev_i32_e32 v9, 31, v8
	v_lshlrev_b64 v[32:33], 2, v[8:9]
	v_mov_b32_e32 v9, s15
	v_add_co_u32_e32 v32, vcc, s14, v32
	v_addc_co_u32_e32 v33, vcc, v9, v33, vcc
	v_add_f32_e32 v16, v16, v31
	global_store_dword v[32:33], v25, off
.LBB73_16:                              ;   in Loop: Header=BB73_14 Depth=1
	s_or_b64 exec, exec, s[4:5]
	v_ashrrev_i32_e32 v11, 31, v30
	v_lshrrev_b32_e32 v9, 29, v11
	v_add_u32_e32 v9, v30, v9
	v_ashrrev_i32_e32 v9, 3, v9
	v_lshrrev_b32_e32 v13, 28, v9
	v_add_u32_e32 v13, v9, v13
	v_and_b32_e32 v13, -16, v13
	v_sub_u32_e32 v13, v9, v13
	v_cmp_eq_u32_e32 vcc, v15, v13
	s_and_saveexec_b64 s[2:3], vcc
	s_cbranch_execz .LBB73_13
; %bb.17:                               ;   in Loop: Header=BB73_14 Depth=1
	v_lshrrev_b32_e32 v11, 25, v11
	v_add_u32_e32 v11, v30, v11
	v_lshlrev_b32_e32 v9, 3, v9
	v_ashrrev_i32_e32 v11, 7, v11
	v_sub_u32_e32 v9, v30, v9
	v_lshl_add_u32 v9, v11, 3, v9
	v_cmp_ne_u32_e32 vcc, 7, v9
	v_cndmask_b32_e32 v3, v29, v3, vcc
	v_cmp_ne_u32_e32 vcc, 6, v9
	v_cndmask_b32_e32 v2, v29, v2, vcc
	;; [unrolled: 2-line block ×8, first 2 shown]
	s_branch .LBB73_13
.LBB73_18:
	v_cmp_neq_f32_e32 vcc, 0, v16
	s_and_b64 s[0:1], s[0:1], vcc
	s_and_b64 exec, exec, s[0:1]
	s_cbranch_execz .LBB73_29
; %bb.19:
	s_andn2_b64 vcc, exec, s[20:21]
	s_cbranch_vccnz .LBB73_29
; %bb.20:
	v_div_scale_f32 v0, s[0:1], v16, v16, 1.0
	v_rcp_f32_e32 v1, v0
	v_div_scale_f32 v2, vcc, 1.0, v16, 1.0
	s_cmp_gt_u32 s8, 3
	v_fma_f32 v3, -v0, v1, 1.0
	v_fmac_f32_e32 v1, v3, v1
	v_mul_f32_e32 v3, v2, v1
	v_fma_f32 v4, -v0, v3, v2
	v_fmac_f32_e32 v3, v4, v1
	v_fma_f32 v0, -v0, v3, v2
	v_div_fmas_f32 v0, v0, v1, v3
	v_mul_lo_u32 v2, v14, s11
	v_div_fixup_f32 v0, v0, v16, 1.0
	v_ashrrev_i32_e32 v3, 31, v2
	s_cbranch_scc0 .LBB73_24
; %bb.21:
	v_lshlrev_b64 v[4:5], 2, v[2:3]
	v_mov_b32_e32 v6, s17
	v_add_co_u32_e32 v4, vcc, s16, v4
	v_addc_co_u32_e32 v5, vcc, v5, v6, vcc
	s_and_b32 s4, s8, 0x7ffffffc
	v_add_co_u32_e32 v4, vcc, 8, v4
	v_mov_b32_e32 v1, v0
	v_addc_co_u32_e32 v5, vcc, 0, v5, vcc
	s_mov_b32 s0, s4
.LBB73_22:                              ; =>This Inner Loop Header: Depth=1
	global_load_dwordx4 v[6:9], v[4:5], off offset:-8
	s_add_i32 s0, s0, -4
	s_cmp_lg_u32 s0, 0
	s_waitcnt vmcnt(0)
	v_pk_mul_f32 v[6:7], v[0:1], v[6:7]
	v_pk_mul_f32 v[8:9], v[0:1], v[8:9]
	global_store_dwordx4 v[4:5], v[6:9], off offset:-8
	v_add_co_u32_e32 v4, vcc, 16, v4
	v_addc_co_u32_e32 v5, vcc, 0, v5, vcc
	s_cbranch_scc1 .LBB73_22
; %bb.23:
	s_cmp_lg_u32 s4, s8
	s_cselect_b64 s[0:1], -1, 0
	s_branch .LBB73_26
.LBB73_24:
	s_mov_b64 s[0:1], 0
                                        ; implicit-def: $sgpr4
	s_cbranch_execz .LBB73_26
; %bb.25:
	s_mov_b64 s[0:1], -1
	s_mov_b32 s4, 0
.LBB73_26:
	s_andn2_b64 vcc, exec, s[0:1]
	s_cbranch_vccnz .LBB73_29
; %bb.27:
	v_add_co_u32_e32 v2, vcc, s4, v2
	v_addc_co_u32_e32 v3, vcc, 0, v3, vcc
	v_lshlrev_b64 v[2:3], 2, v[2:3]
	v_mov_b32_e32 v1, s17
	v_add_co_u32_e32 v2, vcc, s16, v2
	s_sub_i32 s0, s8, s4
	v_addc_co_u32_e32 v3, vcc, v1, v3, vcc
.LBB73_28:                              ; =>This Inner Loop Header: Depth=1
	global_load_dword v1, v[2:3], off
	s_add_i32 s0, s0, -1
	s_cmp_lg_u32 s0, 0
	s_waitcnt vmcnt(0)
	v_mul_f32_e32 v1, v0, v1
	global_store_dword v[2:3], v1, off
	v_add_co_u32_e32 v2, vcc, 4, v2
	v_addc_co_u32_e32 v3, vcc, 0, v3, vcc
	s_cbranch_scc1 .LBB73_28
.LBB73_29:
	s_endpgm
	.section	.rodata,"a",@progbits
	.p2align	6, 0x0
	.amdhsa_kernel _ZN4vllm3moe17topkGatingSoftmaxIfLi8ELi128ELi8ELi32ELb1ELi1ELNS0_23SharedExpertScoringFuncE1EEEvPKT_PKbPfiPiS9_iiiiii
		.amdhsa_group_segment_fixed_size 0
		.amdhsa_private_segment_fixed_size 0
		.amdhsa_kernarg_size 72
		.amdhsa_user_sgpr_count 6
		.amdhsa_user_sgpr_private_segment_buffer 1
		.amdhsa_user_sgpr_dispatch_ptr 0
		.amdhsa_user_sgpr_queue_ptr 0
		.amdhsa_user_sgpr_kernarg_segment_ptr 1
		.amdhsa_user_sgpr_dispatch_id 0
		.amdhsa_user_sgpr_flat_scratch_init 0
		.amdhsa_user_sgpr_kernarg_preload_length 0
		.amdhsa_user_sgpr_kernarg_preload_offset 0
		.amdhsa_user_sgpr_private_segment_size 0
		.amdhsa_uses_dynamic_stack 0
		.amdhsa_system_sgpr_private_segment_wavefront_offset 0
		.amdhsa_system_sgpr_workgroup_id_x 1
		.amdhsa_system_sgpr_workgroup_id_y 0
		.amdhsa_system_sgpr_workgroup_id_z 0
		.amdhsa_system_sgpr_workgroup_info 0
		.amdhsa_system_vgpr_workitem_id 1
		.amdhsa_next_free_vgpr 34
		.amdhsa_next_free_sgpr 26
		.amdhsa_accum_offset 36
		.amdhsa_reserve_vcc 1
		.amdhsa_reserve_flat_scratch 0
		.amdhsa_float_round_mode_32 0
		.amdhsa_float_round_mode_16_64 0
		.amdhsa_float_denorm_mode_32 3
		.amdhsa_float_denorm_mode_16_64 3
		.amdhsa_dx10_clamp 1
		.amdhsa_ieee_mode 1
		.amdhsa_fp16_overflow 0
		.amdhsa_tg_split 0
		.amdhsa_exception_fp_ieee_invalid_op 0
		.amdhsa_exception_fp_denorm_src 0
		.amdhsa_exception_fp_ieee_div_zero 0
		.amdhsa_exception_fp_ieee_overflow 0
		.amdhsa_exception_fp_ieee_underflow 0
		.amdhsa_exception_fp_ieee_inexact 0
		.amdhsa_exception_int_div_zero 0
	.end_amdhsa_kernel
	.section	.text._ZN4vllm3moe17topkGatingSoftmaxIfLi8ELi128ELi8ELi32ELb1ELi1ELNS0_23SharedExpertScoringFuncE1EEEvPKT_PKbPfiPiS9_iiiiii,"axG",@progbits,_ZN4vllm3moe17topkGatingSoftmaxIfLi8ELi128ELi8ELi32ELb1ELi1ELNS0_23SharedExpertScoringFuncE1EEEvPKT_PKbPfiPiS9_iiiiii,comdat
.Lfunc_end73:
	.size	_ZN4vllm3moe17topkGatingSoftmaxIfLi8ELi128ELi8ELi32ELb1ELi1ELNS0_23SharedExpertScoringFuncE1EEEvPKT_PKbPfiPiS9_iiiiii, .Lfunc_end73-_ZN4vllm3moe17topkGatingSoftmaxIfLi8ELi128ELi8ELi32ELb1ELi1ELNS0_23SharedExpertScoringFuncE1EEEvPKT_PKbPfiPiS9_iiiiii
                                        ; -- End function
	.section	.AMDGPU.csdata,"",@progbits
; Kernel info:
; codeLenInByte = 2388
; NumSgprs: 30
; NumVgprs: 34
; NumAgprs: 0
; TotalNumVgprs: 34
; ScratchSize: 0
; MemoryBound: 0
; FloatMode: 240
; IeeeMode: 1
; LDSByteSize: 0 bytes/workgroup (compile time only)
; SGPRBlocks: 3
; VGPRBlocks: 4
; NumSGPRsForWavesPerEU: 30
; NumVGPRsForWavesPerEU: 34
; AccumOffset: 36
; Occupancy: 8
; WaveLimiterHint : 0
; COMPUTE_PGM_RSRC2:SCRATCH_EN: 0
; COMPUTE_PGM_RSRC2:USER_SGPR: 6
; COMPUTE_PGM_RSRC2:TRAP_HANDLER: 0
; COMPUTE_PGM_RSRC2:TGID_X_EN: 1
; COMPUTE_PGM_RSRC2:TGID_Y_EN: 0
; COMPUTE_PGM_RSRC2:TGID_Z_EN: 0
; COMPUTE_PGM_RSRC2:TIDIG_COMP_CNT: 1
; COMPUTE_PGM_RSRC3_GFX90A:ACCUM_OFFSET: 8
; COMPUTE_PGM_RSRC3_GFX90A:TG_SPLIT: 0
	.section	.text._ZN4vllm3moe17topkGatingSoftmaxIfLi8ELi128ELi8ELi32ELb0ELi1ELNS0_23SharedExpertScoringFuncE1EEEvPKT_PKbPfiPiS9_iiiiii,"axG",@progbits,_ZN4vllm3moe17topkGatingSoftmaxIfLi8ELi128ELi8ELi32ELb0ELi1ELNS0_23SharedExpertScoringFuncE1EEEvPKT_PKbPfiPiS9_iiiiii,comdat
	.protected	_ZN4vllm3moe17topkGatingSoftmaxIfLi8ELi128ELi8ELi32ELb0ELi1ELNS0_23SharedExpertScoringFuncE1EEEvPKT_PKbPfiPiS9_iiiiii ; -- Begin function _ZN4vllm3moe17topkGatingSoftmaxIfLi8ELi128ELi8ELi32ELb0ELi1ELNS0_23SharedExpertScoringFuncE1EEEvPKT_PKbPfiPiS9_iiiiii
	.globl	_ZN4vllm3moe17topkGatingSoftmaxIfLi8ELi128ELi8ELi32ELb0ELi1ELNS0_23SharedExpertScoringFuncE1EEEvPKT_PKbPfiPiS9_iiiiii
	.p2align	8
	.type	_ZN4vllm3moe17topkGatingSoftmaxIfLi8ELi128ELi8ELi32ELb0ELi1ELNS0_23SharedExpertScoringFuncE1EEEvPKT_PKbPfiPiS9_iiiiii,@function
_ZN4vllm3moe17topkGatingSoftmaxIfLi8ELi128ELi8ELi32ELb0ELi1ELNS0_23SharedExpertScoringFuncE1EEEvPKT_PKbPfiPiS9_iiiiii: ; @_ZN4vllm3moe17topkGatingSoftmaxIfLi8ELi128ELi8ELi32ELb0ELi1ELNS0_23SharedExpertScoringFuncE1EEEvPKT_PKbPfiPiS9_iiiiii
; %bb.0:
	s_load_dword s22, s[4:5], 0x18
	v_bfe_u32 v1, v0, 10, 10
	v_and_b32_e32 v0, 0x3ff, v0
	s_lshl_b32 s23, s6, 5
	v_lshlrev_b32_e32 v26, 2, v1
	v_lshrrev_b32_e32 v27, 4, v0
	v_add3_u32 v14, s23, v26, v27
	s_waitcnt lgkmcnt(0)
	v_cmp_gt_i32_e32 vcc, s22, v14
	s_and_saveexec_b64 s[0:1], vcc
	s_cbranch_execz .LBB74_31
; %bb.1:
	s_load_dwordx4 s[0:3], s[4:5], 0x0
	s_load_dwordx2 s[16:17], s[4:5], 0x10
	s_waitcnt lgkmcnt(0)
	s_cmp_eq_u64 s[2:3], 0
	s_cbranch_scc1 .LBB74_3
; %bb.2:
	v_ashrrev_i32_e32 v1, 31, v14
	v_mov_b32_e32 v3, s3
	v_add_co_u32_e32 v2, vcc, s2, v14
	v_addc_co_u32_e32 v3, vcc, v3, v1, vcc
	global_load_ubyte v1, v[2:3], off
	s_waitcnt vmcnt(0)
	v_and_b32_e32 v1, 1, v1
	v_cmp_eq_u32_e32 vcc, 1, v1
	s_xor_b64 s[2:3], vcc, -1
	s_orn2_b64 s[18:19], s[2:3], exec
	s_branch .LBB74_4
.LBB74_3:
	s_mov_b64 s[18:19], -1
.LBB74_4:
	s_load_dwordx2 s[20:21], s[4:5], 0x40
	s_load_dwordx4 s[8:11], s[4:5], 0x30
	v_mov_b32_e32 v1, s1
	v_and_b32_e32 v16, 15, v0
	v_lshlrev_b32_e32 v0, 5, v16
	s_waitcnt lgkmcnt(0)
	v_mul_lo_u32 v2, v14, s21
	v_ashrrev_i32_e32 v3, 31, v2
	v_lshlrev_b64 v[2:3], 2, v[2:3]
	v_add_co_u32_e32 v8, vcc, s0, v2
	v_addc_co_u32_e32 v9, vcc, v1, v3, vcc
	v_add_co_u32_e32 v10, vcc, v8, v0
	v_addc_co_u32_e32 v11, vcc, 0, v9, vcc
	global_load_dwordx4 v[0:3], v[10:11], off offset:16
	global_load_dwordx4 v[4:7], v[10:11], off
	v_lshlrev_b32_e32 v17, 3, v16
	v_mov_b32_e32 v15, 0
	v_cmp_eq_u32_e64 s[0:1], 0, v16
	s_and_saveexec_b64 s[2:3], s[0:1]
	s_cbranch_execz .LBB74_6
; %bb.5:
	global_load_dword v10, v[8:9], off offset:512
	s_mov_b32 s6, 0xbfb8aa3b
	s_mov_b32 s7, 0x42ce8ed0
	;; [unrolled: 1-line block ×3, first 2 shown]
	v_mov_b32_e32 v11, 0x7f800000
	v_mul_lo_u32 v8, v14, s11
	v_add_u32_e32 v8, s8, v8
	v_mov_b32_e32 v18, s17
	s_waitcnt vmcnt(0)
	v_mul_f32_e32 v9, 0xbfb8aa3b, v10
	v_rndne_f32_e32 v12, v9
	v_fma_f32 v13, v10, s6, -v9
	v_sub_f32_e32 v9, v9, v12
	v_fmac_f32_e32 v13, 0xb2a5705f, v10
	v_add_f32_e32 v9, v9, v13
	v_cvt_i32_f32_e32 v12, v12
	v_exp_f32_e32 v13, v9
	v_cmp_nlt_f32_e32 vcc, s7, v10
	v_ashrrev_i32_e32 v9, 31, v8
	v_lshlrev_b64 v[8:9], 2, v[8:9]
	v_ldexp_f32 v12, v13, v12
	v_cndmask_b32_e32 v12, 0, v12, vcc
	v_cmp_ngt_f32_e32 vcc, s12, v10
	v_cndmask_b32_e32 v10, v11, v12, vcc
	v_add_f32_e32 v10, 1.0, v10
	v_div_scale_f32 v11, s[6:7], v10, v10, 1.0
	v_rcp_f32_e32 v12, v11
	v_div_scale_f32 v13, vcc, 1.0, v10, 1.0
	v_fma_f32 v19, -v11, v12, 1.0
	v_fmac_f32_e32 v12, v19, v12
	v_mul_f32_e32 v19, v13, v12
	v_fma_f32 v20, -v11, v19, v13
	v_fmac_f32_e32 v19, v20, v12
	v_fma_f32 v11, -v11, v19, v13
	v_div_fmas_f32 v11, v11, v12, v19
	v_add_co_u32_e32 v8, vcc, s16, v8
	v_div_fixup_f32 v10, v11, v10, 1.0
	v_addc_co_u32_e32 v9, vcc, v18, v9, vcc
	global_store_dword v[8:9], v10, off
.LBB74_6:
	s_or_b64 exec, exec, s[2:3]
	s_waitcnt vmcnt(0)
	v_cmp_lt_f32_e32 vcc, v4, v5
	v_or_b32_e32 v19, 1, v17
	v_cndmask_b32_e32 v9, v4, v5, vcc
	v_cndmask_b32_e32 v8, v17, v19, vcc
	v_cmp_lt_f32_e32 vcc, v9, v6
	v_or_b32_e32 v20, 2, v17
	v_cndmask_b32_e32 v9, v9, v6, vcc
	v_cndmask_b32_e32 v8, v8, v20, vcc
	;; [unrolled: 4-line block ×6, first 2 shown]
	v_or_b32_e32 v25, 7, v17
	v_cmp_lt_f32_e32 vcc, v9, v3
	v_cndmask_b32_e32 v8, v8, v25, vcc
	v_cndmask_b32_e32 v9, v9, v3, vcc
	s_nop 0
	v_mov_b32_dpp v10, v8 quad_perm:[1,0,3,2] row_mask:0xf bank_mask:0xf
	v_mov_b32_dpp v11, v9 quad_perm:[1,0,3,2] row_mask:0xf bank_mask:0xf
	v_cmp_eq_f32_e64 s[2:3], v9, v11
	v_cmp_lt_i32_e64 s[6:7], v10, v8
	v_cmp_lt_f32_e32 vcc, v9, v11
	s_and_b64 s[2:3], s[2:3], s[6:7]
	s_or_b64 vcc, vcc, s[2:3]
	v_cndmask_b32_e32 v9, v9, v11, vcc
	v_cndmask_b32_e32 v8, v8, v10, vcc
	s_nop 0
	v_mov_b32_dpp v11, v9 quad_perm:[2,3,0,1] row_mask:0xf bank_mask:0xf
	v_mov_b32_dpp v10, v8 quad_perm:[2,3,0,1] row_mask:0xf bank_mask:0xf
	v_cmp_eq_f32_e64 s[2:3], v9, v11
	v_cmp_lt_i32_e64 s[6:7], v10, v8
	v_cmp_lt_f32_e32 vcc, v9, v11
	s_and_b64 s[2:3], s[2:3], s[6:7]
	s_or_b64 vcc, vcc, s[2:3]
	v_cndmask_b32_e32 v9, v9, v11, vcc
	v_cndmask_b32_e32 v8, v8, v10, vcc
	s_nop 0
	v_mov_b32_dpp v11, v9 row_half_mirror row_mask:0xf bank_mask:0xf
	v_mov_b32_dpp v10, v8 row_half_mirror row_mask:0xf bank_mask:0xf
	v_cmp_eq_f32_e64 s[2:3], v9, v11
	v_cmp_lt_i32_e64 s[6:7], v10, v8
	v_cmp_lt_f32_e32 vcc, v9, v11
	s_and_b64 s[2:3], s[2:3], s[6:7]
	s_or_b64 vcc, vcc, s[2:3]
	v_cndmask_b32_e32 v11, v9, v11, vcc
	v_cndmask_b32_e32 v8, v8, v10, vcc
	s_nop 0
	v_mov_b32_dpp v10, v11 row_mirror row_mask:0xf bank_mask:0xf
	v_mov_b32_dpp v9, v8 row_mirror row_mask:0xf bank_mask:0xf
	v_cmp_eq_f32_e64 s[2:3], v11, v10
	v_cmp_lt_i32_e64 s[6:7], v9, v8
	v_cmp_lt_f32_e32 vcc, v11, v10
	s_and_b64 s[2:3], s[2:3], s[6:7]
	s_or_b64 s[2:3], vcc, s[2:3]
	s_cmp_gt_i32 s8, 0
	s_cselect_b64 s[6:7], -1, 0
	v_cndmask_b32_e64 v18, v11, v10, s[2:3]
	s_and_b64 vcc, exec, s[6:7]
	s_cbranch_vccz .LBB74_18
; %bb.7:
	s_load_dwordx4 s[12:15], s[4:5], 0x20
	v_cndmask_b32_e64 v28, v8, v9, s[2:3]
	v_mul_lo_u32 v12, v14, s11
	v_mul_lo_u32 v10, v14, s20
	v_mul_lo_u32 v8, v14, s8
	v_mov_b32_e32 v15, 0
	s_and_saveexec_b64 s[4:5], s[0:1]
	s_cbranch_execz .LBB74_9
; %bb.8:
	v_sub_f32_e32 v9, v18, v18
	v_mul_f32_e32 v11, 0x3fb8aa3b, v9
	s_mov_b32 s2, 0x3fb8aa3b
	v_rndne_f32_e32 v13, v11
	v_sub_f32_e32 v15, v11, v13
	v_fma_f32 v11, v9, s2, -v11
	v_fmac_f32_e32 v11, 0x32a5705f, v9
	v_add_f32_e32 v11, v15, v11
	v_exp_f32_e32 v11, v11
	v_cvt_i32_f32_e32 v13, v13
	v_cmp_le_i32_e32 vcc, s9, v28
	v_cmp_gt_i32_e64 s[2:3], s10, v28
	s_mov_b32 s20, 0xc2ce8ed0
	s_and_b64 s[2:3], vcc, s[2:3]
	v_ldexp_f32 v11, v11, v13
	v_cmp_ngt_f32_e32 vcc, s20, v9
	s_mov_b32 s20, 0x42b17218
	v_cndmask_b32_e32 v11, 0, v11, vcc
	v_mov_b32_e32 v13, 0x7f800000
	v_cmp_nlt_f32_e32 vcc, s20, v9
	v_cndmask_b32_e32 v15, v13, v11, vcc
	v_ashrrev_i32_e32 v13, 31, v12
	v_lshlrev_b64 v[30:31], 2, v[12:13]
	v_mov_b32_e32 v9, s17
	v_add_co_u32_e32 v30, vcc, s16, v30
	v_addc_co_u32_e32 v31, vcc, v9, v31, vcc
	v_subrev_u32_e32 v9, s9, v28
	v_mov_b32_e32 v11, 0x80
	s_and_b64 vcc, s[18:19], s[2:3]
	v_cndmask_b32_e32 v9, v11, v9, vcc
	v_ashrrev_i32_e32 v11, 31, v10
	global_store_dword v[30:31], v15, off
	v_lshlrev_b64 v[30:31], 2, v[10:11]
	s_waitcnt lgkmcnt(0)
	v_mov_b32_e32 v11, s13
	v_add_co_u32_e32 v30, vcc, s12, v30
	v_addc_co_u32_e32 v31, vcc, v11, v31, vcc
	global_store_dword v[30:31], v9, off
	v_ashrrev_i32_e32 v9, 31, v8
	v_lshlrev_b64 v[30:31], 2, v[8:9]
	v_mov_b32_e32 v9, s15
	v_add_co_u32_e32 v30, vcc, s14, v30
	v_addc_co_u32_e32 v31, vcc, v9, v31, vcc
	global_store_dword v[30:31], v14, off
.LBB74_9:
	s_or_b64 exec, exec, s[4:5]
	v_ashrrev_i32_e32 v11, 31, v28
	v_lshrrev_b32_e32 v9, 29, v11
	v_add_u32_e32 v9, v28, v9
	v_ashrrev_i32_e32 v9, 3, v9
	v_lshrrev_b32_e32 v13, 28, v9
	v_add_u32_e32 v13, v9, v13
	v_and_b32_e32 v13, -16, v13
	v_sub_u32_e32 v13, v9, v13
	v_cmp_eq_u32_e32 vcc, v16, v13
	s_and_saveexec_b64 s[2:3], vcc
	s_cbranch_execz .LBB74_11
; %bb.10:
	v_lshrrev_b32_e32 v11, 25, v11
	v_add_u32_e32 v11, v28, v11
	v_lshlrev_b32_e32 v9, 3, v9
	v_ashrrev_i32_e32 v11, 7, v11
	v_sub_u32_e32 v9, v28, v9
	v_lshl_add_u32 v9, v11, 3, v9
	v_mov_b32_e32 v11, 0xff800000
	v_cmp_ne_u32_e32 vcc, 7, v9
	v_cndmask_b32_e32 v3, v11, v3, vcc
	v_cmp_ne_u32_e32 vcc, 6, v9
	v_cndmask_b32_e32 v2, v11, v2, vcc
	v_cmp_ne_u32_e32 vcc, 5, v9
	v_cndmask_b32_e32 v1, v11, v1, vcc
	v_cmp_ne_u32_e32 vcc, 4, v9
	v_cndmask_b32_e32 v0, v11, v0, vcc
	v_cmp_ne_u32_e32 vcc, 3, v9
	v_cndmask_b32_e32 v7, v11, v7, vcc
	v_cmp_ne_u32_e32 vcc, 2, v9
	v_cndmask_b32_e32 v6, v11, v6, vcc
	v_cmp_ne_u32_e32 vcc, 1, v9
	v_cndmask_b32_e32 v5, v11, v5, vcc
	v_cmp_ne_u32_e32 vcc, 0, v9
	v_cndmask_b32_e32 v4, v11, v4, vcc
.LBB74_11:
	s_or_b64 exec, exec, s[2:3]
	s_cmp_eq_u32 s8, 1
	s_cbranch_scc1 .LBB74_18
; %bb.12:
	s_add_i32 s23, s23, s22
	s_add_i32 s20, s8, -1
	v_add3_u32 v26, s23, v27, v26
	v_add_u32_e32 v8, 1, v8
	v_add_u32_e32 v10, 1, v10
	;; [unrolled: 1-line block ×3, first 2 shown]
	s_mov_b32 s21, 0x3fb8aa3b
	s_mov_b32 s23, 0xc2ce8ed0
	;; [unrolled: 1-line block ×3, first 2 shown]
	v_mov_b32_e32 v27, 0x7f800000
	v_mov_b32_e32 v28, 0x80
	;; [unrolled: 1-line block ×3, first 2 shown]
	s_branch .LBB74_14
.LBB74_13:                              ;   in Loop: Header=BB74_14 Depth=1
	s_or_b64 exec, exec, s[2:3]
	s_add_i32 s20, s20, -1
	v_add_u32_e32 v26, s22, v26
	v_add_u32_e32 v8, 1, v8
	;; [unrolled: 1-line block ×3, first 2 shown]
	s_cmp_eq_u32 s20, 0
	v_add_u32_e32 v12, 1, v12
	s_cbranch_scc1 .LBB74_18
.LBB74_14:                              ; =>This Inner Loop Header: Depth=1
	v_cmp_gt_f32_e32 vcc, v5, v4
	v_cndmask_b32_e32 v11, v4, v5, vcc
	v_cndmask_b32_e32 v9, v17, v19, vcc
	v_cmp_gt_f32_e32 vcc, v6, v11
	v_cndmask_b32_e32 v11, v11, v6, vcc
	v_cndmask_b32_e32 v9, v9, v20, vcc
	;; [unrolled: 3-line block ×7, first 2 shown]
	s_nop 0
	v_mov_b32_dpp v13, v9 quad_perm:[1,0,3,2] row_mask:0xf bank_mask:0xf
	v_mov_b32_dpp v30, v11 quad_perm:[1,0,3,2] row_mask:0xf bank_mask:0xf
	v_cmp_eq_f32_e64 s[2:3], v11, v30
	v_cmp_lt_i32_e64 s[4:5], v13, v9
	v_cmp_lt_f32_e32 vcc, v11, v30
	s_and_b64 s[2:3], s[2:3], s[4:5]
	s_or_b64 vcc, vcc, s[2:3]
	v_cndmask_b32_e32 v11, v11, v30, vcc
	v_cndmask_b32_e32 v9, v9, v13, vcc
	s_nop 0
	v_mov_b32_dpp v30, v11 quad_perm:[2,3,0,1] row_mask:0xf bank_mask:0xf
	v_mov_b32_dpp v13, v9 quad_perm:[2,3,0,1] row_mask:0xf bank_mask:0xf
	v_cmp_eq_f32_e64 s[2:3], v11, v30
	v_cmp_lt_i32_e64 s[4:5], v13, v9
	v_cmp_lt_f32_e32 vcc, v11, v30
	s_and_b64 s[2:3], s[2:3], s[4:5]
	s_or_b64 vcc, vcc, s[2:3]
	v_cndmask_b32_e32 v11, v11, v30, vcc
	v_cndmask_b32_e32 v13, v9, v13, vcc
	s_nop 0
	v_mov_b32_dpp v9, v11 row_half_mirror row_mask:0xf bank_mask:0xf
	v_mov_b32_dpp v30, v13 row_half_mirror row_mask:0xf bank_mask:0xf
	v_cmp_eq_f32_e64 s[2:3], v11, v9
	v_cmp_lt_i32_e64 s[4:5], v30, v13
	v_cmp_lt_f32_e32 vcc, v11, v9
	s_and_b64 s[2:3], s[2:3], s[4:5]
	s_or_b64 vcc, vcc, s[2:3]
	v_cndmask_b32_e32 v9, v11, v9, vcc
	v_cndmask_b32_e32 v13, v13, v30, vcc
	s_nop 0
	v_mov_b32_dpp v11, v9 row_mirror row_mask:0xf bank_mask:0xf
	v_mov_b32_dpp v30, v13 row_mirror row_mask:0xf bank_mask:0xf
	v_cmp_eq_f32_e64 s[2:3], v9, v11
	v_cmp_lt_i32_e64 s[4:5], v30, v13
	v_cmp_lt_f32_e32 vcc, v9, v11
	s_and_b64 s[2:3], s[2:3], s[4:5]
	s_or_b64 vcc, vcc, s[2:3]
	v_cndmask_b32_e32 v30, v13, v30, vcc
	s_and_saveexec_b64 s[4:5], s[0:1]
	s_cbranch_execz .LBB74_16
; %bb.15:                               ;   in Loop: Header=BB74_14 Depth=1
	v_cndmask_b32_e32 v9, v9, v11, vcc
	v_sub_f32_e32 v9, v9, v18
	v_mul_f32_e32 v11, 0x3fb8aa3b, v9
	v_fma_f32 v13, v9, s21, -v11
	v_rndne_f32_e32 v31, v11
	v_fmac_f32_e32 v13, 0x32a5705f, v9
	v_sub_f32_e32 v11, v11, v31
	v_add_f32_e32 v11, v11, v13
	v_exp_f32_e32 v11, v11
	v_cvt_i32_f32_e32 v13, v31
	v_cmp_le_i32_e32 vcc, s9, v30
	v_cmp_gt_i32_e64 s[2:3], s10, v30
	s_and_b64 s[2:3], vcc, s[2:3]
	v_ldexp_f32 v11, v11, v13
	v_cmp_ngt_f32_e32 vcc, s23, v9
	v_ashrrev_i32_e32 v13, 31, v12
	v_cndmask_b32_e32 v11, 0, v11, vcc
	v_cmp_nlt_f32_e32 vcc, s24, v9
	v_lshlrev_b64 v[32:33], 2, v[12:13]
	v_cndmask_b32_e32 v31, v27, v11, vcc
	v_mov_b32_e32 v9, s17
	v_add_co_u32_e32 v32, vcc, s16, v32
	v_addc_co_u32_e32 v33, vcc, v9, v33, vcc
	v_ashrrev_i32_e32 v11, 31, v10
	global_store_dword v[32:33], v31, off
	v_subrev_u32_e32 v9, s9, v30
	s_and_b64 vcc, s[18:19], s[2:3]
	v_lshlrev_b64 v[32:33], 2, v[10:11]
	v_cndmask_b32_e32 v9, v28, v9, vcc
	s_waitcnt lgkmcnt(0)
	v_mov_b32_e32 v11, s13
	v_add_co_u32_e32 v32, vcc, s12, v32
	v_addc_co_u32_e32 v33, vcc, v11, v33, vcc
	global_store_dword v[32:33], v9, off
	v_ashrrev_i32_e32 v9, 31, v8
	v_lshlrev_b64 v[32:33], 2, v[8:9]
	v_mov_b32_e32 v9, s15
	v_add_co_u32_e32 v32, vcc, s14, v32
	v_addc_co_u32_e32 v33, vcc, v9, v33, vcc
	v_add_f32_e32 v15, v15, v31
	global_store_dword v[32:33], v26, off
.LBB74_16:                              ;   in Loop: Header=BB74_14 Depth=1
	s_or_b64 exec, exec, s[4:5]
	v_ashrrev_i32_e32 v11, 31, v30
	v_lshrrev_b32_e32 v9, 29, v11
	v_add_u32_e32 v9, v30, v9
	v_ashrrev_i32_e32 v9, 3, v9
	v_lshrrev_b32_e32 v13, 28, v9
	v_add_u32_e32 v13, v9, v13
	v_and_b32_e32 v13, -16, v13
	v_sub_u32_e32 v13, v9, v13
	v_cmp_eq_u32_e32 vcc, v16, v13
	s_and_saveexec_b64 s[2:3], vcc
	s_cbranch_execz .LBB74_13
; %bb.17:                               ;   in Loop: Header=BB74_14 Depth=1
	v_lshrrev_b32_e32 v11, 25, v11
	v_add_u32_e32 v11, v30, v11
	v_lshlrev_b32_e32 v9, 3, v9
	v_ashrrev_i32_e32 v11, 7, v11
	v_sub_u32_e32 v9, v30, v9
	v_lshl_add_u32 v9, v11, 3, v9
	v_cmp_ne_u32_e32 vcc, 7, v9
	v_cndmask_b32_e32 v3, v29, v3, vcc
	v_cmp_ne_u32_e32 vcc, 6, v9
	v_cndmask_b32_e32 v2, v29, v2, vcc
	;; [unrolled: 2-line block ×8, first 2 shown]
	s_branch .LBB74_13
.LBB74_18:
	v_sub_f32_e32 v4, v4, v18
	s_mov_b32 s2, 0x3fb8aa3b
	v_mul_f32_e32 v8, 0x3fb8aa3b, v4
	v_fma_f32 v9, v4, s2, -v8
	v_rndne_f32_e32 v10, v8
	v_fmac_f32_e32 v9, 0x32a5705f, v4
	v_sub_f32_e32 v8, v8, v10
	v_add_f32_e32 v8, v8, v9
	v_exp_f32_e32 v8, v8
	v_cvt_i32_f32_e32 v9, v10
	v_sub_f32_e32 v5, v5, v18
	s_mov_b32 s3, 0xc2ce8ed0
	v_cmp_ngt_f32_e32 vcc, s3, v4
	v_ldexp_f32 v8, v8, v9
	v_mul_f32_e32 v9, 0x3fb8aa3b, v5
	v_fma_f32 v10, v5, s2, -v9
	v_rndne_f32_e32 v11, v9
	v_fmac_f32_e32 v10, 0x32a5705f, v5
	v_sub_f32_e32 v9, v9, v11
	v_add_f32_e32 v9, v9, v10
	v_exp_f32_e32 v9, v9
	v_cvt_i32_f32_e32 v10, v11
	s_mov_b32 s4, 0x42b17218
	v_cndmask_b32_e32 v8, 0, v8, vcc
	v_mov_b32_e32 v11, 0x7f800000
	v_cmp_nlt_f32_e32 vcc, s4, v4
	v_sub_f32_e32 v6, v6, v18
	v_cndmask_b32_e32 v4, v11, v8, vcc
	v_ldexp_f32 v8, v9, v10
	v_mul_f32_e32 v9, 0x3fb8aa3b, v6
	v_fma_f32 v10, v6, s2, -v9
	v_rndne_f32_e32 v12, v9
	v_fmac_f32_e32 v10, 0x32a5705f, v6
	v_sub_f32_e32 v9, v9, v12
	v_add_f32_e32 v9, v9, v10
	v_exp_f32_e32 v9, v9
	v_cvt_i32_f32_e32 v10, v12
	v_cmp_ngt_f32_e32 vcc, s3, v5
	v_cndmask_b32_e32 v8, 0, v8, vcc
	v_cmp_nlt_f32_e32 vcc, s4, v5
	v_sub_f32_e32 v7, v7, v18
	v_cndmask_b32_e32 v5, v11, v8, vcc
	v_mul_f32_e32 v8, 0x3fb8aa3b, v7
	v_add_f32_e32 v4, v4, v5
	v_ldexp_f32 v5, v9, v10
	v_fma_f32 v9, v7, s2, -v8
	v_rndne_f32_e32 v10, v8
	v_fmac_f32_e32 v9, 0x32a5705f, v7
	v_sub_f32_e32 v8, v8, v10
	v_add_f32_e32 v8, v8, v9
	v_exp_f32_e32 v8, v8
	v_cvt_i32_f32_e32 v9, v10
	v_cmp_ngt_f32_e32 vcc, s3, v6
	v_cndmask_b32_e32 v5, 0, v5, vcc
	v_cmp_nlt_f32_e32 vcc, s4, v6
	v_sub_f32_e32 v0, v0, v18
	v_cndmask_b32_e32 v5, v11, v5, vcc
	v_mul_f32_e32 v6, 0x3fb8aa3b, v0
	v_add_f32_e32 v4, v4, v5
	v_ldexp_f32 v5, v8, v9
	v_fma_f32 v8, v0, s2, -v6
	v_rndne_f32_e32 v9, v6
	v_fmac_f32_e32 v8, 0x32a5705f, v0
	v_sub_f32_e32 v6, v6, v9
	v_add_f32_e32 v6, v6, v8
	v_exp_f32_e32 v6, v6
	v_cvt_i32_f32_e32 v8, v9
	v_cmp_ngt_f32_e32 vcc, s3, v7
	v_cndmask_b32_e32 v5, 0, v5, vcc
	v_cmp_nlt_f32_e32 vcc, s4, v7
	v_cndmask_b32_e32 v5, v11, v5, vcc
	v_sub_f32_e32 v1, v1, v18
	v_add_f32_e32 v4, v4, v5
	v_ldexp_f32 v5, v6, v8
	v_mul_f32_e32 v6, 0x3fb8aa3b, v1
	v_fma_f32 v7, v1, s2, -v6
	v_rndne_f32_e32 v8, v6
	v_fmac_f32_e32 v7, 0x32a5705f, v1
	v_sub_f32_e32 v6, v6, v8
	v_add_f32_e32 v6, v6, v7
	v_exp_f32_e32 v6, v6
	v_cvt_i32_f32_e32 v7, v8
	v_cmp_ngt_f32_e32 vcc, s3, v0
	v_cndmask_b32_e32 v5, 0, v5, vcc
	v_cmp_nlt_f32_e32 vcc, s4, v0
	v_sub_f32_e32 v2, v2, v18
	v_cndmask_b32_e32 v0, v11, v5, vcc
	v_mul_f32_e32 v5, 0x3fb8aa3b, v2
	v_add_f32_e32 v0, v4, v0
	v_ldexp_f32 v4, v6, v7
	v_fma_f32 v6, v2, s2, -v5
	v_rndne_f32_e32 v7, v5
	v_fmac_f32_e32 v6, 0x32a5705f, v2
	v_sub_f32_e32 v5, v5, v7
	v_add_f32_e32 v5, v5, v6
	v_exp_f32_e32 v5, v5
	v_cvt_i32_f32_e32 v6, v7
	v_cmp_ngt_f32_e32 vcc, s3, v1
	v_cndmask_b32_e32 v4, 0, v4, vcc
	v_cmp_nlt_f32_e32 vcc, s4, v1
	v_sub_f32_e32 v3, v3, v18
	v_cndmask_b32_e32 v1, v11, v4, vcc
	v_mul_f32_e32 v4, 0x3fb8aa3b, v3
	v_add_f32_e32 v0, v0, v1
	v_ldexp_f32 v1, v5, v6
	v_fma_f32 v5, v3, s2, -v4
	v_rndne_f32_e32 v6, v4
	v_fmac_f32_e32 v5, 0x32a5705f, v3
	v_sub_f32_e32 v4, v4, v6
	v_add_f32_e32 v4, v4, v5
	v_exp_f32_e32 v4, v4
	v_cvt_i32_f32_e32 v5, v6
	v_cmp_ngt_f32_e32 vcc, s3, v2
	v_cndmask_b32_e32 v1, 0, v1, vcc
	v_cmp_nlt_f32_e32 vcc, s4, v2
	v_cndmask_b32_e32 v1, v11, v1, vcc
	v_add_f32_e32 v0, v0, v1
	v_ldexp_f32 v1, v4, v5
	v_cmp_ngt_f32_e32 vcc, s3, v3
	v_cndmask_b32_e32 v1, 0, v1, vcc
	v_cmp_nlt_f32_e32 vcc, s4, v3
	v_cndmask_b32_e32 v1, v11, v1, vcc
	v_add_f32_e32 v0, v0, v1
	s_nop 1
	v_mov_b32_dpp v1, v0 quad_perm:[1,0,3,2] row_mask:0xf bank_mask:0xf
	v_add_f32_e32 v0, v0, v1
	s_nop 1
	v_mov_b32_dpp v1, v0 quad_perm:[2,3,0,1] row_mask:0xf bank_mask:0xf
	v_add_f32_e32 v0, v0, v1
	s_nop 1
	v_mov_b32_dpp v1, v0 row_half_mirror row_mask:0xf bank_mask:0xf
	v_add_f32_e32 v0, v0, v1
	s_nop 1
	v_mov_b32_dpp v1, v0 row_mirror row_mask:0xf bank_mask:0xf
	s_and_b64 exec, exec, s[0:1]
	s_cbranch_execz .LBB74_31
; %bb.19:
	v_add_f32_e32 v0, v0, v1
	v_add_f32_e32 v0, v15, v0
	v_cmp_neq_f32_e32 vcc, 0, v0
	s_and_b64 exec, exec, vcc
	s_cbranch_execz .LBB74_31
; %bb.20:
	s_andn2_b64 vcc, exec, s[6:7]
	s_cbranch_vccnz .LBB74_31
; %bb.21:
	v_div_scale_f32 v1, s[0:1], v0, v0, 1.0
	v_rcp_f32_e32 v2, v1
	v_div_scale_f32 v3, vcc, 1.0, v0, 1.0
	s_cmp_gt_u32 s8, 3
	v_fma_f32 v4, -v1, v2, 1.0
	v_fmac_f32_e32 v2, v4, v2
	v_mul_f32_e32 v4, v3, v2
	v_fma_f32 v5, -v1, v4, v3
	v_fmac_f32_e32 v4, v5, v2
	v_fma_f32 v1, -v1, v4, v3
	v_div_fmas_f32 v1, v1, v2, v4
	v_mul_lo_u32 v2, v14, s11
	v_div_fixup_f32 v0, v1, v0, 1.0
	v_ashrrev_i32_e32 v3, 31, v2
	s_cbranch_scc0 .LBB74_25
; %bb.22:
	v_lshlrev_b64 v[4:5], 2, v[2:3]
	v_mov_b32_e32 v6, s17
	v_add_co_u32_e32 v4, vcc, s16, v4
	v_addc_co_u32_e32 v5, vcc, v5, v6, vcc
	s_and_b32 s4, s8, 0x7ffffffc
	v_add_co_u32_e32 v4, vcc, 8, v4
	v_mov_b32_e32 v1, v0
	v_addc_co_u32_e32 v5, vcc, 0, v5, vcc
	s_mov_b32 s0, s4
.LBB74_23:                              ; =>This Inner Loop Header: Depth=1
	global_load_dwordx4 v[6:9], v[4:5], off offset:-8
	s_add_i32 s0, s0, -4
	s_cmp_lg_u32 s0, 0
	s_waitcnt vmcnt(0)
	v_pk_mul_f32 v[6:7], v[0:1], v[6:7]
	v_pk_mul_f32 v[8:9], v[0:1], v[8:9]
	global_store_dwordx4 v[4:5], v[6:9], off offset:-8
	v_add_co_u32_e32 v4, vcc, 16, v4
	v_addc_co_u32_e32 v5, vcc, 0, v5, vcc
	s_cbranch_scc1 .LBB74_23
; %bb.24:
	s_cmp_lg_u32 s4, s8
	s_mov_b64 s[2:3], 0
	s_cselect_b64 s[0:1], -1, 0
	s_branch .LBB74_26
.LBB74_25:
	s_mov_b64 s[2:3], -1
	s_mov_b64 s[0:1], 0
                                        ; implicit-def: $sgpr4
.LBB74_26:
	s_and_b64 vcc, exec, s[2:3]
	s_cbranch_vccz .LBB74_28
; %bb.27:
	s_mov_b64 s[0:1], -1
	s_mov_b32 s4, 0
.LBB74_28:
	s_andn2_b64 vcc, exec, s[0:1]
	s_cbranch_vccnz .LBB74_31
; %bb.29:
	v_add_co_u32_e32 v2, vcc, s4, v2
	v_addc_co_u32_e32 v3, vcc, 0, v3, vcc
	v_lshlrev_b64 v[2:3], 2, v[2:3]
	v_mov_b32_e32 v1, s17
	v_add_co_u32_e32 v2, vcc, s16, v2
	s_sub_i32 s0, s8, s4
	v_addc_co_u32_e32 v3, vcc, v1, v3, vcc
.LBB74_30:                              ; =>This Inner Loop Header: Depth=1
	global_load_dword v1, v[2:3], off
	s_add_i32 s0, s0, -1
	s_cmp_lg_u32 s0, 0
	s_waitcnt vmcnt(0)
	v_mul_f32_e32 v1, v0, v1
	global_store_dword v[2:3], v1, off
	v_add_co_u32_e32 v2, vcc, 4, v2
	v_addc_co_u32_e32 v3, vcc, 0, v3, vcc
	s_cbranch_scc1 .LBB74_30
.LBB74_31:
	s_endpgm
	.section	.rodata,"a",@progbits
	.p2align	6, 0x0
	.amdhsa_kernel _ZN4vllm3moe17topkGatingSoftmaxIfLi8ELi128ELi8ELi32ELb0ELi1ELNS0_23SharedExpertScoringFuncE1EEEvPKT_PKbPfiPiS9_iiiiii
		.amdhsa_group_segment_fixed_size 0
		.amdhsa_private_segment_fixed_size 0
		.amdhsa_kernarg_size 72
		.amdhsa_user_sgpr_count 6
		.amdhsa_user_sgpr_private_segment_buffer 1
		.amdhsa_user_sgpr_dispatch_ptr 0
		.amdhsa_user_sgpr_queue_ptr 0
		.amdhsa_user_sgpr_kernarg_segment_ptr 1
		.amdhsa_user_sgpr_dispatch_id 0
		.amdhsa_user_sgpr_flat_scratch_init 0
		.amdhsa_user_sgpr_kernarg_preload_length 0
		.amdhsa_user_sgpr_kernarg_preload_offset 0
		.amdhsa_user_sgpr_private_segment_size 0
		.amdhsa_uses_dynamic_stack 0
		.amdhsa_system_sgpr_private_segment_wavefront_offset 0
		.amdhsa_system_sgpr_workgroup_id_x 1
		.amdhsa_system_sgpr_workgroup_id_y 0
		.amdhsa_system_sgpr_workgroup_id_z 0
		.amdhsa_system_sgpr_workgroup_info 0
		.amdhsa_system_vgpr_workitem_id 1
		.amdhsa_next_free_vgpr 34
		.amdhsa_next_free_sgpr 25
		.amdhsa_accum_offset 36
		.amdhsa_reserve_vcc 1
		.amdhsa_reserve_flat_scratch 0
		.amdhsa_float_round_mode_32 0
		.amdhsa_float_round_mode_16_64 0
		.amdhsa_float_denorm_mode_32 3
		.amdhsa_float_denorm_mode_16_64 3
		.amdhsa_dx10_clamp 1
		.amdhsa_ieee_mode 1
		.amdhsa_fp16_overflow 0
		.amdhsa_tg_split 0
		.amdhsa_exception_fp_ieee_invalid_op 0
		.amdhsa_exception_fp_denorm_src 0
		.amdhsa_exception_fp_ieee_div_zero 0
		.amdhsa_exception_fp_ieee_overflow 0
		.amdhsa_exception_fp_ieee_underflow 0
		.amdhsa_exception_fp_ieee_inexact 0
		.amdhsa_exception_int_div_zero 0
	.end_amdhsa_kernel
	.section	.text._ZN4vllm3moe17topkGatingSoftmaxIfLi8ELi128ELi8ELi32ELb0ELi1ELNS0_23SharedExpertScoringFuncE1EEEvPKT_PKbPfiPiS9_iiiiii,"axG",@progbits,_ZN4vllm3moe17topkGatingSoftmaxIfLi8ELi128ELi8ELi32ELb0ELi1ELNS0_23SharedExpertScoringFuncE1EEEvPKT_PKbPfiPiS9_iiiiii,comdat
.Lfunc_end74:
	.size	_ZN4vllm3moe17topkGatingSoftmaxIfLi8ELi128ELi8ELi32ELb0ELi1ELNS0_23SharedExpertScoringFuncE1EEEvPKT_PKbPfiPiS9_iiiiii, .Lfunc_end74-_ZN4vllm3moe17topkGatingSoftmaxIfLi8ELi128ELi8ELi32ELb0ELi1ELNS0_23SharedExpertScoringFuncE1EEEvPKT_PKbPfiPiS9_iiiiii
                                        ; -- End function
	.section	.AMDGPU.csdata,"",@progbits
; Kernel info:
; codeLenInByte = 3120
; NumSgprs: 29
; NumVgprs: 34
; NumAgprs: 0
; TotalNumVgprs: 34
; ScratchSize: 0
; MemoryBound: 0
; FloatMode: 240
; IeeeMode: 1
; LDSByteSize: 0 bytes/workgroup (compile time only)
; SGPRBlocks: 3
; VGPRBlocks: 4
; NumSGPRsForWavesPerEU: 29
; NumVGPRsForWavesPerEU: 34
; AccumOffset: 36
; Occupancy: 8
; WaveLimiterHint : 0
; COMPUTE_PGM_RSRC2:SCRATCH_EN: 0
; COMPUTE_PGM_RSRC2:USER_SGPR: 6
; COMPUTE_PGM_RSRC2:TRAP_HANDLER: 0
; COMPUTE_PGM_RSRC2:TGID_X_EN: 1
; COMPUTE_PGM_RSRC2:TGID_Y_EN: 0
; COMPUTE_PGM_RSRC2:TGID_Z_EN: 0
; COMPUTE_PGM_RSRC2:TIDIG_COMP_CNT: 1
; COMPUTE_PGM_RSRC3_GFX90A:ACCUM_OFFSET: 8
; COMPUTE_PGM_RSRC3_GFX90A:TG_SPLIT: 0
	.section	.text._ZN4vllm3moe17topkGatingSoftmaxIfLi8ELi128ELi8ELi32ELb1ELi2ELNS0_23SharedExpertScoringFuncE1EEEvPKT_PKbPfiPiS9_iiiiii,"axG",@progbits,_ZN4vllm3moe17topkGatingSoftmaxIfLi8ELi128ELi8ELi32ELb1ELi2ELNS0_23SharedExpertScoringFuncE1EEEvPKT_PKbPfiPiS9_iiiiii,comdat
	.protected	_ZN4vllm3moe17topkGatingSoftmaxIfLi8ELi128ELi8ELi32ELb1ELi2ELNS0_23SharedExpertScoringFuncE1EEEvPKT_PKbPfiPiS9_iiiiii ; -- Begin function _ZN4vllm3moe17topkGatingSoftmaxIfLi8ELi128ELi8ELi32ELb1ELi2ELNS0_23SharedExpertScoringFuncE1EEEvPKT_PKbPfiPiS9_iiiiii
	.globl	_ZN4vllm3moe17topkGatingSoftmaxIfLi8ELi128ELi8ELi32ELb1ELi2ELNS0_23SharedExpertScoringFuncE1EEEvPKT_PKbPfiPiS9_iiiiii
	.p2align	8
	.type	_ZN4vllm3moe17topkGatingSoftmaxIfLi8ELi128ELi8ELi32ELb1ELi2ELNS0_23SharedExpertScoringFuncE1EEEvPKT_PKbPfiPiS9_iiiiii,@function
_ZN4vllm3moe17topkGatingSoftmaxIfLi8ELi128ELi8ELi32ELb1ELi2ELNS0_23SharedExpertScoringFuncE1EEEvPKT_PKbPfiPiS9_iiiiii: ; @_ZN4vllm3moe17topkGatingSoftmaxIfLi8ELi128ELi8ELi32ELb1ELi2ELNS0_23SharedExpertScoringFuncE1EEEvPKT_PKbPfiPiS9_iiiiii
; %bb.0:
	s_load_dword s24, s[4:5], 0x18
	v_bfe_u32 v1, v0, 10, 10
	v_and_b32_e32 v0, 0x3ff, v0
	s_lshl_b32 s25, s6, 5
	v_lshlrev_b32_e32 v25, 2, v1
	v_lshrrev_b32_e32 v26, 4, v0
	v_add3_u32 v14, s25, v25, v26
	s_waitcnt lgkmcnt(0)
	v_cmp_gt_i32_e32 vcc, s24, v14
	s_and_saveexec_b64 s[0:1], vcc
	s_cbranch_execz .LBB75_29
; %bb.1:
	s_load_dwordx4 s[0:3], s[4:5], 0x0
	s_load_dwordx2 s[16:17], s[4:5], 0x10
	s_waitcnt lgkmcnt(0)
	s_cmp_eq_u64 s[2:3], 0
	s_cbranch_scc1 .LBB75_3
; %bb.2:
	v_ashrrev_i32_e32 v1, 31, v14
	v_mov_b32_e32 v3, s3
	v_add_co_u32_e32 v2, vcc, s2, v14
	v_addc_co_u32_e32 v3, vcc, v3, v1, vcc
	global_load_ubyte v1, v[2:3], off
	s_waitcnt vmcnt(0)
	v_and_b32_e32 v1, 1, v1
	v_cmp_eq_u32_e32 vcc, 1, v1
	s_xor_b64 s[2:3], vcc, -1
	s_orn2_b64 s[18:19], s[2:3], exec
	s_branch .LBB75_4
.LBB75_3:
	s_mov_b64 s[18:19], -1
.LBB75_4:
	s_load_dwordx2 s[22:23], s[4:5], 0x40
	s_load_dwordx4 s[8:11], s[4:5], 0x30
	v_mov_b32_e32 v1, s1
	v_and_b32_e32 v15, 15, v0
	v_lshlrev_b32_e32 v0, 5, v15
	s_waitcnt lgkmcnt(0)
	v_mul_lo_u32 v2, v14, s23
	v_ashrrev_i32_e32 v3, 31, v2
	v_lshlrev_b64 v[2:3], 2, v[2:3]
	v_add_co_u32_e32 v8, vcc, s0, v2
	v_addc_co_u32_e32 v9, vcc, v1, v3, vcc
	v_add_co_u32_e32 v10, vcc, v8, v0
	v_addc_co_u32_e32 v11, vcc, 0, v9, vcc
	global_load_dwordx4 v[0:3], v[10:11], off offset:16
	global_load_dwordx4 v[4:7], v[10:11], off
	v_lshlrev_b32_e32 v17, 3, v15
	v_mov_b32_e32 v16, 0
	v_cmp_gt_u32_e32 vcc, 2, v15
	s_and_saveexec_b64 s[0:1], vcc
	s_cbranch_execz .LBB75_6
; %bb.5:
	v_lshlrev_b32_e32 v10, 2, v15
	v_add_co_u32_e32 v8, vcc, v8, v10
	v_addc_co_u32_e32 v9, vcc, 0, v9, vcc
	global_load_dword v10, v[8:9], off offset:512
	s_mov_b32 s2, 0xbfb8aa3b
	s_mov_b32 s3, 0x42ce8ed0
	;; [unrolled: 1-line block ×3, first 2 shown]
	v_mov_b32_e32 v11, 0x7f800000
	v_mul_lo_u32 v8, v14, s11
	v_add3_u32 v8, v8, s8, v15
	v_mov_b32_e32 v18, s17
	s_waitcnt vmcnt(0)
	v_mul_f32_e32 v9, 0xbfb8aa3b, v10
	v_fma_f32 v12, v10, s2, -v9
	v_rndne_f32_e32 v13, v9
	v_fmac_f32_e32 v12, 0xb2a5705f, v10
	v_sub_f32_e32 v9, v9, v13
	v_add_f32_e32 v9, v9, v12
	v_cvt_i32_f32_e32 v13, v13
	v_exp_f32_e32 v12, v9
	v_cmp_nlt_f32_e32 vcc, s3, v10
	v_ashrrev_i32_e32 v9, 31, v8
	v_lshlrev_b64 v[8:9], 2, v[8:9]
	v_ldexp_f32 v12, v12, v13
	v_cndmask_b32_e32 v12, 0, v12, vcc
	v_cmp_ngt_f32_e32 vcc, s6, v10
	v_cndmask_b32_e32 v10, v11, v12, vcc
	v_add_f32_e32 v10, 1.0, v10
	v_div_scale_f32 v11, s[2:3], v10, v10, 1.0
	v_rcp_f32_e32 v12, v11
	v_div_scale_f32 v13, vcc, 1.0, v10, 1.0
	v_fma_f32 v19, -v11, v12, 1.0
	v_fmac_f32_e32 v12, v19, v12
	v_mul_f32_e32 v19, v13, v12
	v_fma_f32 v20, -v11, v19, v13
	v_fmac_f32_e32 v19, v20, v12
	v_fma_f32 v11, -v11, v19, v13
	v_div_fmas_f32 v11, v11, v12, v19
	v_add_co_u32_e32 v8, vcc, s16, v8
	v_div_fixup_f32 v10, v11, v10, 1.0
	v_addc_co_u32_e32 v9, vcc, v18, v9, vcc
	global_store_dword v[8:9], v10, off
.LBB75_6:
	s_or_b64 exec, exec, s[0:1]
	s_waitcnt vmcnt(0)
	v_cmp_lt_f32_e32 vcc, v4, v5
	v_or_b32_e32 v18, 1, v17
	v_cndmask_b32_e32 v9, v4, v5, vcc
	v_cndmask_b32_e32 v8, v17, v18, vcc
	v_cmp_lt_f32_e32 vcc, v9, v6
	v_or_b32_e32 v19, 2, v17
	v_cndmask_b32_e32 v9, v9, v6, vcc
	v_cndmask_b32_e32 v8, v8, v19, vcc
	;; [unrolled: 4-line block ×6, first 2 shown]
	v_or_b32_e32 v24, 7, v17
	v_cmp_lt_f32_e32 vcc, v9, v3
	v_cndmask_b32_e32 v8, v8, v24, vcc
	v_cndmask_b32_e32 v9, v9, v3, vcc
	s_nop 0
	v_mov_b32_dpp v10, v8 quad_perm:[1,0,3,2] row_mask:0xf bank_mask:0xf
	v_mov_b32_dpp v11, v9 quad_perm:[1,0,3,2] row_mask:0xf bank_mask:0xf
	v_cmp_eq_f32_e64 s[0:1], v9, v11
	v_cmp_lt_i32_e64 s[2:3], v10, v8
	v_cmp_lt_f32_e32 vcc, v9, v11
	s_and_b64 s[0:1], s[0:1], s[2:3]
	s_or_b64 vcc, vcc, s[0:1]
	v_cndmask_b32_e32 v9, v9, v11, vcc
	v_cndmask_b32_e32 v8, v8, v10, vcc
	s_nop 0
	v_mov_b32_dpp v11, v9 quad_perm:[2,3,0,1] row_mask:0xf bank_mask:0xf
	v_mov_b32_dpp v10, v8 quad_perm:[2,3,0,1] row_mask:0xf bank_mask:0xf
	v_cmp_eq_f32_e64 s[0:1], v9, v11
	v_cmp_lt_i32_e64 s[2:3], v10, v8
	v_cmp_lt_f32_e32 vcc, v9, v11
	s_and_b64 s[0:1], s[0:1], s[2:3]
	s_or_b64 vcc, vcc, s[0:1]
	v_cndmask_b32_e32 v9, v9, v11, vcc
	v_cndmask_b32_e32 v10, v8, v10, vcc
	s_nop 0
	v_mov_b32_dpp v8, v9 row_half_mirror row_mask:0xf bank_mask:0xf
	v_mov_b32_dpp v11, v10 row_half_mirror row_mask:0xf bank_mask:0xf
	v_cmp_eq_f32_e64 s[0:1], v9, v8
	v_cmp_lt_i32_e64 s[2:3], v11, v10
	v_cmp_lt_f32_e32 vcc, v9, v8
	s_and_b64 s[0:1], s[0:1], s[2:3]
	s_or_b64 vcc, vcc, s[0:1]
	v_cndmask_b32_e32 v8, v9, v8, vcc
	v_cndmask_b32_e32 v9, v10, v11, vcc
	s_cmp_gt_i32 s8, 0
	v_mov_b32_dpp v11, v8 row_mirror row_mask:0xf bank_mask:0xf
	v_mov_b32_dpp v10, v9 row_mirror row_mask:0xf bank_mask:0xf
	s_cselect_b64 s[20:21], -1, 0
	s_cmp_lt_i32 s8, 1
	v_cmp_eq_u32_e32 vcc, 0, v15
	s_cbranch_scc1 .LBB75_18
; %bb.7:
	s_load_dwordx4 s[12:15], s[4:5], 0x20
	v_cmp_eq_f32_e64 s[2:3], v8, v11
	v_cmp_lt_i32_e64 s[6:7], v10, v9
	v_cmp_lt_f32_e64 s[0:1], v8, v11
	s_and_b64 s[2:3], s[2:3], s[6:7]
	s_or_b64 s[0:1], s[0:1], s[2:3]
	v_cndmask_b32_e64 v28, v9, v10, s[0:1]
	v_cndmask_b32_e64 v27, v8, v11, s[0:1]
	v_mul_lo_u32 v12, v14, s11
	v_mul_lo_u32 v10, v14, s22
	;; [unrolled: 1-line block ×3, first 2 shown]
	v_mov_b32_e32 v16, 0
	s_and_saveexec_b64 s[4:5], vcc
	s_cbranch_execz .LBB75_9
; %bb.8:
	v_sub_f32_e32 v9, v27, v27
	v_mul_f32_e32 v11, 0x3fb8aa3b, v9
	s_mov_b32 s0, 0x3fb8aa3b
	v_rndne_f32_e32 v13, v11
	v_sub_f32_e32 v16, v11, v13
	v_fma_f32 v11, v9, s0, -v11
	v_fmac_f32_e32 v11, 0x32a5705f, v9
	v_add_f32_e32 v11, v16, v11
	v_exp_f32_e32 v11, v11
	v_cvt_i32_f32_e32 v13, v13
	v_cmp_le_i32_e64 s[0:1], s9, v28
	v_cmp_gt_i32_e64 s[2:3], s10, v28
	s_and_b64 s[2:3], s[0:1], s[2:3]
	s_mov_b32 s0, 0xc2ce8ed0
	v_ldexp_f32 v11, v11, v13
	v_cmp_ngt_f32_e64 s[0:1], s0, v9
	v_cndmask_b32_e64 v11, 0, v11, s[0:1]
	s_mov_b32 s0, 0x42b17218
	v_mov_b32_e32 v13, 0x7f800000
	v_cmp_nlt_f32_e64 s[0:1], s0, v9
	v_cndmask_b32_e64 v16, v13, v11, s[0:1]
	v_ashrrev_i32_e32 v13, 31, v12
	v_lshlrev_b64 v[30:31], 2, v[12:13]
	v_mov_b32_e32 v9, s17
	v_add_co_u32_e64 v30, s[0:1], s16, v30
	v_addc_co_u32_e64 v31, s[0:1], v9, v31, s[0:1]
	v_subrev_u32_e32 v9, s9, v28
	v_mov_b32_e32 v11, 0x80
	s_and_b64 s[0:1], s[18:19], s[2:3]
	v_cndmask_b32_e64 v9, v11, v9, s[0:1]
	v_ashrrev_i32_e32 v11, 31, v10
	global_store_dword v[30:31], v16, off
	v_lshlrev_b64 v[30:31], 2, v[10:11]
	s_waitcnt lgkmcnt(0)
	v_mov_b32_e32 v11, s13
	v_add_co_u32_e64 v30, s[0:1], s12, v30
	v_addc_co_u32_e64 v31, s[0:1], v11, v31, s[0:1]
	global_store_dword v[30:31], v9, off
	v_ashrrev_i32_e32 v9, 31, v8
	v_lshlrev_b64 v[30:31], 2, v[8:9]
	v_mov_b32_e32 v9, s15
	v_add_co_u32_e64 v30, s[0:1], s14, v30
	v_addc_co_u32_e64 v31, s[0:1], v9, v31, s[0:1]
	global_store_dword v[30:31], v14, off
.LBB75_9:
	s_or_b64 exec, exec, s[4:5]
	v_ashrrev_i32_e32 v11, 31, v28
	v_lshrrev_b32_e32 v9, 29, v11
	v_add_u32_e32 v9, v28, v9
	v_ashrrev_i32_e32 v9, 3, v9
	v_lshrrev_b32_e32 v13, 28, v9
	v_add_u32_e32 v13, v9, v13
	v_and_b32_e32 v13, -16, v13
	v_sub_u32_e32 v13, v9, v13
	v_cmp_eq_u32_e64 s[0:1], v15, v13
	s_and_saveexec_b64 s[2:3], s[0:1]
	s_cbranch_execz .LBB75_11
; %bb.10:
	v_lshrrev_b32_e32 v11, 25, v11
	v_add_u32_e32 v11, v28, v11
	v_lshlrev_b32_e32 v9, 3, v9
	v_ashrrev_i32_e32 v11, 7, v11
	v_sub_u32_e32 v9, v28, v9
	v_lshl_add_u32 v9, v11, 3, v9
	v_mov_b32_e32 v11, 0xff800000
	v_cmp_ne_u32_e64 s[0:1], 7, v9
	v_cndmask_b32_e64 v3, v11, v3, s[0:1]
	v_cmp_ne_u32_e64 s[0:1], 6, v9
	v_cndmask_b32_e64 v2, v11, v2, s[0:1]
	;; [unrolled: 2-line block ×8, first 2 shown]
.LBB75_11:
	s_or_b64 exec, exec, s[2:3]
	s_cmp_eq_u32 s8, 1
	s_cbranch_scc1 .LBB75_18
; %bb.12:
	s_add_i32 s25, s25, s24
	s_add_i32 s6, s8, -1
	v_add3_u32 v25, s25, v26, v25
	v_add_u32_e32 v8, 1, v8
	v_add_u32_e32 v10, 1, v10
	;; [unrolled: 1-line block ×3, first 2 shown]
	s_mov_b32 s7, 0x3fb8aa3b
	s_mov_b32 s22, 0xc2ce8ed0
	;; [unrolled: 1-line block ×3, first 2 shown]
	v_mov_b32_e32 v26, 0x7f800000
	v_mov_b32_e32 v28, 0x80
	;; [unrolled: 1-line block ×3, first 2 shown]
	s_branch .LBB75_14
.LBB75_13:                              ;   in Loop: Header=BB75_14 Depth=1
	s_or_b64 exec, exec, s[2:3]
	s_add_i32 s6, s6, -1
	v_add_u32_e32 v25, s24, v25
	v_add_u32_e32 v8, 1, v8
	;; [unrolled: 1-line block ×3, first 2 shown]
	s_cmp_eq_u32 s6, 0
	v_add_u32_e32 v12, 1, v12
	s_cbranch_scc1 .LBB75_18
.LBB75_14:                              ; =>This Inner Loop Header: Depth=1
	v_cmp_gt_f32_e64 s[0:1], v5, v4
	v_cndmask_b32_e64 v11, v4, v5, s[0:1]
	v_cndmask_b32_e64 v9, v17, v18, s[0:1]
	v_cmp_gt_f32_e64 s[0:1], v6, v11
	v_cndmask_b32_e64 v11, v11, v6, s[0:1]
	v_cndmask_b32_e64 v9, v9, v19, s[0:1]
	;; [unrolled: 3-line block ×7, first 2 shown]
	s_nop 0
	v_mov_b32_dpp v13, v9 quad_perm:[1,0,3,2] row_mask:0xf bank_mask:0xf
	v_mov_b32_dpp v30, v11 quad_perm:[1,0,3,2] row_mask:0xf bank_mask:0xf
	v_cmp_eq_f32_e64 s[2:3], v11, v30
	v_cmp_lt_i32_e64 s[4:5], v13, v9
	v_cmp_lt_f32_e64 s[0:1], v11, v30
	s_and_b64 s[2:3], s[2:3], s[4:5]
	s_or_b64 s[0:1], s[0:1], s[2:3]
	v_cndmask_b32_e64 v11, v11, v30, s[0:1]
	v_cndmask_b32_e64 v9, v9, v13, s[0:1]
	s_nop 0
	v_mov_b32_dpp v30, v11 quad_perm:[2,3,0,1] row_mask:0xf bank_mask:0xf
	v_mov_b32_dpp v13, v9 quad_perm:[2,3,0,1] row_mask:0xf bank_mask:0xf
	v_cmp_eq_f32_e64 s[2:3], v11, v30
	v_cmp_lt_i32_e64 s[4:5], v13, v9
	v_cmp_lt_f32_e64 s[0:1], v11, v30
	s_and_b64 s[2:3], s[2:3], s[4:5]
	s_or_b64 s[0:1], s[0:1], s[2:3]
	v_cndmask_b32_e64 v11, v11, v30, s[0:1]
	v_cndmask_b32_e64 v13, v9, v13, s[0:1]
	s_nop 0
	v_mov_b32_dpp v9, v11 row_half_mirror row_mask:0xf bank_mask:0xf
	v_mov_b32_dpp v30, v13 row_half_mirror row_mask:0xf bank_mask:0xf
	v_cmp_eq_f32_e64 s[2:3], v11, v9
	v_cmp_lt_i32_e64 s[4:5], v30, v13
	v_cmp_lt_f32_e64 s[0:1], v11, v9
	s_and_b64 s[2:3], s[2:3], s[4:5]
	s_or_b64 s[0:1], s[0:1], s[2:3]
	v_cndmask_b32_e64 v9, v11, v9, s[0:1]
	v_cndmask_b32_e64 v13, v13, v30, s[0:1]
	s_nop 0
	v_mov_b32_dpp v11, v9 row_mirror row_mask:0xf bank_mask:0xf
	v_mov_b32_dpp v30, v13 row_mirror row_mask:0xf bank_mask:0xf
	v_cmp_eq_f32_e64 s[2:3], v9, v11
	v_cmp_lt_i32_e64 s[4:5], v30, v13
	v_cmp_lt_f32_e64 s[0:1], v9, v11
	s_and_b64 s[2:3], s[2:3], s[4:5]
	s_or_b64 s[0:1], s[0:1], s[2:3]
	v_cndmask_b32_e64 v30, v13, v30, s[0:1]
	s_and_saveexec_b64 s[4:5], vcc
	s_cbranch_execz .LBB75_16
; %bb.15:                               ;   in Loop: Header=BB75_14 Depth=1
	v_cndmask_b32_e64 v9, v9, v11, s[0:1]
	v_sub_f32_e32 v9, v9, v27
	v_mul_f32_e32 v11, 0x3fb8aa3b, v9
	v_fma_f32 v13, v9, s7, -v11
	v_rndne_f32_e32 v31, v11
	v_fmac_f32_e32 v13, 0x32a5705f, v9
	v_sub_f32_e32 v11, v11, v31
	v_add_f32_e32 v11, v11, v13
	v_exp_f32_e32 v11, v11
	v_cvt_i32_f32_e32 v13, v31
	v_cmp_le_i32_e64 s[0:1], s9, v30
	v_cmp_gt_i32_e64 s[2:3], s10, v30
	s_and_b64 s[2:3], s[0:1], s[2:3]
	v_ldexp_f32 v11, v11, v13
	v_cmp_ngt_f32_e64 s[0:1], s22, v9
	v_ashrrev_i32_e32 v13, 31, v12
	v_cndmask_b32_e64 v11, 0, v11, s[0:1]
	v_cmp_nlt_f32_e64 s[0:1], s23, v9
	v_lshlrev_b64 v[32:33], 2, v[12:13]
	v_cndmask_b32_e64 v31, v26, v11, s[0:1]
	v_mov_b32_e32 v9, s17
	v_add_co_u32_e64 v32, s[0:1], s16, v32
	v_addc_co_u32_e64 v33, s[0:1], v9, v33, s[0:1]
	v_ashrrev_i32_e32 v11, 31, v10
	global_store_dword v[32:33], v31, off
	v_subrev_u32_e32 v9, s9, v30
	s_and_b64 s[0:1], s[18:19], s[2:3]
	v_lshlrev_b64 v[32:33], 2, v[10:11]
	v_cndmask_b32_e64 v9, v28, v9, s[0:1]
	s_waitcnt lgkmcnt(0)
	v_mov_b32_e32 v11, s13
	v_add_co_u32_e64 v32, s[0:1], s12, v32
	v_addc_co_u32_e64 v33, s[0:1], v11, v33, s[0:1]
	global_store_dword v[32:33], v9, off
	v_ashrrev_i32_e32 v9, 31, v8
	v_lshlrev_b64 v[32:33], 2, v[8:9]
	v_mov_b32_e32 v9, s15
	v_add_co_u32_e64 v32, s[0:1], s14, v32
	v_addc_co_u32_e64 v33, s[0:1], v9, v33, s[0:1]
	v_add_f32_e32 v16, v16, v31
	global_store_dword v[32:33], v25, off
.LBB75_16:                              ;   in Loop: Header=BB75_14 Depth=1
	s_or_b64 exec, exec, s[4:5]
	v_ashrrev_i32_e32 v11, 31, v30
	v_lshrrev_b32_e32 v9, 29, v11
	v_add_u32_e32 v9, v30, v9
	v_ashrrev_i32_e32 v9, 3, v9
	v_lshrrev_b32_e32 v13, 28, v9
	v_add_u32_e32 v13, v9, v13
	v_and_b32_e32 v13, -16, v13
	v_sub_u32_e32 v13, v9, v13
	v_cmp_eq_u32_e64 s[0:1], v15, v13
	s_and_saveexec_b64 s[2:3], s[0:1]
	s_cbranch_execz .LBB75_13
; %bb.17:                               ;   in Loop: Header=BB75_14 Depth=1
	v_lshrrev_b32_e32 v11, 25, v11
	v_add_u32_e32 v11, v30, v11
	v_lshlrev_b32_e32 v9, 3, v9
	v_ashrrev_i32_e32 v11, 7, v11
	v_sub_u32_e32 v9, v30, v9
	v_lshl_add_u32 v9, v11, 3, v9
	v_cmp_ne_u32_e64 s[0:1], 7, v9
	v_cndmask_b32_e64 v3, v29, v3, s[0:1]
	v_cmp_ne_u32_e64 s[0:1], 6, v9
	v_cndmask_b32_e64 v2, v29, v2, s[0:1]
	;; [unrolled: 2-line block ×8, first 2 shown]
	s_branch .LBB75_13
.LBB75_18:
	v_cmp_eq_u32_e32 vcc, 0, v15
	v_cmp_neq_f32_e64 s[0:1], 0, v16
	s_and_b64 s[0:1], vcc, s[0:1]
	s_and_b64 exec, exec, s[0:1]
	s_cbranch_execz .LBB75_29
; %bb.19:
	s_andn2_b64 vcc, exec, s[20:21]
	s_cbranch_vccnz .LBB75_29
; %bb.20:
	v_div_scale_f32 v0, s[0:1], v16, v16, 1.0
	v_rcp_f32_e32 v1, v0
	v_div_scale_f32 v2, vcc, 1.0, v16, 1.0
	s_cmp_gt_u32 s8, 3
	v_fma_f32 v3, -v0, v1, 1.0
	v_fmac_f32_e32 v1, v3, v1
	v_mul_f32_e32 v3, v2, v1
	v_fma_f32 v4, -v0, v3, v2
	v_fmac_f32_e32 v3, v4, v1
	v_fma_f32 v0, -v0, v3, v2
	v_div_fmas_f32 v0, v0, v1, v3
	v_mul_lo_u32 v2, v14, s11
	v_div_fixup_f32 v0, v0, v16, 1.0
	v_ashrrev_i32_e32 v3, 31, v2
	s_cbranch_scc0 .LBB75_24
; %bb.21:
	v_lshlrev_b64 v[4:5], 2, v[2:3]
	v_mov_b32_e32 v6, s17
	v_add_co_u32_e32 v4, vcc, s16, v4
	v_addc_co_u32_e32 v5, vcc, v5, v6, vcc
	s_and_b32 s4, s8, 0x7ffffffc
	v_add_co_u32_e32 v4, vcc, 8, v4
	v_mov_b32_e32 v1, v0
	v_addc_co_u32_e32 v5, vcc, 0, v5, vcc
	s_mov_b32 s0, s4
.LBB75_22:                              ; =>This Inner Loop Header: Depth=1
	global_load_dwordx4 v[6:9], v[4:5], off offset:-8
	s_add_i32 s0, s0, -4
	s_cmp_lg_u32 s0, 0
	s_waitcnt vmcnt(0)
	v_pk_mul_f32 v[6:7], v[0:1], v[6:7]
	v_pk_mul_f32 v[8:9], v[0:1], v[8:9]
	global_store_dwordx4 v[4:5], v[6:9], off offset:-8
	v_add_co_u32_e32 v4, vcc, 16, v4
	v_addc_co_u32_e32 v5, vcc, 0, v5, vcc
	s_cbranch_scc1 .LBB75_22
; %bb.23:
	s_cmp_lg_u32 s4, s8
	s_cselect_b64 s[0:1], -1, 0
	s_branch .LBB75_26
.LBB75_24:
	s_mov_b64 s[0:1], 0
                                        ; implicit-def: $sgpr4
	s_cbranch_execz .LBB75_26
; %bb.25:
	s_mov_b64 s[0:1], -1
	s_mov_b32 s4, 0
.LBB75_26:
	s_andn2_b64 vcc, exec, s[0:1]
	s_cbranch_vccnz .LBB75_29
; %bb.27:
	v_add_co_u32_e32 v2, vcc, s4, v2
	v_addc_co_u32_e32 v3, vcc, 0, v3, vcc
	v_lshlrev_b64 v[2:3], 2, v[2:3]
	v_mov_b32_e32 v1, s17
	v_add_co_u32_e32 v2, vcc, s16, v2
	s_sub_i32 s0, s8, s4
	v_addc_co_u32_e32 v3, vcc, v1, v3, vcc
.LBB75_28:                              ; =>This Inner Loop Header: Depth=1
	global_load_dword v1, v[2:3], off
	s_add_i32 s0, s0, -1
	s_cmp_lg_u32 s0, 0
	s_waitcnt vmcnt(0)
	v_mul_f32_e32 v1, v0, v1
	global_store_dword v[2:3], v1, off
	v_add_co_u32_e32 v2, vcc, 4, v2
	v_addc_co_u32_e32 v3, vcc, 0, v3, vcc
	s_cbranch_scc1 .LBB75_28
.LBB75_29:
	s_endpgm
	.section	.rodata,"a",@progbits
	.p2align	6, 0x0
	.amdhsa_kernel _ZN4vllm3moe17topkGatingSoftmaxIfLi8ELi128ELi8ELi32ELb1ELi2ELNS0_23SharedExpertScoringFuncE1EEEvPKT_PKbPfiPiS9_iiiiii
		.amdhsa_group_segment_fixed_size 0
		.amdhsa_private_segment_fixed_size 0
		.amdhsa_kernarg_size 72
		.amdhsa_user_sgpr_count 6
		.amdhsa_user_sgpr_private_segment_buffer 1
		.amdhsa_user_sgpr_dispatch_ptr 0
		.amdhsa_user_sgpr_queue_ptr 0
		.amdhsa_user_sgpr_kernarg_segment_ptr 1
		.amdhsa_user_sgpr_dispatch_id 0
		.amdhsa_user_sgpr_flat_scratch_init 0
		.amdhsa_user_sgpr_kernarg_preload_length 0
		.amdhsa_user_sgpr_kernarg_preload_offset 0
		.amdhsa_user_sgpr_private_segment_size 0
		.amdhsa_uses_dynamic_stack 0
		.amdhsa_system_sgpr_private_segment_wavefront_offset 0
		.amdhsa_system_sgpr_workgroup_id_x 1
		.amdhsa_system_sgpr_workgroup_id_y 0
		.amdhsa_system_sgpr_workgroup_id_z 0
		.amdhsa_system_sgpr_workgroup_info 0
		.amdhsa_system_vgpr_workitem_id 1
		.amdhsa_next_free_vgpr 34
		.amdhsa_next_free_sgpr 26
		.amdhsa_accum_offset 36
		.amdhsa_reserve_vcc 1
		.amdhsa_reserve_flat_scratch 0
		.amdhsa_float_round_mode_32 0
		.amdhsa_float_round_mode_16_64 0
		.amdhsa_float_denorm_mode_32 3
		.amdhsa_float_denorm_mode_16_64 3
		.amdhsa_dx10_clamp 1
		.amdhsa_ieee_mode 1
		.amdhsa_fp16_overflow 0
		.amdhsa_tg_split 0
		.amdhsa_exception_fp_ieee_invalid_op 0
		.amdhsa_exception_fp_denorm_src 0
		.amdhsa_exception_fp_ieee_div_zero 0
		.amdhsa_exception_fp_ieee_overflow 0
		.amdhsa_exception_fp_ieee_underflow 0
		.amdhsa_exception_fp_ieee_inexact 0
		.amdhsa_exception_int_div_zero 0
	.end_amdhsa_kernel
	.section	.text._ZN4vllm3moe17topkGatingSoftmaxIfLi8ELi128ELi8ELi32ELb1ELi2ELNS0_23SharedExpertScoringFuncE1EEEvPKT_PKbPfiPiS9_iiiiii,"axG",@progbits,_ZN4vllm3moe17topkGatingSoftmaxIfLi8ELi128ELi8ELi32ELb1ELi2ELNS0_23SharedExpertScoringFuncE1EEEvPKT_PKbPfiPiS9_iiiiii,comdat
.Lfunc_end75:
	.size	_ZN4vllm3moe17topkGatingSoftmaxIfLi8ELi128ELi8ELi32ELb1ELi2ELNS0_23SharedExpertScoringFuncE1EEEvPKT_PKbPfiPiS9_iiiiii, .Lfunc_end75-_ZN4vllm3moe17topkGatingSoftmaxIfLi8ELi128ELi8ELi32ELb1ELi2ELNS0_23SharedExpertScoringFuncE1EEEvPKT_PKbPfiPiS9_iiiiii
                                        ; -- End function
	.section	.AMDGPU.csdata,"",@progbits
; Kernel info:
; codeLenInByte = 2788
; NumSgprs: 30
; NumVgprs: 34
; NumAgprs: 0
; TotalNumVgprs: 34
; ScratchSize: 0
; MemoryBound: 0
; FloatMode: 240
; IeeeMode: 1
; LDSByteSize: 0 bytes/workgroup (compile time only)
; SGPRBlocks: 3
; VGPRBlocks: 4
; NumSGPRsForWavesPerEU: 30
; NumVGPRsForWavesPerEU: 34
; AccumOffset: 36
; Occupancy: 8
; WaveLimiterHint : 0
; COMPUTE_PGM_RSRC2:SCRATCH_EN: 0
; COMPUTE_PGM_RSRC2:USER_SGPR: 6
; COMPUTE_PGM_RSRC2:TRAP_HANDLER: 0
; COMPUTE_PGM_RSRC2:TGID_X_EN: 1
; COMPUTE_PGM_RSRC2:TGID_Y_EN: 0
; COMPUTE_PGM_RSRC2:TGID_Z_EN: 0
; COMPUTE_PGM_RSRC2:TIDIG_COMP_CNT: 1
; COMPUTE_PGM_RSRC3_GFX90A:ACCUM_OFFSET: 8
; COMPUTE_PGM_RSRC3_GFX90A:TG_SPLIT: 0
	.section	.text._ZN4vllm3moe17topkGatingSoftmaxIfLi8ELi128ELi8ELi32ELb0ELi2ELNS0_23SharedExpertScoringFuncE1EEEvPKT_PKbPfiPiS9_iiiiii,"axG",@progbits,_ZN4vllm3moe17topkGatingSoftmaxIfLi8ELi128ELi8ELi32ELb0ELi2ELNS0_23SharedExpertScoringFuncE1EEEvPKT_PKbPfiPiS9_iiiiii,comdat
	.protected	_ZN4vllm3moe17topkGatingSoftmaxIfLi8ELi128ELi8ELi32ELb0ELi2ELNS0_23SharedExpertScoringFuncE1EEEvPKT_PKbPfiPiS9_iiiiii ; -- Begin function _ZN4vllm3moe17topkGatingSoftmaxIfLi8ELi128ELi8ELi32ELb0ELi2ELNS0_23SharedExpertScoringFuncE1EEEvPKT_PKbPfiPiS9_iiiiii
	.globl	_ZN4vllm3moe17topkGatingSoftmaxIfLi8ELi128ELi8ELi32ELb0ELi2ELNS0_23SharedExpertScoringFuncE1EEEvPKT_PKbPfiPiS9_iiiiii
	.p2align	8
	.type	_ZN4vllm3moe17topkGatingSoftmaxIfLi8ELi128ELi8ELi32ELb0ELi2ELNS0_23SharedExpertScoringFuncE1EEEvPKT_PKbPfiPiS9_iiiiii,@function
_ZN4vllm3moe17topkGatingSoftmaxIfLi8ELi128ELi8ELi32ELb0ELi2ELNS0_23SharedExpertScoringFuncE1EEEvPKT_PKbPfiPiS9_iiiiii: ; @_ZN4vllm3moe17topkGatingSoftmaxIfLi8ELi128ELi8ELi32ELb0ELi2ELNS0_23SharedExpertScoringFuncE1EEEvPKT_PKbPfiPiS9_iiiiii
; %bb.0:
	s_load_dword s22, s[4:5], 0x18
	v_bfe_u32 v1, v0, 10, 10
	v_and_b32_e32 v0, 0x3ff, v0
	s_lshl_b32 s23, s6, 5
	v_lshlrev_b32_e32 v26, 2, v1
	v_lshrrev_b32_e32 v27, 4, v0
	v_add3_u32 v14, s23, v26, v27
	s_waitcnt lgkmcnt(0)
	v_cmp_gt_i32_e32 vcc, s22, v14
	s_and_saveexec_b64 s[0:1], vcc
	s_cbranch_execz .LBB76_31
; %bb.1:
	s_load_dwordx4 s[0:3], s[4:5], 0x0
	s_load_dwordx2 s[6:7], s[4:5], 0x10
	s_waitcnt lgkmcnt(0)
	s_cmp_eq_u64 s[2:3], 0
	s_cbranch_scc1 .LBB76_3
; %bb.2:
	v_ashrrev_i32_e32 v1, 31, v14
	v_mov_b32_e32 v3, s3
	v_add_co_u32_e32 v2, vcc, s2, v14
	v_addc_co_u32_e32 v3, vcc, v3, v1, vcc
	global_load_ubyte v1, v[2:3], off
	s_waitcnt vmcnt(0)
	v_and_b32_e32 v1, 1, v1
	v_cmp_eq_u32_e32 vcc, 1, v1
	s_xor_b64 s[2:3], vcc, -1
	s_orn2_b64 s[16:17], s[2:3], exec
	s_branch .LBB76_4
.LBB76_3:
	s_mov_b64 s[16:17], -1
.LBB76_4:
	s_load_dwordx2 s[20:21], s[4:5], 0x40
	s_load_dwordx4 s[8:11], s[4:5], 0x30
	v_mov_b32_e32 v1, s1
	v_and_b32_e32 v15, 15, v0
	v_lshlrev_b32_e32 v0, 5, v15
	s_waitcnt lgkmcnt(0)
	v_mul_lo_u32 v2, v14, s21
	v_ashrrev_i32_e32 v3, 31, v2
	v_lshlrev_b64 v[2:3], 2, v[2:3]
	v_add_co_u32_e32 v8, vcc, s0, v2
	v_addc_co_u32_e32 v9, vcc, v1, v3, vcc
	v_add_co_u32_e32 v10, vcc, v8, v0
	v_addc_co_u32_e32 v11, vcc, 0, v9, vcc
	global_load_dwordx4 v[0:3], v[10:11], off offset:16
	global_load_dwordx4 v[4:7], v[10:11], off
	v_lshlrev_b32_e32 v17, 3, v15
	v_mov_b32_e32 v16, 0
	v_cmp_gt_u32_e32 vcc, 2, v15
	s_and_saveexec_b64 s[0:1], vcc
	s_cbranch_execz .LBB76_6
; %bb.5:
	v_lshlrev_b32_e32 v10, 2, v15
	v_add_co_u32_e32 v8, vcc, v8, v10
	v_addc_co_u32_e32 v9, vcc, 0, v9, vcc
	global_load_dword v10, v[8:9], off offset:512
	s_mov_b32 s2, 0xbfb8aa3b
	s_mov_b32 s3, 0x42ce8ed0
	s_mov_b32 s12, 0xc2b17218
	v_mov_b32_e32 v11, 0x7f800000
	v_mul_lo_u32 v8, v14, s11
	v_add3_u32 v8, v8, s8, v15
	v_mov_b32_e32 v18, s7
	s_waitcnt vmcnt(0)
	v_mul_f32_e32 v9, 0xbfb8aa3b, v10
	v_fma_f32 v12, v10, s2, -v9
	v_rndne_f32_e32 v13, v9
	v_fmac_f32_e32 v12, 0xb2a5705f, v10
	v_sub_f32_e32 v9, v9, v13
	v_add_f32_e32 v9, v9, v12
	v_cvt_i32_f32_e32 v13, v13
	v_exp_f32_e32 v12, v9
	v_cmp_nlt_f32_e32 vcc, s3, v10
	v_ashrrev_i32_e32 v9, 31, v8
	v_lshlrev_b64 v[8:9], 2, v[8:9]
	v_ldexp_f32 v12, v12, v13
	v_cndmask_b32_e32 v12, 0, v12, vcc
	v_cmp_ngt_f32_e32 vcc, s12, v10
	v_cndmask_b32_e32 v10, v11, v12, vcc
	v_add_f32_e32 v10, 1.0, v10
	v_div_scale_f32 v11, s[2:3], v10, v10, 1.0
	v_rcp_f32_e32 v12, v11
	v_div_scale_f32 v13, vcc, 1.0, v10, 1.0
	v_fma_f32 v19, -v11, v12, 1.0
	v_fmac_f32_e32 v12, v19, v12
	v_mul_f32_e32 v19, v13, v12
	v_fma_f32 v20, -v11, v19, v13
	v_fmac_f32_e32 v19, v20, v12
	v_fma_f32 v11, -v11, v19, v13
	v_div_fmas_f32 v11, v11, v12, v19
	v_add_co_u32_e32 v8, vcc, s6, v8
	v_div_fixup_f32 v10, v11, v10, 1.0
	v_addc_co_u32_e32 v9, vcc, v18, v9, vcc
	global_store_dword v[8:9], v10, off
.LBB76_6:
	s_or_b64 exec, exec, s[0:1]
	s_waitcnt vmcnt(0)
	v_cmp_lt_f32_e32 vcc, v4, v5
	v_or_b32_e32 v19, 1, v17
	v_cndmask_b32_e32 v9, v4, v5, vcc
	v_cndmask_b32_e32 v8, v17, v19, vcc
	v_cmp_lt_f32_e32 vcc, v9, v6
	v_or_b32_e32 v20, 2, v17
	v_cndmask_b32_e32 v9, v9, v6, vcc
	v_cndmask_b32_e32 v8, v8, v20, vcc
	;; [unrolled: 4-line block ×6, first 2 shown]
	v_or_b32_e32 v25, 7, v17
	v_cmp_lt_f32_e32 vcc, v9, v3
	v_cndmask_b32_e32 v8, v8, v25, vcc
	v_cndmask_b32_e32 v9, v9, v3, vcc
	s_nop 0
	v_mov_b32_dpp v10, v8 quad_perm:[1,0,3,2] row_mask:0xf bank_mask:0xf
	v_mov_b32_dpp v11, v9 quad_perm:[1,0,3,2] row_mask:0xf bank_mask:0xf
	v_cmp_eq_f32_e64 s[0:1], v9, v11
	v_cmp_lt_i32_e64 s[2:3], v10, v8
	v_cmp_lt_f32_e32 vcc, v9, v11
	s_and_b64 s[0:1], s[0:1], s[2:3]
	s_or_b64 vcc, vcc, s[0:1]
	v_cndmask_b32_e32 v9, v9, v11, vcc
	v_cndmask_b32_e32 v8, v8, v10, vcc
	s_nop 0
	v_mov_b32_dpp v11, v9 quad_perm:[2,3,0,1] row_mask:0xf bank_mask:0xf
	v_mov_b32_dpp v10, v8 quad_perm:[2,3,0,1] row_mask:0xf bank_mask:0xf
	v_cmp_eq_f32_e64 s[0:1], v9, v11
	v_cmp_lt_i32_e64 s[2:3], v10, v8
	v_cmp_lt_f32_e32 vcc, v9, v11
	s_and_b64 s[0:1], s[0:1], s[2:3]
	s_or_b64 vcc, vcc, s[0:1]
	v_cndmask_b32_e32 v9, v9, v11, vcc
	v_cndmask_b32_e32 v8, v8, v10, vcc
	s_nop 0
	v_mov_b32_dpp v11, v9 row_half_mirror row_mask:0xf bank_mask:0xf
	v_mov_b32_dpp v10, v8 row_half_mirror row_mask:0xf bank_mask:0xf
	v_cmp_eq_f32_e64 s[0:1], v9, v11
	v_cmp_lt_i32_e64 s[2:3], v10, v8
	v_cmp_lt_f32_e32 vcc, v9, v11
	s_and_b64 s[0:1], s[0:1], s[2:3]
	s_or_b64 vcc, vcc, s[0:1]
	v_cndmask_b32_e32 v11, v9, v11, vcc
	v_cndmask_b32_e32 v8, v8, v10, vcc
	s_nop 0
	v_mov_b32_dpp v10, v11 row_mirror row_mask:0xf bank_mask:0xf
	v_mov_b32_dpp v9, v8 row_mirror row_mask:0xf bank_mask:0xf
	v_cmp_eq_f32_e64 s[0:1], v11, v10
	v_cmp_lt_i32_e64 s[2:3], v9, v8
	v_cmp_lt_f32_e32 vcc, v11, v10
	s_and_b64 s[0:1], s[0:1], s[2:3]
	s_or_b64 s[0:1], vcc, s[0:1]
	s_cmp_gt_i32 s8, 0
	v_cndmask_b32_e64 v18, v11, v10, s[0:1]
	s_cselect_b64 s[18:19], -1, 0
	s_cmp_lt_i32 s8, 1
	v_cmp_eq_u32_e32 vcc, 0, v15
	s_cbranch_scc1 .LBB76_18
; %bb.7:
	s_load_dwordx4 s[12:15], s[4:5], 0x20
	v_cndmask_b32_e64 v28, v8, v9, s[0:1]
	v_mul_lo_u32 v12, v14, s11
	v_mul_lo_u32 v10, v14, s20
	;; [unrolled: 1-line block ×3, first 2 shown]
	v_mov_b32_e32 v16, 0
	s_and_saveexec_b64 s[4:5], vcc
	s_cbranch_execz .LBB76_9
; %bb.8:
	v_sub_f32_e32 v9, v18, v18
	v_mul_f32_e32 v11, 0x3fb8aa3b, v9
	s_mov_b32 s0, 0x3fb8aa3b
	v_rndne_f32_e32 v13, v11
	v_sub_f32_e32 v16, v11, v13
	v_fma_f32 v11, v9, s0, -v11
	v_fmac_f32_e32 v11, 0x32a5705f, v9
	v_add_f32_e32 v11, v16, v11
	v_exp_f32_e32 v11, v11
	v_cvt_i32_f32_e32 v13, v13
	v_cmp_le_i32_e64 s[0:1], s9, v28
	v_cmp_gt_i32_e64 s[2:3], s10, v28
	s_and_b64 s[2:3], s[0:1], s[2:3]
	s_mov_b32 s0, 0xc2ce8ed0
	v_ldexp_f32 v11, v11, v13
	v_cmp_ngt_f32_e64 s[0:1], s0, v9
	v_cndmask_b32_e64 v11, 0, v11, s[0:1]
	s_mov_b32 s0, 0x42b17218
	v_mov_b32_e32 v13, 0x7f800000
	v_cmp_nlt_f32_e64 s[0:1], s0, v9
	v_cndmask_b32_e64 v16, v13, v11, s[0:1]
	v_ashrrev_i32_e32 v13, 31, v12
	v_lshlrev_b64 v[30:31], 2, v[12:13]
	v_mov_b32_e32 v9, s7
	v_add_co_u32_e64 v30, s[0:1], s6, v30
	v_addc_co_u32_e64 v31, s[0:1], v9, v31, s[0:1]
	v_subrev_u32_e32 v9, s9, v28
	v_mov_b32_e32 v11, 0x80
	s_and_b64 s[0:1], s[16:17], s[2:3]
	v_cndmask_b32_e64 v9, v11, v9, s[0:1]
	v_ashrrev_i32_e32 v11, 31, v10
	global_store_dword v[30:31], v16, off
	v_lshlrev_b64 v[30:31], 2, v[10:11]
	s_waitcnt lgkmcnt(0)
	v_mov_b32_e32 v11, s13
	v_add_co_u32_e64 v30, s[0:1], s12, v30
	v_addc_co_u32_e64 v31, s[0:1], v11, v31, s[0:1]
	global_store_dword v[30:31], v9, off
	v_ashrrev_i32_e32 v9, 31, v8
	v_lshlrev_b64 v[30:31], 2, v[8:9]
	v_mov_b32_e32 v9, s15
	v_add_co_u32_e64 v30, s[0:1], s14, v30
	v_addc_co_u32_e64 v31, s[0:1], v9, v31, s[0:1]
	global_store_dword v[30:31], v14, off
.LBB76_9:
	s_or_b64 exec, exec, s[4:5]
	v_ashrrev_i32_e32 v11, 31, v28
	v_lshrrev_b32_e32 v9, 29, v11
	v_add_u32_e32 v9, v28, v9
	v_ashrrev_i32_e32 v9, 3, v9
	v_lshrrev_b32_e32 v13, 28, v9
	v_add_u32_e32 v13, v9, v13
	v_and_b32_e32 v13, -16, v13
	v_sub_u32_e32 v13, v9, v13
	v_cmp_eq_u32_e64 s[0:1], v15, v13
	s_and_saveexec_b64 s[2:3], s[0:1]
	s_cbranch_execz .LBB76_11
; %bb.10:
	v_lshrrev_b32_e32 v11, 25, v11
	v_add_u32_e32 v11, v28, v11
	v_lshlrev_b32_e32 v9, 3, v9
	v_ashrrev_i32_e32 v11, 7, v11
	v_sub_u32_e32 v9, v28, v9
	v_lshl_add_u32 v9, v11, 3, v9
	v_mov_b32_e32 v11, 0xff800000
	v_cmp_ne_u32_e64 s[0:1], 7, v9
	v_cndmask_b32_e64 v3, v11, v3, s[0:1]
	v_cmp_ne_u32_e64 s[0:1], 6, v9
	v_cndmask_b32_e64 v2, v11, v2, s[0:1]
	;; [unrolled: 2-line block ×8, first 2 shown]
.LBB76_11:
	s_or_b64 exec, exec, s[2:3]
	s_cmp_eq_u32 s8, 1
	s_cbranch_scc1 .LBB76_18
; %bb.12:
	s_add_i32 s23, s23, s22
	s_add_i32 s20, s8, -1
	v_add3_u32 v26, s23, v27, v26
	v_add_u32_e32 v8, 1, v8
	v_add_u32_e32 v10, 1, v10
	;; [unrolled: 1-line block ×3, first 2 shown]
	s_mov_b32 s21, 0x3fb8aa3b
	s_mov_b32 s23, 0xc2ce8ed0
	;; [unrolled: 1-line block ×3, first 2 shown]
	v_mov_b32_e32 v27, 0x7f800000
	v_mov_b32_e32 v28, 0x80
	;; [unrolled: 1-line block ×3, first 2 shown]
	s_branch .LBB76_14
.LBB76_13:                              ;   in Loop: Header=BB76_14 Depth=1
	s_or_b64 exec, exec, s[2:3]
	s_add_i32 s20, s20, -1
	v_add_u32_e32 v26, s22, v26
	v_add_u32_e32 v8, 1, v8
	;; [unrolled: 1-line block ×3, first 2 shown]
	s_cmp_eq_u32 s20, 0
	v_add_u32_e32 v12, 1, v12
	s_cbranch_scc1 .LBB76_18
.LBB76_14:                              ; =>This Inner Loop Header: Depth=1
	v_cmp_gt_f32_e64 s[0:1], v5, v4
	v_cndmask_b32_e64 v11, v4, v5, s[0:1]
	v_cndmask_b32_e64 v9, v17, v19, s[0:1]
	v_cmp_gt_f32_e64 s[0:1], v6, v11
	v_cndmask_b32_e64 v11, v11, v6, s[0:1]
	v_cndmask_b32_e64 v9, v9, v20, s[0:1]
	;; [unrolled: 3-line block ×7, first 2 shown]
	s_nop 0
	v_mov_b32_dpp v13, v9 quad_perm:[1,0,3,2] row_mask:0xf bank_mask:0xf
	v_mov_b32_dpp v30, v11 quad_perm:[1,0,3,2] row_mask:0xf bank_mask:0xf
	v_cmp_eq_f32_e64 s[2:3], v11, v30
	v_cmp_lt_i32_e64 s[4:5], v13, v9
	v_cmp_lt_f32_e64 s[0:1], v11, v30
	s_and_b64 s[2:3], s[2:3], s[4:5]
	s_or_b64 s[0:1], s[0:1], s[2:3]
	v_cndmask_b32_e64 v11, v11, v30, s[0:1]
	v_cndmask_b32_e64 v9, v9, v13, s[0:1]
	s_nop 0
	v_mov_b32_dpp v30, v11 quad_perm:[2,3,0,1] row_mask:0xf bank_mask:0xf
	v_mov_b32_dpp v13, v9 quad_perm:[2,3,0,1] row_mask:0xf bank_mask:0xf
	v_cmp_eq_f32_e64 s[2:3], v11, v30
	v_cmp_lt_i32_e64 s[4:5], v13, v9
	v_cmp_lt_f32_e64 s[0:1], v11, v30
	s_and_b64 s[2:3], s[2:3], s[4:5]
	s_or_b64 s[0:1], s[0:1], s[2:3]
	v_cndmask_b32_e64 v11, v11, v30, s[0:1]
	v_cndmask_b32_e64 v13, v9, v13, s[0:1]
	s_nop 0
	v_mov_b32_dpp v9, v11 row_half_mirror row_mask:0xf bank_mask:0xf
	v_mov_b32_dpp v30, v13 row_half_mirror row_mask:0xf bank_mask:0xf
	v_cmp_eq_f32_e64 s[2:3], v11, v9
	v_cmp_lt_i32_e64 s[4:5], v30, v13
	v_cmp_lt_f32_e64 s[0:1], v11, v9
	s_and_b64 s[2:3], s[2:3], s[4:5]
	s_or_b64 s[0:1], s[0:1], s[2:3]
	v_cndmask_b32_e64 v9, v11, v9, s[0:1]
	v_cndmask_b32_e64 v13, v13, v30, s[0:1]
	s_nop 0
	v_mov_b32_dpp v11, v9 row_mirror row_mask:0xf bank_mask:0xf
	v_mov_b32_dpp v30, v13 row_mirror row_mask:0xf bank_mask:0xf
	v_cmp_eq_f32_e64 s[2:3], v9, v11
	v_cmp_lt_i32_e64 s[4:5], v30, v13
	v_cmp_lt_f32_e64 s[0:1], v9, v11
	s_and_b64 s[2:3], s[2:3], s[4:5]
	s_or_b64 s[0:1], s[0:1], s[2:3]
	v_cndmask_b32_e64 v30, v13, v30, s[0:1]
	s_and_saveexec_b64 s[4:5], vcc
	s_cbranch_execz .LBB76_16
; %bb.15:                               ;   in Loop: Header=BB76_14 Depth=1
	v_cndmask_b32_e64 v9, v9, v11, s[0:1]
	v_sub_f32_e32 v9, v9, v18
	v_mul_f32_e32 v11, 0x3fb8aa3b, v9
	v_fma_f32 v13, v9, s21, -v11
	v_rndne_f32_e32 v31, v11
	v_fmac_f32_e32 v13, 0x32a5705f, v9
	v_sub_f32_e32 v11, v11, v31
	v_add_f32_e32 v11, v11, v13
	v_exp_f32_e32 v11, v11
	v_cvt_i32_f32_e32 v13, v31
	v_cmp_le_i32_e64 s[0:1], s9, v30
	v_cmp_gt_i32_e64 s[2:3], s10, v30
	s_and_b64 s[2:3], s[0:1], s[2:3]
	v_ldexp_f32 v11, v11, v13
	v_cmp_ngt_f32_e64 s[0:1], s23, v9
	v_ashrrev_i32_e32 v13, 31, v12
	v_cndmask_b32_e64 v11, 0, v11, s[0:1]
	v_cmp_nlt_f32_e64 s[0:1], s24, v9
	v_lshlrev_b64 v[32:33], 2, v[12:13]
	v_cndmask_b32_e64 v31, v27, v11, s[0:1]
	v_mov_b32_e32 v9, s7
	v_add_co_u32_e64 v32, s[0:1], s6, v32
	v_addc_co_u32_e64 v33, s[0:1], v9, v33, s[0:1]
	v_ashrrev_i32_e32 v11, 31, v10
	global_store_dword v[32:33], v31, off
	v_subrev_u32_e32 v9, s9, v30
	s_and_b64 s[0:1], s[16:17], s[2:3]
	v_lshlrev_b64 v[32:33], 2, v[10:11]
	v_cndmask_b32_e64 v9, v28, v9, s[0:1]
	s_waitcnt lgkmcnt(0)
	v_mov_b32_e32 v11, s13
	v_add_co_u32_e64 v32, s[0:1], s12, v32
	v_addc_co_u32_e64 v33, s[0:1], v11, v33, s[0:1]
	global_store_dword v[32:33], v9, off
	v_ashrrev_i32_e32 v9, 31, v8
	v_lshlrev_b64 v[32:33], 2, v[8:9]
	v_mov_b32_e32 v9, s15
	v_add_co_u32_e64 v32, s[0:1], s14, v32
	v_addc_co_u32_e64 v33, s[0:1], v9, v33, s[0:1]
	v_add_f32_e32 v16, v16, v31
	global_store_dword v[32:33], v26, off
.LBB76_16:                              ;   in Loop: Header=BB76_14 Depth=1
	s_or_b64 exec, exec, s[4:5]
	v_ashrrev_i32_e32 v11, 31, v30
	v_lshrrev_b32_e32 v9, 29, v11
	v_add_u32_e32 v9, v30, v9
	v_ashrrev_i32_e32 v9, 3, v9
	v_lshrrev_b32_e32 v13, 28, v9
	v_add_u32_e32 v13, v9, v13
	v_and_b32_e32 v13, -16, v13
	v_sub_u32_e32 v13, v9, v13
	v_cmp_eq_u32_e64 s[0:1], v15, v13
	s_and_saveexec_b64 s[2:3], s[0:1]
	s_cbranch_execz .LBB76_13
; %bb.17:                               ;   in Loop: Header=BB76_14 Depth=1
	v_lshrrev_b32_e32 v11, 25, v11
	v_add_u32_e32 v11, v30, v11
	v_lshlrev_b32_e32 v9, 3, v9
	v_ashrrev_i32_e32 v11, 7, v11
	v_sub_u32_e32 v9, v30, v9
	v_lshl_add_u32 v9, v11, 3, v9
	v_cmp_ne_u32_e64 s[0:1], 7, v9
	v_cndmask_b32_e64 v3, v29, v3, s[0:1]
	v_cmp_ne_u32_e64 s[0:1], 6, v9
	v_cndmask_b32_e64 v2, v29, v2, s[0:1]
	;; [unrolled: 2-line block ×8, first 2 shown]
	s_branch .LBB76_13
.LBB76_18:
	v_sub_f32_e32 v4, v4, v18
	s_mov_b32 s0, 0x3fb8aa3b
	v_mul_f32_e32 v8, 0x3fb8aa3b, v4
	v_fma_f32 v9, v4, s0, -v8
	v_rndne_f32_e32 v10, v8
	v_fmac_f32_e32 v9, 0x32a5705f, v4
	v_sub_f32_e32 v8, v8, v10
	v_add_f32_e32 v8, v8, v9
	v_exp_f32_e32 v8, v8
	v_cvt_i32_f32_e32 v9, v10
	v_sub_f32_e32 v5, v5, v18
	s_mov_b32 s1, 0xc2ce8ed0
	v_cmp_ngt_f32_e32 vcc, s1, v4
	v_ldexp_f32 v8, v8, v9
	v_mul_f32_e32 v9, 0x3fb8aa3b, v5
	v_fma_f32 v10, v5, s0, -v9
	v_rndne_f32_e32 v11, v9
	v_fmac_f32_e32 v10, 0x32a5705f, v5
	v_sub_f32_e32 v9, v9, v11
	v_add_f32_e32 v9, v9, v10
	v_exp_f32_e32 v9, v9
	v_cvt_i32_f32_e32 v10, v11
	s_mov_b32 s2, 0x42b17218
	v_cndmask_b32_e32 v8, 0, v8, vcc
	v_mov_b32_e32 v11, 0x7f800000
	v_cmp_nlt_f32_e32 vcc, s2, v4
	v_sub_f32_e32 v6, v6, v18
	v_cndmask_b32_e32 v4, v11, v8, vcc
	v_ldexp_f32 v8, v9, v10
	v_mul_f32_e32 v9, 0x3fb8aa3b, v6
	v_fma_f32 v10, v6, s0, -v9
	v_rndne_f32_e32 v12, v9
	v_fmac_f32_e32 v10, 0x32a5705f, v6
	v_sub_f32_e32 v9, v9, v12
	v_add_f32_e32 v9, v9, v10
	v_exp_f32_e32 v9, v9
	v_cvt_i32_f32_e32 v10, v12
	v_cmp_ngt_f32_e32 vcc, s1, v5
	v_cndmask_b32_e32 v8, 0, v8, vcc
	v_cmp_nlt_f32_e32 vcc, s2, v5
	v_sub_f32_e32 v7, v7, v18
	v_cndmask_b32_e32 v5, v11, v8, vcc
	v_mul_f32_e32 v8, 0x3fb8aa3b, v7
	v_add_f32_e32 v4, v4, v5
	v_ldexp_f32 v5, v9, v10
	v_fma_f32 v9, v7, s0, -v8
	v_rndne_f32_e32 v10, v8
	v_fmac_f32_e32 v9, 0x32a5705f, v7
	v_sub_f32_e32 v8, v8, v10
	v_add_f32_e32 v8, v8, v9
	v_exp_f32_e32 v8, v8
	v_cvt_i32_f32_e32 v9, v10
	v_cmp_ngt_f32_e32 vcc, s1, v6
	v_cndmask_b32_e32 v5, 0, v5, vcc
	v_cmp_nlt_f32_e32 vcc, s2, v6
	v_sub_f32_e32 v0, v0, v18
	v_cndmask_b32_e32 v5, v11, v5, vcc
	v_mul_f32_e32 v6, 0x3fb8aa3b, v0
	v_add_f32_e32 v4, v4, v5
	v_ldexp_f32 v5, v8, v9
	v_fma_f32 v8, v0, s0, -v6
	v_rndne_f32_e32 v9, v6
	v_fmac_f32_e32 v8, 0x32a5705f, v0
	v_sub_f32_e32 v6, v6, v9
	v_add_f32_e32 v6, v6, v8
	v_exp_f32_e32 v6, v6
	v_cvt_i32_f32_e32 v8, v9
	v_cmp_ngt_f32_e32 vcc, s1, v7
	v_cndmask_b32_e32 v5, 0, v5, vcc
	v_cmp_nlt_f32_e32 vcc, s2, v7
	v_cndmask_b32_e32 v5, v11, v5, vcc
	v_sub_f32_e32 v1, v1, v18
	v_add_f32_e32 v4, v4, v5
	v_ldexp_f32 v5, v6, v8
	v_mul_f32_e32 v6, 0x3fb8aa3b, v1
	v_fma_f32 v7, v1, s0, -v6
	v_rndne_f32_e32 v8, v6
	v_fmac_f32_e32 v7, 0x32a5705f, v1
	v_sub_f32_e32 v6, v6, v8
	v_add_f32_e32 v6, v6, v7
	v_exp_f32_e32 v6, v6
	v_cvt_i32_f32_e32 v7, v8
	v_cmp_ngt_f32_e32 vcc, s1, v0
	v_cndmask_b32_e32 v5, 0, v5, vcc
	v_cmp_nlt_f32_e32 vcc, s2, v0
	v_sub_f32_e32 v2, v2, v18
	v_cndmask_b32_e32 v0, v11, v5, vcc
	v_mul_f32_e32 v5, 0x3fb8aa3b, v2
	v_add_f32_e32 v0, v4, v0
	v_ldexp_f32 v4, v6, v7
	v_fma_f32 v6, v2, s0, -v5
	v_rndne_f32_e32 v7, v5
	v_fmac_f32_e32 v6, 0x32a5705f, v2
	v_sub_f32_e32 v5, v5, v7
	v_add_f32_e32 v5, v5, v6
	v_exp_f32_e32 v5, v5
	v_cvt_i32_f32_e32 v6, v7
	v_cmp_ngt_f32_e32 vcc, s1, v1
	v_cndmask_b32_e32 v4, 0, v4, vcc
	v_cmp_nlt_f32_e32 vcc, s2, v1
	v_sub_f32_e32 v3, v3, v18
	v_cndmask_b32_e32 v1, v11, v4, vcc
	v_mul_f32_e32 v4, 0x3fb8aa3b, v3
	v_add_f32_e32 v0, v0, v1
	v_ldexp_f32 v1, v5, v6
	v_fma_f32 v5, v3, s0, -v4
	v_rndne_f32_e32 v6, v4
	v_fmac_f32_e32 v5, 0x32a5705f, v3
	v_sub_f32_e32 v4, v4, v6
	v_add_f32_e32 v4, v4, v5
	v_exp_f32_e32 v4, v4
	v_cvt_i32_f32_e32 v5, v6
	v_cmp_ngt_f32_e32 vcc, s1, v2
	v_cndmask_b32_e32 v1, 0, v1, vcc
	v_cmp_nlt_f32_e32 vcc, s2, v2
	v_cndmask_b32_e32 v1, v11, v1, vcc
	v_add_f32_e32 v0, v0, v1
	v_ldexp_f32 v1, v4, v5
	v_cmp_ngt_f32_e32 vcc, s1, v3
	v_cndmask_b32_e32 v1, 0, v1, vcc
	v_cmp_nlt_f32_e32 vcc, s2, v3
	v_cndmask_b32_e32 v1, v11, v1, vcc
	v_add_f32_e32 v0, v0, v1
	v_cmp_eq_u32_e32 vcc, 0, v15
	s_nop 0
	v_mov_b32_dpp v1, v0 quad_perm:[1,0,3,2] row_mask:0xf bank_mask:0xf
	v_add_f32_e32 v0, v0, v1
	s_nop 1
	v_mov_b32_dpp v1, v0 quad_perm:[2,3,0,1] row_mask:0xf bank_mask:0xf
	v_add_f32_e32 v0, v0, v1
	s_nop 1
	v_mov_b32_dpp v1, v0 row_half_mirror row_mask:0xf bank_mask:0xf
	v_add_f32_e32 v0, v0, v1
	s_nop 1
	v_mov_b32_dpp v1, v0 row_mirror row_mask:0xf bank_mask:0xf
	s_and_b64 exec, exec, vcc
	s_cbranch_execz .LBB76_31
; %bb.19:
	v_add_f32_e32 v0, v0, v1
	v_add_f32_e32 v0, v16, v0
	v_cmp_neq_f32_e32 vcc, 0, v0
	s_and_b64 exec, exec, vcc
	s_cbranch_execz .LBB76_31
; %bb.20:
	s_andn2_b64 vcc, exec, s[18:19]
	s_cbranch_vccnz .LBB76_31
; %bb.21:
	v_div_scale_f32 v1, s[0:1], v0, v0, 1.0
	v_rcp_f32_e32 v2, v1
	v_div_scale_f32 v3, vcc, 1.0, v0, 1.0
	s_cmp_gt_u32 s8, 3
	v_fma_f32 v4, -v1, v2, 1.0
	v_fmac_f32_e32 v2, v4, v2
	v_mul_f32_e32 v4, v3, v2
	v_fma_f32 v5, -v1, v4, v3
	v_fmac_f32_e32 v4, v5, v2
	v_fma_f32 v1, -v1, v4, v3
	v_div_fmas_f32 v1, v1, v2, v4
	v_mul_lo_u32 v2, v14, s11
	v_div_fixup_f32 v0, v1, v0, 1.0
	v_ashrrev_i32_e32 v3, 31, v2
	s_cbranch_scc0 .LBB76_25
; %bb.22:
	v_lshlrev_b64 v[4:5], 2, v[2:3]
	v_mov_b32_e32 v6, s7
	v_add_co_u32_e32 v4, vcc, s6, v4
	v_addc_co_u32_e32 v5, vcc, v5, v6, vcc
	s_and_b32 s4, s8, 0x7ffffffc
	v_add_co_u32_e32 v4, vcc, 8, v4
	v_mov_b32_e32 v1, v0
	v_addc_co_u32_e32 v5, vcc, 0, v5, vcc
	s_mov_b32 s0, s4
.LBB76_23:                              ; =>This Inner Loop Header: Depth=1
	global_load_dwordx4 v[6:9], v[4:5], off offset:-8
	s_add_i32 s0, s0, -4
	s_cmp_lg_u32 s0, 0
	s_waitcnt vmcnt(0)
	v_pk_mul_f32 v[6:7], v[0:1], v[6:7]
	v_pk_mul_f32 v[8:9], v[0:1], v[8:9]
	global_store_dwordx4 v[4:5], v[6:9], off offset:-8
	v_add_co_u32_e32 v4, vcc, 16, v4
	v_addc_co_u32_e32 v5, vcc, 0, v5, vcc
	s_cbranch_scc1 .LBB76_23
; %bb.24:
	s_cmp_lg_u32 s4, s8
	s_mov_b64 s[2:3], 0
	s_cselect_b64 s[0:1], -1, 0
	s_branch .LBB76_26
.LBB76_25:
	s_mov_b64 s[2:3], -1
	s_mov_b64 s[0:1], 0
                                        ; implicit-def: $sgpr4
.LBB76_26:
	s_and_b64 vcc, exec, s[2:3]
	s_cbranch_vccz .LBB76_28
; %bb.27:
	s_mov_b64 s[0:1], -1
	s_mov_b32 s4, 0
.LBB76_28:
	s_andn2_b64 vcc, exec, s[0:1]
	s_cbranch_vccnz .LBB76_31
; %bb.29:
	v_add_co_u32_e32 v2, vcc, s4, v2
	v_addc_co_u32_e32 v3, vcc, 0, v3, vcc
	v_lshlrev_b64 v[2:3], 2, v[2:3]
	v_mov_b32_e32 v1, s7
	v_add_co_u32_e32 v2, vcc, s6, v2
	s_sub_i32 s0, s8, s4
	v_addc_co_u32_e32 v3, vcc, v1, v3, vcc
.LBB76_30:                              ; =>This Inner Loop Header: Depth=1
	global_load_dword v1, v[2:3], off
	s_add_i32 s0, s0, -1
	s_cmp_lg_u32 s0, 0
	s_waitcnt vmcnt(0)
	v_mul_f32_e32 v1, v0, v1
	global_store_dword v[2:3], v1, off
	v_add_co_u32_e32 v2, vcc, 4, v2
	v_addc_co_u32_e32 v3, vcc, 0, v3, vcc
	s_cbranch_scc1 .LBB76_30
.LBB76_31:
	s_endpgm
	.section	.rodata,"a",@progbits
	.p2align	6, 0x0
	.amdhsa_kernel _ZN4vllm3moe17topkGatingSoftmaxIfLi8ELi128ELi8ELi32ELb0ELi2ELNS0_23SharedExpertScoringFuncE1EEEvPKT_PKbPfiPiS9_iiiiii
		.amdhsa_group_segment_fixed_size 0
		.amdhsa_private_segment_fixed_size 0
		.amdhsa_kernarg_size 72
		.amdhsa_user_sgpr_count 6
		.amdhsa_user_sgpr_private_segment_buffer 1
		.amdhsa_user_sgpr_dispatch_ptr 0
		.amdhsa_user_sgpr_queue_ptr 0
		.amdhsa_user_sgpr_kernarg_segment_ptr 1
		.amdhsa_user_sgpr_dispatch_id 0
		.amdhsa_user_sgpr_flat_scratch_init 0
		.amdhsa_user_sgpr_kernarg_preload_length 0
		.amdhsa_user_sgpr_kernarg_preload_offset 0
		.amdhsa_user_sgpr_private_segment_size 0
		.amdhsa_uses_dynamic_stack 0
		.amdhsa_system_sgpr_private_segment_wavefront_offset 0
		.amdhsa_system_sgpr_workgroup_id_x 1
		.amdhsa_system_sgpr_workgroup_id_y 0
		.amdhsa_system_sgpr_workgroup_id_z 0
		.amdhsa_system_sgpr_workgroup_info 0
		.amdhsa_system_vgpr_workitem_id 1
		.amdhsa_next_free_vgpr 34
		.amdhsa_next_free_sgpr 25
		.amdhsa_accum_offset 36
		.amdhsa_reserve_vcc 1
		.amdhsa_reserve_flat_scratch 0
		.amdhsa_float_round_mode_32 0
		.amdhsa_float_round_mode_16_64 0
		.amdhsa_float_denorm_mode_32 3
		.amdhsa_float_denorm_mode_16_64 3
		.amdhsa_dx10_clamp 1
		.amdhsa_ieee_mode 1
		.amdhsa_fp16_overflow 0
		.amdhsa_tg_split 0
		.amdhsa_exception_fp_ieee_invalid_op 0
		.amdhsa_exception_fp_denorm_src 0
		.amdhsa_exception_fp_ieee_div_zero 0
		.amdhsa_exception_fp_ieee_overflow 0
		.amdhsa_exception_fp_ieee_underflow 0
		.amdhsa_exception_fp_ieee_inexact 0
		.amdhsa_exception_int_div_zero 0
	.end_amdhsa_kernel
	.section	.text._ZN4vllm3moe17topkGatingSoftmaxIfLi8ELi128ELi8ELi32ELb0ELi2ELNS0_23SharedExpertScoringFuncE1EEEvPKT_PKbPfiPiS9_iiiiii,"axG",@progbits,_ZN4vllm3moe17topkGatingSoftmaxIfLi8ELi128ELi8ELi32ELb0ELi2ELNS0_23SharedExpertScoringFuncE1EEEvPKT_PKbPfiPiS9_iiiiii,comdat
.Lfunc_end76:
	.size	_ZN4vllm3moe17topkGatingSoftmaxIfLi8ELi128ELi8ELi32ELb0ELi2ELNS0_23SharedExpertScoringFuncE1EEEvPKT_PKbPfiPiS9_iiiiii, .Lfunc_end76-_ZN4vllm3moe17topkGatingSoftmaxIfLi8ELi128ELi8ELi32ELb0ELi2ELNS0_23SharedExpertScoringFuncE1EEEvPKT_PKbPfiPiS9_iiiiii
                                        ; -- End function
	.section	.AMDGPU.csdata,"",@progbits
; Kernel info:
; codeLenInByte = 3504
; NumSgprs: 29
; NumVgprs: 34
; NumAgprs: 0
; TotalNumVgprs: 34
; ScratchSize: 0
; MemoryBound: 0
; FloatMode: 240
; IeeeMode: 1
; LDSByteSize: 0 bytes/workgroup (compile time only)
; SGPRBlocks: 3
; VGPRBlocks: 4
; NumSGPRsForWavesPerEU: 29
; NumVGPRsForWavesPerEU: 34
; AccumOffset: 36
; Occupancy: 8
; WaveLimiterHint : 0
; COMPUTE_PGM_RSRC2:SCRATCH_EN: 0
; COMPUTE_PGM_RSRC2:USER_SGPR: 6
; COMPUTE_PGM_RSRC2:TRAP_HANDLER: 0
; COMPUTE_PGM_RSRC2:TGID_X_EN: 1
; COMPUTE_PGM_RSRC2:TGID_Y_EN: 0
; COMPUTE_PGM_RSRC2:TGID_Z_EN: 0
; COMPUTE_PGM_RSRC2:TIDIG_COMP_CNT: 1
; COMPUTE_PGM_RSRC3_GFX90A:ACCUM_OFFSET: 8
; COMPUTE_PGM_RSRC3_GFX90A:TG_SPLIT: 0
	.section	.text._ZN4vllm3moe17topkGatingSoftmaxIfLi8ELi128ELi8ELi32ELb1ELi4ELNS0_23SharedExpertScoringFuncE1EEEvPKT_PKbPfiPiS9_iiiiii,"axG",@progbits,_ZN4vllm3moe17topkGatingSoftmaxIfLi8ELi128ELi8ELi32ELb1ELi4ELNS0_23SharedExpertScoringFuncE1EEEvPKT_PKbPfiPiS9_iiiiii,comdat
	.protected	_ZN4vllm3moe17topkGatingSoftmaxIfLi8ELi128ELi8ELi32ELb1ELi4ELNS0_23SharedExpertScoringFuncE1EEEvPKT_PKbPfiPiS9_iiiiii ; -- Begin function _ZN4vllm3moe17topkGatingSoftmaxIfLi8ELi128ELi8ELi32ELb1ELi4ELNS0_23SharedExpertScoringFuncE1EEEvPKT_PKbPfiPiS9_iiiiii
	.globl	_ZN4vllm3moe17topkGatingSoftmaxIfLi8ELi128ELi8ELi32ELb1ELi4ELNS0_23SharedExpertScoringFuncE1EEEvPKT_PKbPfiPiS9_iiiiii
	.p2align	8
	.type	_ZN4vllm3moe17topkGatingSoftmaxIfLi8ELi128ELi8ELi32ELb1ELi4ELNS0_23SharedExpertScoringFuncE1EEEvPKT_PKbPfiPiS9_iiiiii,@function
_ZN4vllm3moe17topkGatingSoftmaxIfLi8ELi128ELi8ELi32ELb1ELi4ELNS0_23SharedExpertScoringFuncE1EEEvPKT_PKbPfiPiS9_iiiiii: ; @_ZN4vllm3moe17topkGatingSoftmaxIfLi8ELi128ELi8ELi32ELb1ELi4ELNS0_23SharedExpertScoringFuncE1EEEvPKT_PKbPfiPiS9_iiiiii
; %bb.0:
	s_load_dword s24, s[4:5], 0x18
	v_bfe_u32 v1, v0, 10, 10
	v_and_b32_e32 v0, 0x3ff, v0
	s_lshl_b32 s25, s6, 5
	v_lshlrev_b32_e32 v25, 2, v1
	v_lshrrev_b32_e32 v26, 4, v0
	v_add3_u32 v14, s25, v25, v26
	s_waitcnt lgkmcnt(0)
	v_cmp_gt_i32_e32 vcc, s24, v14
	s_and_saveexec_b64 s[0:1], vcc
	s_cbranch_execz .LBB77_29
; %bb.1:
	s_load_dwordx4 s[0:3], s[4:5], 0x0
	s_load_dwordx2 s[16:17], s[4:5], 0x10
	s_waitcnt lgkmcnt(0)
	s_cmp_eq_u64 s[2:3], 0
	s_cbranch_scc1 .LBB77_3
; %bb.2:
	v_ashrrev_i32_e32 v1, 31, v14
	v_mov_b32_e32 v3, s3
	v_add_co_u32_e32 v2, vcc, s2, v14
	v_addc_co_u32_e32 v3, vcc, v3, v1, vcc
	global_load_ubyte v1, v[2:3], off
	s_waitcnt vmcnt(0)
	v_and_b32_e32 v1, 1, v1
	v_cmp_eq_u32_e32 vcc, 1, v1
	s_xor_b64 s[2:3], vcc, -1
	s_orn2_b64 s[18:19], s[2:3], exec
	s_branch .LBB77_4
.LBB77_3:
	s_mov_b64 s[18:19], -1
.LBB77_4:
	s_load_dwordx2 s[22:23], s[4:5], 0x40
	s_load_dwordx4 s[8:11], s[4:5], 0x30
	v_mov_b32_e32 v1, s1
	v_and_b32_e32 v15, 15, v0
	v_lshlrev_b32_e32 v0, 5, v15
	s_waitcnt lgkmcnt(0)
	v_mul_lo_u32 v2, v14, s23
	v_ashrrev_i32_e32 v3, 31, v2
	v_lshlrev_b64 v[2:3], 2, v[2:3]
	v_add_co_u32_e32 v8, vcc, s0, v2
	v_addc_co_u32_e32 v9, vcc, v1, v3, vcc
	v_add_co_u32_e32 v10, vcc, v8, v0
	v_addc_co_u32_e32 v11, vcc, 0, v9, vcc
	global_load_dwordx4 v[0:3], v[10:11], off offset:16
	global_load_dwordx4 v[4:7], v[10:11], off
	v_lshlrev_b32_e32 v17, 3, v15
	v_mov_b32_e32 v16, 0
	v_cmp_gt_u32_e32 vcc, 4, v15
	s_and_saveexec_b64 s[0:1], vcc
	s_cbranch_execz .LBB77_6
; %bb.5:
	v_lshlrev_b32_e32 v10, 2, v15
	v_add_co_u32_e32 v8, vcc, v8, v10
	v_addc_co_u32_e32 v9, vcc, 0, v9, vcc
	global_load_dword v10, v[8:9], off offset:512
	s_mov_b32 s2, 0xbfb8aa3b
	s_mov_b32 s3, 0x42ce8ed0
	;; [unrolled: 1-line block ×3, first 2 shown]
	v_mov_b32_e32 v11, 0x7f800000
	v_mul_lo_u32 v8, v14, s11
	v_add3_u32 v8, v8, s8, v15
	v_mov_b32_e32 v18, s17
	s_waitcnt vmcnt(0)
	v_mul_f32_e32 v9, 0xbfb8aa3b, v10
	v_fma_f32 v12, v10, s2, -v9
	v_rndne_f32_e32 v13, v9
	v_fmac_f32_e32 v12, 0xb2a5705f, v10
	v_sub_f32_e32 v9, v9, v13
	v_add_f32_e32 v9, v9, v12
	v_cvt_i32_f32_e32 v13, v13
	v_exp_f32_e32 v12, v9
	v_cmp_nlt_f32_e32 vcc, s3, v10
	v_ashrrev_i32_e32 v9, 31, v8
	v_lshlrev_b64 v[8:9], 2, v[8:9]
	v_ldexp_f32 v12, v12, v13
	v_cndmask_b32_e32 v12, 0, v12, vcc
	v_cmp_ngt_f32_e32 vcc, s6, v10
	v_cndmask_b32_e32 v10, v11, v12, vcc
	v_add_f32_e32 v10, 1.0, v10
	v_div_scale_f32 v11, s[2:3], v10, v10, 1.0
	v_rcp_f32_e32 v12, v11
	v_div_scale_f32 v13, vcc, 1.0, v10, 1.0
	v_fma_f32 v19, -v11, v12, 1.0
	v_fmac_f32_e32 v12, v19, v12
	v_mul_f32_e32 v19, v13, v12
	v_fma_f32 v20, -v11, v19, v13
	v_fmac_f32_e32 v19, v20, v12
	v_fma_f32 v11, -v11, v19, v13
	v_div_fmas_f32 v11, v11, v12, v19
	v_add_co_u32_e32 v8, vcc, s16, v8
	v_div_fixup_f32 v10, v11, v10, 1.0
	v_addc_co_u32_e32 v9, vcc, v18, v9, vcc
	global_store_dword v[8:9], v10, off
.LBB77_6:
	s_or_b64 exec, exec, s[0:1]
	s_waitcnt vmcnt(0)
	v_cmp_lt_f32_e32 vcc, v4, v5
	v_or_b32_e32 v18, 1, v17
	v_cndmask_b32_e32 v9, v4, v5, vcc
	v_cndmask_b32_e32 v8, v17, v18, vcc
	v_cmp_lt_f32_e32 vcc, v9, v6
	v_or_b32_e32 v19, 2, v17
	v_cndmask_b32_e32 v9, v9, v6, vcc
	v_cndmask_b32_e32 v8, v8, v19, vcc
	;; [unrolled: 4-line block ×6, first 2 shown]
	v_or_b32_e32 v24, 7, v17
	v_cmp_lt_f32_e32 vcc, v9, v3
	v_cndmask_b32_e32 v8, v8, v24, vcc
	v_cndmask_b32_e32 v9, v9, v3, vcc
	s_nop 0
	v_mov_b32_dpp v10, v8 quad_perm:[1,0,3,2] row_mask:0xf bank_mask:0xf
	v_mov_b32_dpp v11, v9 quad_perm:[1,0,3,2] row_mask:0xf bank_mask:0xf
	v_cmp_eq_f32_e64 s[0:1], v9, v11
	v_cmp_lt_i32_e64 s[2:3], v10, v8
	v_cmp_lt_f32_e32 vcc, v9, v11
	s_and_b64 s[0:1], s[0:1], s[2:3]
	s_or_b64 vcc, vcc, s[0:1]
	v_cndmask_b32_e32 v9, v9, v11, vcc
	v_cndmask_b32_e32 v8, v8, v10, vcc
	s_nop 0
	v_mov_b32_dpp v11, v9 quad_perm:[2,3,0,1] row_mask:0xf bank_mask:0xf
	v_mov_b32_dpp v10, v8 quad_perm:[2,3,0,1] row_mask:0xf bank_mask:0xf
	v_cmp_eq_f32_e64 s[0:1], v9, v11
	v_cmp_lt_i32_e64 s[2:3], v10, v8
	v_cmp_lt_f32_e32 vcc, v9, v11
	s_and_b64 s[0:1], s[0:1], s[2:3]
	s_or_b64 vcc, vcc, s[0:1]
	v_cndmask_b32_e32 v9, v9, v11, vcc
	v_cndmask_b32_e32 v10, v8, v10, vcc
	s_nop 0
	v_mov_b32_dpp v8, v9 row_half_mirror row_mask:0xf bank_mask:0xf
	v_mov_b32_dpp v11, v10 row_half_mirror row_mask:0xf bank_mask:0xf
	v_cmp_eq_f32_e64 s[0:1], v9, v8
	v_cmp_lt_i32_e64 s[2:3], v11, v10
	v_cmp_lt_f32_e32 vcc, v9, v8
	s_and_b64 s[0:1], s[0:1], s[2:3]
	s_or_b64 vcc, vcc, s[0:1]
	v_cndmask_b32_e32 v8, v9, v8, vcc
	v_cndmask_b32_e32 v9, v10, v11, vcc
	s_cmp_gt_i32 s8, 0
	v_mov_b32_dpp v11, v8 row_mirror row_mask:0xf bank_mask:0xf
	v_mov_b32_dpp v10, v9 row_mirror row_mask:0xf bank_mask:0xf
	s_cselect_b64 s[20:21], -1, 0
	s_cmp_lt_i32 s8, 1
	v_cmp_eq_u32_e32 vcc, 0, v15
	s_cbranch_scc1 .LBB77_18
; %bb.7:
	s_load_dwordx4 s[12:15], s[4:5], 0x20
	v_cmp_eq_f32_e64 s[2:3], v8, v11
	v_cmp_lt_i32_e64 s[6:7], v10, v9
	v_cmp_lt_f32_e64 s[0:1], v8, v11
	s_and_b64 s[2:3], s[2:3], s[6:7]
	s_or_b64 s[0:1], s[0:1], s[2:3]
	v_cndmask_b32_e64 v28, v9, v10, s[0:1]
	v_cndmask_b32_e64 v27, v8, v11, s[0:1]
	v_mul_lo_u32 v12, v14, s11
	v_mul_lo_u32 v10, v14, s22
	v_mul_lo_u32 v8, v14, s8
	v_mov_b32_e32 v16, 0
	s_and_saveexec_b64 s[4:5], vcc
	s_cbranch_execz .LBB77_9
; %bb.8:
	v_sub_f32_e32 v9, v27, v27
	v_mul_f32_e32 v11, 0x3fb8aa3b, v9
	s_mov_b32 s0, 0x3fb8aa3b
	v_rndne_f32_e32 v13, v11
	v_sub_f32_e32 v16, v11, v13
	v_fma_f32 v11, v9, s0, -v11
	v_fmac_f32_e32 v11, 0x32a5705f, v9
	v_add_f32_e32 v11, v16, v11
	v_exp_f32_e32 v11, v11
	v_cvt_i32_f32_e32 v13, v13
	v_cmp_le_i32_e64 s[0:1], s9, v28
	v_cmp_gt_i32_e64 s[2:3], s10, v28
	s_and_b64 s[2:3], s[0:1], s[2:3]
	s_mov_b32 s0, 0xc2ce8ed0
	v_ldexp_f32 v11, v11, v13
	v_cmp_ngt_f32_e64 s[0:1], s0, v9
	v_cndmask_b32_e64 v11, 0, v11, s[0:1]
	s_mov_b32 s0, 0x42b17218
	v_mov_b32_e32 v13, 0x7f800000
	v_cmp_nlt_f32_e64 s[0:1], s0, v9
	v_cndmask_b32_e64 v16, v13, v11, s[0:1]
	v_ashrrev_i32_e32 v13, 31, v12
	v_lshlrev_b64 v[30:31], 2, v[12:13]
	v_mov_b32_e32 v9, s17
	v_add_co_u32_e64 v30, s[0:1], s16, v30
	v_addc_co_u32_e64 v31, s[0:1], v9, v31, s[0:1]
	v_subrev_u32_e32 v9, s9, v28
	v_mov_b32_e32 v11, 0x80
	s_and_b64 s[0:1], s[18:19], s[2:3]
	v_cndmask_b32_e64 v9, v11, v9, s[0:1]
	v_ashrrev_i32_e32 v11, 31, v10
	global_store_dword v[30:31], v16, off
	v_lshlrev_b64 v[30:31], 2, v[10:11]
	s_waitcnt lgkmcnt(0)
	v_mov_b32_e32 v11, s13
	v_add_co_u32_e64 v30, s[0:1], s12, v30
	v_addc_co_u32_e64 v31, s[0:1], v11, v31, s[0:1]
	global_store_dword v[30:31], v9, off
	v_ashrrev_i32_e32 v9, 31, v8
	v_lshlrev_b64 v[30:31], 2, v[8:9]
	v_mov_b32_e32 v9, s15
	v_add_co_u32_e64 v30, s[0:1], s14, v30
	v_addc_co_u32_e64 v31, s[0:1], v9, v31, s[0:1]
	global_store_dword v[30:31], v14, off
.LBB77_9:
	s_or_b64 exec, exec, s[4:5]
	v_ashrrev_i32_e32 v11, 31, v28
	v_lshrrev_b32_e32 v9, 29, v11
	v_add_u32_e32 v9, v28, v9
	v_ashrrev_i32_e32 v9, 3, v9
	v_lshrrev_b32_e32 v13, 28, v9
	v_add_u32_e32 v13, v9, v13
	v_and_b32_e32 v13, -16, v13
	v_sub_u32_e32 v13, v9, v13
	v_cmp_eq_u32_e64 s[0:1], v15, v13
	s_and_saveexec_b64 s[2:3], s[0:1]
	s_cbranch_execz .LBB77_11
; %bb.10:
	v_lshrrev_b32_e32 v11, 25, v11
	v_add_u32_e32 v11, v28, v11
	v_lshlrev_b32_e32 v9, 3, v9
	v_ashrrev_i32_e32 v11, 7, v11
	v_sub_u32_e32 v9, v28, v9
	v_lshl_add_u32 v9, v11, 3, v9
	v_mov_b32_e32 v11, 0xff800000
	v_cmp_ne_u32_e64 s[0:1], 7, v9
	v_cndmask_b32_e64 v3, v11, v3, s[0:1]
	v_cmp_ne_u32_e64 s[0:1], 6, v9
	v_cndmask_b32_e64 v2, v11, v2, s[0:1]
	;; [unrolled: 2-line block ×8, first 2 shown]
.LBB77_11:
	s_or_b64 exec, exec, s[2:3]
	s_cmp_eq_u32 s8, 1
	s_cbranch_scc1 .LBB77_18
; %bb.12:
	s_add_i32 s25, s25, s24
	s_add_i32 s6, s8, -1
	v_add3_u32 v25, s25, v26, v25
	v_add_u32_e32 v8, 1, v8
	v_add_u32_e32 v10, 1, v10
	;; [unrolled: 1-line block ×3, first 2 shown]
	s_mov_b32 s7, 0x3fb8aa3b
	s_mov_b32 s22, 0xc2ce8ed0
	;; [unrolled: 1-line block ×3, first 2 shown]
	v_mov_b32_e32 v26, 0x7f800000
	v_mov_b32_e32 v28, 0x80
	;; [unrolled: 1-line block ×3, first 2 shown]
	s_branch .LBB77_14
.LBB77_13:                              ;   in Loop: Header=BB77_14 Depth=1
	s_or_b64 exec, exec, s[2:3]
	s_add_i32 s6, s6, -1
	v_add_u32_e32 v25, s24, v25
	v_add_u32_e32 v8, 1, v8
	;; [unrolled: 1-line block ×3, first 2 shown]
	s_cmp_eq_u32 s6, 0
	v_add_u32_e32 v12, 1, v12
	s_cbranch_scc1 .LBB77_18
.LBB77_14:                              ; =>This Inner Loop Header: Depth=1
	v_cmp_gt_f32_e64 s[0:1], v5, v4
	v_cndmask_b32_e64 v11, v4, v5, s[0:1]
	v_cndmask_b32_e64 v9, v17, v18, s[0:1]
	v_cmp_gt_f32_e64 s[0:1], v6, v11
	v_cndmask_b32_e64 v11, v11, v6, s[0:1]
	v_cndmask_b32_e64 v9, v9, v19, s[0:1]
	;; [unrolled: 3-line block ×7, first 2 shown]
	s_nop 0
	v_mov_b32_dpp v13, v9 quad_perm:[1,0,3,2] row_mask:0xf bank_mask:0xf
	v_mov_b32_dpp v30, v11 quad_perm:[1,0,3,2] row_mask:0xf bank_mask:0xf
	v_cmp_eq_f32_e64 s[2:3], v11, v30
	v_cmp_lt_i32_e64 s[4:5], v13, v9
	v_cmp_lt_f32_e64 s[0:1], v11, v30
	s_and_b64 s[2:3], s[2:3], s[4:5]
	s_or_b64 s[0:1], s[0:1], s[2:3]
	v_cndmask_b32_e64 v11, v11, v30, s[0:1]
	v_cndmask_b32_e64 v9, v9, v13, s[0:1]
	s_nop 0
	v_mov_b32_dpp v30, v11 quad_perm:[2,3,0,1] row_mask:0xf bank_mask:0xf
	v_mov_b32_dpp v13, v9 quad_perm:[2,3,0,1] row_mask:0xf bank_mask:0xf
	v_cmp_eq_f32_e64 s[2:3], v11, v30
	v_cmp_lt_i32_e64 s[4:5], v13, v9
	v_cmp_lt_f32_e64 s[0:1], v11, v30
	s_and_b64 s[2:3], s[2:3], s[4:5]
	s_or_b64 s[0:1], s[0:1], s[2:3]
	v_cndmask_b32_e64 v11, v11, v30, s[0:1]
	v_cndmask_b32_e64 v13, v9, v13, s[0:1]
	s_nop 0
	v_mov_b32_dpp v9, v11 row_half_mirror row_mask:0xf bank_mask:0xf
	v_mov_b32_dpp v30, v13 row_half_mirror row_mask:0xf bank_mask:0xf
	v_cmp_eq_f32_e64 s[2:3], v11, v9
	v_cmp_lt_i32_e64 s[4:5], v30, v13
	v_cmp_lt_f32_e64 s[0:1], v11, v9
	s_and_b64 s[2:3], s[2:3], s[4:5]
	s_or_b64 s[0:1], s[0:1], s[2:3]
	v_cndmask_b32_e64 v9, v11, v9, s[0:1]
	v_cndmask_b32_e64 v13, v13, v30, s[0:1]
	s_nop 0
	v_mov_b32_dpp v11, v9 row_mirror row_mask:0xf bank_mask:0xf
	v_mov_b32_dpp v30, v13 row_mirror row_mask:0xf bank_mask:0xf
	v_cmp_eq_f32_e64 s[2:3], v9, v11
	v_cmp_lt_i32_e64 s[4:5], v30, v13
	v_cmp_lt_f32_e64 s[0:1], v9, v11
	s_and_b64 s[2:3], s[2:3], s[4:5]
	s_or_b64 s[0:1], s[0:1], s[2:3]
	v_cndmask_b32_e64 v30, v13, v30, s[0:1]
	s_and_saveexec_b64 s[4:5], vcc
	s_cbranch_execz .LBB77_16
; %bb.15:                               ;   in Loop: Header=BB77_14 Depth=1
	v_cndmask_b32_e64 v9, v9, v11, s[0:1]
	v_sub_f32_e32 v9, v9, v27
	v_mul_f32_e32 v11, 0x3fb8aa3b, v9
	v_fma_f32 v13, v9, s7, -v11
	v_rndne_f32_e32 v31, v11
	v_fmac_f32_e32 v13, 0x32a5705f, v9
	v_sub_f32_e32 v11, v11, v31
	v_add_f32_e32 v11, v11, v13
	v_exp_f32_e32 v11, v11
	v_cvt_i32_f32_e32 v13, v31
	v_cmp_le_i32_e64 s[0:1], s9, v30
	v_cmp_gt_i32_e64 s[2:3], s10, v30
	s_and_b64 s[2:3], s[0:1], s[2:3]
	v_ldexp_f32 v11, v11, v13
	v_cmp_ngt_f32_e64 s[0:1], s22, v9
	v_ashrrev_i32_e32 v13, 31, v12
	v_cndmask_b32_e64 v11, 0, v11, s[0:1]
	v_cmp_nlt_f32_e64 s[0:1], s23, v9
	v_lshlrev_b64 v[32:33], 2, v[12:13]
	v_cndmask_b32_e64 v31, v26, v11, s[0:1]
	v_mov_b32_e32 v9, s17
	v_add_co_u32_e64 v32, s[0:1], s16, v32
	v_addc_co_u32_e64 v33, s[0:1], v9, v33, s[0:1]
	v_ashrrev_i32_e32 v11, 31, v10
	global_store_dword v[32:33], v31, off
	v_subrev_u32_e32 v9, s9, v30
	s_and_b64 s[0:1], s[18:19], s[2:3]
	v_lshlrev_b64 v[32:33], 2, v[10:11]
	v_cndmask_b32_e64 v9, v28, v9, s[0:1]
	s_waitcnt lgkmcnt(0)
	v_mov_b32_e32 v11, s13
	v_add_co_u32_e64 v32, s[0:1], s12, v32
	v_addc_co_u32_e64 v33, s[0:1], v11, v33, s[0:1]
	global_store_dword v[32:33], v9, off
	v_ashrrev_i32_e32 v9, 31, v8
	v_lshlrev_b64 v[32:33], 2, v[8:9]
	v_mov_b32_e32 v9, s15
	v_add_co_u32_e64 v32, s[0:1], s14, v32
	v_addc_co_u32_e64 v33, s[0:1], v9, v33, s[0:1]
	v_add_f32_e32 v16, v16, v31
	global_store_dword v[32:33], v25, off
.LBB77_16:                              ;   in Loop: Header=BB77_14 Depth=1
	s_or_b64 exec, exec, s[4:5]
	v_ashrrev_i32_e32 v11, 31, v30
	v_lshrrev_b32_e32 v9, 29, v11
	v_add_u32_e32 v9, v30, v9
	v_ashrrev_i32_e32 v9, 3, v9
	v_lshrrev_b32_e32 v13, 28, v9
	v_add_u32_e32 v13, v9, v13
	v_and_b32_e32 v13, -16, v13
	v_sub_u32_e32 v13, v9, v13
	v_cmp_eq_u32_e64 s[0:1], v15, v13
	s_and_saveexec_b64 s[2:3], s[0:1]
	s_cbranch_execz .LBB77_13
; %bb.17:                               ;   in Loop: Header=BB77_14 Depth=1
	v_lshrrev_b32_e32 v11, 25, v11
	v_add_u32_e32 v11, v30, v11
	v_lshlrev_b32_e32 v9, 3, v9
	v_ashrrev_i32_e32 v11, 7, v11
	v_sub_u32_e32 v9, v30, v9
	v_lshl_add_u32 v9, v11, 3, v9
	v_cmp_ne_u32_e64 s[0:1], 7, v9
	v_cndmask_b32_e64 v3, v29, v3, s[0:1]
	v_cmp_ne_u32_e64 s[0:1], 6, v9
	v_cndmask_b32_e64 v2, v29, v2, s[0:1]
	;; [unrolled: 2-line block ×8, first 2 shown]
	s_branch .LBB77_13
.LBB77_18:
	v_cmp_eq_u32_e32 vcc, 0, v15
	v_cmp_neq_f32_e64 s[0:1], 0, v16
	s_and_b64 s[0:1], vcc, s[0:1]
	s_and_b64 exec, exec, s[0:1]
	s_cbranch_execz .LBB77_29
; %bb.19:
	s_andn2_b64 vcc, exec, s[20:21]
	s_cbranch_vccnz .LBB77_29
; %bb.20:
	v_div_scale_f32 v0, s[0:1], v16, v16, 1.0
	v_rcp_f32_e32 v1, v0
	v_div_scale_f32 v2, vcc, 1.0, v16, 1.0
	s_cmp_gt_u32 s8, 3
	v_fma_f32 v3, -v0, v1, 1.0
	v_fmac_f32_e32 v1, v3, v1
	v_mul_f32_e32 v3, v2, v1
	v_fma_f32 v4, -v0, v3, v2
	v_fmac_f32_e32 v3, v4, v1
	v_fma_f32 v0, -v0, v3, v2
	v_div_fmas_f32 v0, v0, v1, v3
	v_mul_lo_u32 v2, v14, s11
	v_div_fixup_f32 v0, v0, v16, 1.0
	v_ashrrev_i32_e32 v3, 31, v2
	s_cbranch_scc0 .LBB77_24
; %bb.21:
	v_lshlrev_b64 v[4:5], 2, v[2:3]
	v_mov_b32_e32 v6, s17
	v_add_co_u32_e32 v4, vcc, s16, v4
	v_addc_co_u32_e32 v5, vcc, v5, v6, vcc
	s_and_b32 s4, s8, 0x7ffffffc
	v_add_co_u32_e32 v4, vcc, 8, v4
	v_mov_b32_e32 v1, v0
	v_addc_co_u32_e32 v5, vcc, 0, v5, vcc
	s_mov_b32 s0, s4
.LBB77_22:                              ; =>This Inner Loop Header: Depth=1
	global_load_dwordx4 v[6:9], v[4:5], off offset:-8
	s_add_i32 s0, s0, -4
	s_cmp_lg_u32 s0, 0
	s_waitcnt vmcnt(0)
	v_pk_mul_f32 v[6:7], v[0:1], v[6:7]
	v_pk_mul_f32 v[8:9], v[0:1], v[8:9]
	global_store_dwordx4 v[4:5], v[6:9], off offset:-8
	v_add_co_u32_e32 v4, vcc, 16, v4
	v_addc_co_u32_e32 v5, vcc, 0, v5, vcc
	s_cbranch_scc1 .LBB77_22
; %bb.23:
	s_cmp_lg_u32 s4, s8
	s_cselect_b64 s[0:1], -1, 0
	s_branch .LBB77_26
.LBB77_24:
	s_mov_b64 s[0:1], 0
                                        ; implicit-def: $sgpr4
	s_cbranch_execz .LBB77_26
; %bb.25:
	s_mov_b64 s[0:1], -1
	s_mov_b32 s4, 0
.LBB77_26:
	s_andn2_b64 vcc, exec, s[0:1]
	s_cbranch_vccnz .LBB77_29
; %bb.27:
	v_add_co_u32_e32 v2, vcc, s4, v2
	v_addc_co_u32_e32 v3, vcc, 0, v3, vcc
	v_lshlrev_b64 v[2:3], 2, v[2:3]
	v_mov_b32_e32 v1, s17
	v_add_co_u32_e32 v2, vcc, s16, v2
	s_sub_i32 s0, s8, s4
	v_addc_co_u32_e32 v3, vcc, v1, v3, vcc
.LBB77_28:                              ; =>This Inner Loop Header: Depth=1
	global_load_dword v1, v[2:3], off
	s_add_i32 s0, s0, -1
	s_cmp_lg_u32 s0, 0
	s_waitcnt vmcnt(0)
	v_mul_f32_e32 v1, v0, v1
	global_store_dword v[2:3], v1, off
	v_add_co_u32_e32 v2, vcc, 4, v2
	v_addc_co_u32_e32 v3, vcc, 0, v3, vcc
	s_cbranch_scc1 .LBB77_28
.LBB77_29:
	s_endpgm
	.section	.rodata,"a",@progbits
	.p2align	6, 0x0
	.amdhsa_kernel _ZN4vllm3moe17topkGatingSoftmaxIfLi8ELi128ELi8ELi32ELb1ELi4ELNS0_23SharedExpertScoringFuncE1EEEvPKT_PKbPfiPiS9_iiiiii
		.amdhsa_group_segment_fixed_size 0
		.amdhsa_private_segment_fixed_size 0
		.amdhsa_kernarg_size 72
		.amdhsa_user_sgpr_count 6
		.amdhsa_user_sgpr_private_segment_buffer 1
		.amdhsa_user_sgpr_dispatch_ptr 0
		.amdhsa_user_sgpr_queue_ptr 0
		.amdhsa_user_sgpr_kernarg_segment_ptr 1
		.amdhsa_user_sgpr_dispatch_id 0
		.amdhsa_user_sgpr_flat_scratch_init 0
		.amdhsa_user_sgpr_kernarg_preload_length 0
		.amdhsa_user_sgpr_kernarg_preload_offset 0
		.amdhsa_user_sgpr_private_segment_size 0
		.amdhsa_uses_dynamic_stack 0
		.amdhsa_system_sgpr_private_segment_wavefront_offset 0
		.amdhsa_system_sgpr_workgroup_id_x 1
		.amdhsa_system_sgpr_workgroup_id_y 0
		.amdhsa_system_sgpr_workgroup_id_z 0
		.amdhsa_system_sgpr_workgroup_info 0
		.amdhsa_system_vgpr_workitem_id 1
		.amdhsa_next_free_vgpr 34
		.amdhsa_next_free_sgpr 26
		.amdhsa_accum_offset 36
		.amdhsa_reserve_vcc 1
		.amdhsa_reserve_flat_scratch 0
		.amdhsa_float_round_mode_32 0
		.amdhsa_float_round_mode_16_64 0
		.amdhsa_float_denorm_mode_32 3
		.amdhsa_float_denorm_mode_16_64 3
		.amdhsa_dx10_clamp 1
		.amdhsa_ieee_mode 1
		.amdhsa_fp16_overflow 0
		.amdhsa_tg_split 0
		.amdhsa_exception_fp_ieee_invalid_op 0
		.amdhsa_exception_fp_denorm_src 0
		.amdhsa_exception_fp_ieee_div_zero 0
		.amdhsa_exception_fp_ieee_overflow 0
		.amdhsa_exception_fp_ieee_underflow 0
		.amdhsa_exception_fp_ieee_inexact 0
		.amdhsa_exception_int_div_zero 0
	.end_amdhsa_kernel
	.section	.text._ZN4vllm3moe17topkGatingSoftmaxIfLi8ELi128ELi8ELi32ELb1ELi4ELNS0_23SharedExpertScoringFuncE1EEEvPKT_PKbPfiPiS9_iiiiii,"axG",@progbits,_ZN4vllm3moe17topkGatingSoftmaxIfLi8ELi128ELi8ELi32ELb1ELi4ELNS0_23SharedExpertScoringFuncE1EEEvPKT_PKbPfiPiS9_iiiiii,comdat
.Lfunc_end77:
	.size	_ZN4vllm3moe17topkGatingSoftmaxIfLi8ELi128ELi8ELi32ELb1ELi4ELNS0_23SharedExpertScoringFuncE1EEEvPKT_PKbPfiPiS9_iiiiii, .Lfunc_end77-_ZN4vllm3moe17topkGatingSoftmaxIfLi8ELi128ELi8ELi32ELb1ELi4ELNS0_23SharedExpertScoringFuncE1EEEvPKT_PKbPfiPiS9_iiiiii
                                        ; -- End function
	.section	.AMDGPU.csdata,"",@progbits
; Kernel info:
; codeLenInByte = 2788
; NumSgprs: 30
; NumVgprs: 34
; NumAgprs: 0
; TotalNumVgprs: 34
; ScratchSize: 0
; MemoryBound: 0
; FloatMode: 240
; IeeeMode: 1
; LDSByteSize: 0 bytes/workgroup (compile time only)
; SGPRBlocks: 3
; VGPRBlocks: 4
; NumSGPRsForWavesPerEU: 30
; NumVGPRsForWavesPerEU: 34
; AccumOffset: 36
; Occupancy: 8
; WaveLimiterHint : 0
; COMPUTE_PGM_RSRC2:SCRATCH_EN: 0
; COMPUTE_PGM_RSRC2:USER_SGPR: 6
; COMPUTE_PGM_RSRC2:TRAP_HANDLER: 0
; COMPUTE_PGM_RSRC2:TGID_X_EN: 1
; COMPUTE_PGM_RSRC2:TGID_Y_EN: 0
; COMPUTE_PGM_RSRC2:TGID_Z_EN: 0
; COMPUTE_PGM_RSRC2:TIDIG_COMP_CNT: 1
; COMPUTE_PGM_RSRC3_GFX90A:ACCUM_OFFSET: 8
; COMPUTE_PGM_RSRC3_GFX90A:TG_SPLIT: 0
	.section	.text._ZN4vllm3moe17topkGatingSoftmaxIfLi8ELi128ELi8ELi32ELb0ELi4ELNS0_23SharedExpertScoringFuncE1EEEvPKT_PKbPfiPiS9_iiiiii,"axG",@progbits,_ZN4vllm3moe17topkGatingSoftmaxIfLi8ELi128ELi8ELi32ELb0ELi4ELNS0_23SharedExpertScoringFuncE1EEEvPKT_PKbPfiPiS9_iiiiii,comdat
	.protected	_ZN4vllm3moe17topkGatingSoftmaxIfLi8ELi128ELi8ELi32ELb0ELi4ELNS0_23SharedExpertScoringFuncE1EEEvPKT_PKbPfiPiS9_iiiiii ; -- Begin function _ZN4vllm3moe17topkGatingSoftmaxIfLi8ELi128ELi8ELi32ELb0ELi4ELNS0_23SharedExpertScoringFuncE1EEEvPKT_PKbPfiPiS9_iiiiii
	.globl	_ZN4vllm3moe17topkGatingSoftmaxIfLi8ELi128ELi8ELi32ELb0ELi4ELNS0_23SharedExpertScoringFuncE1EEEvPKT_PKbPfiPiS9_iiiiii
	.p2align	8
	.type	_ZN4vllm3moe17topkGatingSoftmaxIfLi8ELi128ELi8ELi32ELb0ELi4ELNS0_23SharedExpertScoringFuncE1EEEvPKT_PKbPfiPiS9_iiiiii,@function
_ZN4vllm3moe17topkGatingSoftmaxIfLi8ELi128ELi8ELi32ELb0ELi4ELNS0_23SharedExpertScoringFuncE1EEEvPKT_PKbPfiPiS9_iiiiii: ; @_ZN4vllm3moe17topkGatingSoftmaxIfLi8ELi128ELi8ELi32ELb0ELi4ELNS0_23SharedExpertScoringFuncE1EEEvPKT_PKbPfiPiS9_iiiiii
; %bb.0:
	s_load_dword s22, s[4:5], 0x18
	v_bfe_u32 v1, v0, 10, 10
	v_and_b32_e32 v0, 0x3ff, v0
	s_lshl_b32 s23, s6, 5
	v_lshlrev_b32_e32 v26, 2, v1
	v_lshrrev_b32_e32 v27, 4, v0
	v_add3_u32 v14, s23, v26, v27
	s_waitcnt lgkmcnt(0)
	v_cmp_gt_i32_e32 vcc, s22, v14
	s_and_saveexec_b64 s[0:1], vcc
	s_cbranch_execz .LBB78_31
; %bb.1:
	s_load_dwordx4 s[0:3], s[4:5], 0x0
	s_load_dwordx2 s[6:7], s[4:5], 0x10
	s_waitcnt lgkmcnt(0)
	s_cmp_eq_u64 s[2:3], 0
	s_cbranch_scc1 .LBB78_3
; %bb.2:
	v_ashrrev_i32_e32 v1, 31, v14
	v_mov_b32_e32 v3, s3
	v_add_co_u32_e32 v2, vcc, s2, v14
	v_addc_co_u32_e32 v3, vcc, v3, v1, vcc
	global_load_ubyte v1, v[2:3], off
	s_waitcnt vmcnt(0)
	v_and_b32_e32 v1, 1, v1
	v_cmp_eq_u32_e32 vcc, 1, v1
	s_xor_b64 s[2:3], vcc, -1
	s_orn2_b64 s[16:17], s[2:3], exec
	s_branch .LBB78_4
.LBB78_3:
	s_mov_b64 s[16:17], -1
.LBB78_4:
	s_load_dwordx2 s[20:21], s[4:5], 0x40
	s_load_dwordx4 s[8:11], s[4:5], 0x30
	v_mov_b32_e32 v1, s1
	v_and_b32_e32 v15, 15, v0
	v_lshlrev_b32_e32 v0, 5, v15
	s_waitcnt lgkmcnt(0)
	v_mul_lo_u32 v2, v14, s21
	v_ashrrev_i32_e32 v3, 31, v2
	v_lshlrev_b64 v[2:3], 2, v[2:3]
	v_add_co_u32_e32 v8, vcc, s0, v2
	v_addc_co_u32_e32 v9, vcc, v1, v3, vcc
	v_add_co_u32_e32 v10, vcc, v8, v0
	v_addc_co_u32_e32 v11, vcc, 0, v9, vcc
	global_load_dwordx4 v[0:3], v[10:11], off offset:16
	global_load_dwordx4 v[4:7], v[10:11], off
	v_lshlrev_b32_e32 v17, 3, v15
	v_mov_b32_e32 v16, 0
	v_cmp_gt_u32_e32 vcc, 4, v15
	s_and_saveexec_b64 s[0:1], vcc
	s_cbranch_execz .LBB78_6
; %bb.5:
	v_lshlrev_b32_e32 v10, 2, v15
	v_add_co_u32_e32 v8, vcc, v8, v10
	v_addc_co_u32_e32 v9, vcc, 0, v9, vcc
	global_load_dword v10, v[8:9], off offset:512
	s_mov_b32 s2, 0xbfb8aa3b
	s_mov_b32 s3, 0x42ce8ed0
	;; [unrolled: 1-line block ×3, first 2 shown]
	v_mov_b32_e32 v11, 0x7f800000
	v_mul_lo_u32 v8, v14, s11
	v_add3_u32 v8, v8, s8, v15
	v_mov_b32_e32 v18, s7
	s_waitcnt vmcnt(0)
	v_mul_f32_e32 v9, 0xbfb8aa3b, v10
	v_fma_f32 v12, v10, s2, -v9
	v_rndne_f32_e32 v13, v9
	v_fmac_f32_e32 v12, 0xb2a5705f, v10
	v_sub_f32_e32 v9, v9, v13
	v_add_f32_e32 v9, v9, v12
	v_cvt_i32_f32_e32 v13, v13
	v_exp_f32_e32 v12, v9
	v_cmp_nlt_f32_e32 vcc, s3, v10
	v_ashrrev_i32_e32 v9, 31, v8
	v_lshlrev_b64 v[8:9], 2, v[8:9]
	v_ldexp_f32 v12, v12, v13
	v_cndmask_b32_e32 v12, 0, v12, vcc
	v_cmp_ngt_f32_e32 vcc, s12, v10
	v_cndmask_b32_e32 v10, v11, v12, vcc
	v_add_f32_e32 v10, 1.0, v10
	v_div_scale_f32 v11, s[2:3], v10, v10, 1.0
	v_rcp_f32_e32 v12, v11
	v_div_scale_f32 v13, vcc, 1.0, v10, 1.0
	v_fma_f32 v19, -v11, v12, 1.0
	v_fmac_f32_e32 v12, v19, v12
	v_mul_f32_e32 v19, v13, v12
	v_fma_f32 v20, -v11, v19, v13
	v_fmac_f32_e32 v19, v20, v12
	v_fma_f32 v11, -v11, v19, v13
	v_div_fmas_f32 v11, v11, v12, v19
	v_add_co_u32_e32 v8, vcc, s6, v8
	v_div_fixup_f32 v10, v11, v10, 1.0
	v_addc_co_u32_e32 v9, vcc, v18, v9, vcc
	global_store_dword v[8:9], v10, off
.LBB78_6:
	s_or_b64 exec, exec, s[0:1]
	s_waitcnt vmcnt(0)
	v_cmp_lt_f32_e32 vcc, v4, v5
	v_or_b32_e32 v19, 1, v17
	v_cndmask_b32_e32 v9, v4, v5, vcc
	v_cndmask_b32_e32 v8, v17, v19, vcc
	v_cmp_lt_f32_e32 vcc, v9, v6
	v_or_b32_e32 v20, 2, v17
	v_cndmask_b32_e32 v9, v9, v6, vcc
	v_cndmask_b32_e32 v8, v8, v20, vcc
	;; [unrolled: 4-line block ×6, first 2 shown]
	v_or_b32_e32 v25, 7, v17
	v_cmp_lt_f32_e32 vcc, v9, v3
	v_cndmask_b32_e32 v8, v8, v25, vcc
	v_cndmask_b32_e32 v9, v9, v3, vcc
	s_nop 0
	v_mov_b32_dpp v10, v8 quad_perm:[1,0,3,2] row_mask:0xf bank_mask:0xf
	v_mov_b32_dpp v11, v9 quad_perm:[1,0,3,2] row_mask:0xf bank_mask:0xf
	v_cmp_eq_f32_e64 s[0:1], v9, v11
	v_cmp_lt_i32_e64 s[2:3], v10, v8
	v_cmp_lt_f32_e32 vcc, v9, v11
	s_and_b64 s[0:1], s[0:1], s[2:3]
	s_or_b64 vcc, vcc, s[0:1]
	v_cndmask_b32_e32 v9, v9, v11, vcc
	v_cndmask_b32_e32 v8, v8, v10, vcc
	s_nop 0
	v_mov_b32_dpp v11, v9 quad_perm:[2,3,0,1] row_mask:0xf bank_mask:0xf
	v_mov_b32_dpp v10, v8 quad_perm:[2,3,0,1] row_mask:0xf bank_mask:0xf
	v_cmp_eq_f32_e64 s[0:1], v9, v11
	v_cmp_lt_i32_e64 s[2:3], v10, v8
	v_cmp_lt_f32_e32 vcc, v9, v11
	s_and_b64 s[0:1], s[0:1], s[2:3]
	s_or_b64 vcc, vcc, s[0:1]
	v_cndmask_b32_e32 v9, v9, v11, vcc
	v_cndmask_b32_e32 v8, v8, v10, vcc
	s_nop 0
	v_mov_b32_dpp v11, v9 row_half_mirror row_mask:0xf bank_mask:0xf
	v_mov_b32_dpp v10, v8 row_half_mirror row_mask:0xf bank_mask:0xf
	v_cmp_eq_f32_e64 s[0:1], v9, v11
	v_cmp_lt_i32_e64 s[2:3], v10, v8
	v_cmp_lt_f32_e32 vcc, v9, v11
	s_and_b64 s[0:1], s[0:1], s[2:3]
	s_or_b64 vcc, vcc, s[0:1]
	v_cndmask_b32_e32 v11, v9, v11, vcc
	v_cndmask_b32_e32 v8, v8, v10, vcc
	s_nop 0
	v_mov_b32_dpp v10, v11 row_mirror row_mask:0xf bank_mask:0xf
	v_mov_b32_dpp v9, v8 row_mirror row_mask:0xf bank_mask:0xf
	v_cmp_eq_f32_e64 s[0:1], v11, v10
	v_cmp_lt_i32_e64 s[2:3], v9, v8
	v_cmp_lt_f32_e32 vcc, v11, v10
	s_and_b64 s[0:1], s[0:1], s[2:3]
	s_or_b64 s[0:1], vcc, s[0:1]
	s_cmp_gt_i32 s8, 0
	v_cndmask_b32_e64 v18, v11, v10, s[0:1]
	s_cselect_b64 s[18:19], -1, 0
	s_cmp_lt_i32 s8, 1
	v_cmp_eq_u32_e32 vcc, 0, v15
	s_cbranch_scc1 .LBB78_18
; %bb.7:
	s_load_dwordx4 s[12:15], s[4:5], 0x20
	v_cndmask_b32_e64 v28, v8, v9, s[0:1]
	v_mul_lo_u32 v12, v14, s11
	v_mul_lo_u32 v10, v14, s20
	;; [unrolled: 1-line block ×3, first 2 shown]
	v_mov_b32_e32 v16, 0
	s_and_saveexec_b64 s[4:5], vcc
	s_cbranch_execz .LBB78_9
; %bb.8:
	v_sub_f32_e32 v9, v18, v18
	v_mul_f32_e32 v11, 0x3fb8aa3b, v9
	s_mov_b32 s0, 0x3fb8aa3b
	v_rndne_f32_e32 v13, v11
	v_sub_f32_e32 v16, v11, v13
	v_fma_f32 v11, v9, s0, -v11
	v_fmac_f32_e32 v11, 0x32a5705f, v9
	v_add_f32_e32 v11, v16, v11
	v_exp_f32_e32 v11, v11
	v_cvt_i32_f32_e32 v13, v13
	v_cmp_le_i32_e64 s[0:1], s9, v28
	v_cmp_gt_i32_e64 s[2:3], s10, v28
	s_and_b64 s[2:3], s[0:1], s[2:3]
	s_mov_b32 s0, 0xc2ce8ed0
	v_ldexp_f32 v11, v11, v13
	v_cmp_ngt_f32_e64 s[0:1], s0, v9
	v_cndmask_b32_e64 v11, 0, v11, s[0:1]
	s_mov_b32 s0, 0x42b17218
	v_mov_b32_e32 v13, 0x7f800000
	v_cmp_nlt_f32_e64 s[0:1], s0, v9
	v_cndmask_b32_e64 v16, v13, v11, s[0:1]
	v_ashrrev_i32_e32 v13, 31, v12
	v_lshlrev_b64 v[30:31], 2, v[12:13]
	v_mov_b32_e32 v9, s7
	v_add_co_u32_e64 v30, s[0:1], s6, v30
	v_addc_co_u32_e64 v31, s[0:1], v9, v31, s[0:1]
	v_subrev_u32_e32 v9, s9, v28
	v_mov_b32_e32 v11, 0x80
	s_and_b64 s[0:1], s[16:17], s[2:3]
	v_cndmask_b32_e64 v9, v11, v9, s[0:1]
	v_ashrrev_i32_e32 v11, 31, v10
	global_store_dword v[30:31], v16, off
	v_lshlrev_b64 v[30:31], 2, v[10:11]
	s_waitcnt lgkmcnt(0)
	v_mov_b32_e32 v11, s13
	v_add_co_u32_e64 v30, s[0:1], s12, v30
	v_addc_co_u32_e64 v31, s[0:1], v11, v31, s[0:1]
	global_store_dword v[30:31], v9, off
	v_ashrrev_i32_e32 v9, 31, v8
	v_lshlrev_b64 v[30:31], 2, v[8:9]
	v_mov_b32_e32 v9, s15
	v_add_co_u32_e64 v30, s[0:1], s14, v30
	v_addc_co_u32_e64 v31, s[0:1], v9, v31, s[0:1]
	global_store_dword v[30:31], v14, off
.LBB78_9:
	s_or_b64 exec, exec, s[4:5]
	v_ashrrev_i32_e32 v11, 31, v28
	v_lshrrev_b32_e32 v9, 29, v11
	v_add_u32_e32 v9, v28, v9
	v_ashrrev_i32_e32 v9, 3, v9
	v_lshrrev_b32_e32 v13, 28, v9
	v_add_u32_e32 v13, v9, v13
	v_and_b32_e32 v13, -16, v13
	v_sub_u32_e32 v13, v9, v13
	v_cmp_eq_u32_e64 s[0:1], v15, v13
	s_and_saveexec_b64 s[2:3], s[0:1]
	s_cbranch_execz .LBB78_11
; %bb.10:
	v_lshrrev_b32_e32 v11, 25, v11
	v_add_u32_e32 v11, v28, v11
	v_lshlrev_b32_e32 v9, 3, v9
	v_ashrrev_i32_e32 v11, 7, v11
	v_sub_u32_e32 v9, v28, v9
	v_lshl_add_u32 v9, v11, 3, v9
	v_mov_b32_e32 v11, 0xff800000
	v_cmp_ne_u32_e64 s[0:1], 7, v9
	v_cndmask_b32_e64 v3, v11, v3, s[0:1]
	v_cmp_ne_u32_e64 s[0:1], 6, v9
	v_cndmask_b32_e64 v2, v11, v2, s[0:1]
	;; [unrolled: 2-line block ×8, first 2 shown]
.LBB78_11:
	s_or_b64 exec, exec, s[2:3]
	s_cmp_eq_u32 s8, 1
	s_cbranch_scc1 .LBB78_18
; %bb.12:
	s_add_i32 s23, s23, s22
	s_add_i32 s20, s8, -1
	v_add3_u32 v26, s23, v27, v26
	v_add_u32_e32 v8, 1, v8
	v_add_u32_e32 v10, 1, v10
	;; [unrolled: 1-line block ×3, first 2 shown]
	s_mov_b32 s21, 0x3fb8aa3b
	s_mov_b32 s23, 0xc2ce8ed0
	;; [unrolled: 1-line block ×3, first 2 shown]
	v_mov_b32_e32 v27, 0x7f800000
	v_mov_b32_e32 v28, 0x80
	;; [unrolled: 1-line block ×3, first 2 shown]
	s_branch .LBB78_14
.LBB78_13:                              ;   in Loop: Header=BB78_14 Depth=1
	s_or_b64 exec, exec, s[2:3]
	s_add_i32 s20, s20, -1
	v_add_u32_e32 v26, s22, v26
	v_add_u32_e32 v8, 1, v8
	;; [unrolled: 1-line block ×3, first 2 shown]
	s_cmp_eq_u32 s20, 0
	v_add_u32_e32 v12, 1, v12
	s_cbranch_scc1 .LBB78_18
.LBB78_14:                              ; =>This Inner Loop Header: Depth=1
	v_cmp_gt_f32_e64 s[0:1], v5, v4
	v_cndmask_b32_e64 v11, v4, v5, s[0:1]
	v_cndmask_b32_e64 v9, v17, v19, s[0:1]
	v_cmp_gt_f32_e64 s[0:1], v6, v11
	v_cndmask_b32_e64 v11, v11, v6, s[0:1]
	v_cndmask_b32_e64 v9, v9, v20, s[0:1]
	;; [unrolled: 3-line block ×7, first 2 shown]
	s_nop 0
	v_mov_b32_dpp v13, v9 quad_perm:[1,0,3,2] row_mask:0xf bank_mask:0xf
	v_mov_b32_dpp v30, v11 quad_perm:[1,0,3,2] row_mask:0xf bank_mask:0xf
	v_cmp_eq_f32_e64 s[2:3], v11, v30
	v_cmp_lt_i32_e64 s[4:5], v13, v9
	v_cmp_lt_f32_e64 s[0:1], v11, v30
	s_and_b64 s[2:3], s[2:3], s[4:5]
	s_or_b64 s[0:1], s[0:1], s[2:3]
	v_cndmask_b32_e64 v11, v11, v30, s[0:1]
	v_cndmask_b32_e64 v9, v9, v13, s[0:1]
	s_nop 0
	v_mov_b32_dpp v30, v11 quad_perm:[2,3,0,1] row_mask:0xf bank_mask:0xf
	v_mov_b32_dpp v13, v9 quad_perm:[2,3,0,1] row_mask:0xf bank_mask:0xf
	v_cmp_eq_f32_e64 s[2:3], v11, v30
	v_cmp_lt_i32_e64 s[4:5], v13, v9
	v_cmp_lt_f32_e64 s[0:1], v11, v30
	s_and_b64 s[2:3], s[2:3], s[4:5]
	s_or_b64 s[0:1], s[0:1], s[2:3]
	v_cndmask_b32_e64 v11, v11, v30, s[0:1]
	v_cndmask_b32_e64 v13, v9, v13, s[0:1]
	s_nop 0
	v_mov_b32_dpp v9, v11 row_half_mirror row_mask:0xf bank_mask:0xf
	v_mov_b32_dpp v30, v13 row_half_mirror row_mask:0xf bank_mask:0xf
	v_cmp_eq_f32_e64 s[2:3], v11, v9
	v_cmp_lt_i32_e64 s[4:5], v30, v13
	v_cmp_lt_f32_e64 s[0:1], v11, v9
	s_and_b64 s[2:3], s[2:3], s[4:5]
	s_or_b64 s[0:1], s[0:1], s[2:3]
	v_cndmask_b32_e64 v9, v11, v9, s[0:1]
	v_cndmask_b32_e64 v13, v13, v30, s[0:1]
	s_nop 0
	v_mov_b32_dpp v11, v9 row_mirror row_mask:0xf bank_mask:0xf
	v_mov_b32_dpp v30, v13 row_mirror row_mask:0xf bank_mask:0xf
	v_cmp_eq_f32_e64 s[2:3], v9, v11
	v_cmp_lt_i32_e64 s[4:5], v30, v13
	v_cmp_lt_f32_e64 s[0:1], v9, v11
	s_and_b64 s[2:3], s[2:3], s[4:5]
	s_or_b64 s[0:1], s[0:1], s[2:3]
	v_cndmask_b32_e64 v30, v13, v30, s[0:1]
	s_and_saveexec_b64 s[4:5], vcc
	s_cbranch_execz .LBB78_16
; %bb.15:                               ;   in Loop: Header=BB78_14 Depth=1
	v_cndmask_b32_e64 v9, v9, v11, s[0:1]
	v_sub_f32_e32 v9, v9, v18
	v_mul_f32_e32 v11, 0x3fb8aa3b, v9
	v_fma_f32 v13, v9, s21, -v11
	v_rndne_f32_e32 v31, v11
	v_fmac_f32_e32 v13, 0x32a5705f, v9
	v_sub_f32_e32 v11, v11, v31
	v_add_f32_e32 v11, v11, v13
	v_exp_f32_e32 v11, v11
	v_cvt_i32_f32_e32 v13, v31
	v_cmp_le_i32_e64 s[0:1], s9, v30
	v_cmp_gt_i32_e64 s[2:3], s10, v30
	s_and_b64 s[2:3], s[0:1], s[2:3]
	v_ldexp_f32 v11, v11, v13
	v_cmp_ngt_f32_e64 s[0:1], s23, v9
	v_ashrrev_i32_e32 v13, 31, v12
	v_cndmask_b32_e64 v11, 0, v11, s[0:1]
	v_cmp_nlt_f32_e64 s[0:1], s24, v9
	v_lshlrev_b64 v[32:33], 2, v[12:13]
	v_cndmask_b32_e64 v31, v27, v11, s[0:1]
	v_mov_b32_e32 v9, s7
	v_add_co_u32_e64 v32, s[0:1], s6, v32
	v_addc_co_u32_e64 v33, s[0:1], v9, v33, s[0:1]
	v_ashrrev_i32_e32 v11, 31, v10
	global_store_dword v[32:33], v31, off
	v_subrev_u32_e32 v9, s9, v30
	s_and_b64 s[0:1], s[16:17], s[2:3]
	v_lshlrev_b64 v[32:33], 2, v[10:11]
	v_cndmask_b32_e64 v9, v28, v9, s[0:1]
	s_waitcnt lgkmcnt(0)
	v_mov_b32_e32 v11, s13
	v_add_co_u32_e64 v32, s[0:1], s12, v32
	v_addc_co_u32_e64 v33, s[0:1], v11, v33, s[0:1]
	global_store_dword v[32:33], v9, off
	v_ashrrev_i32_e32 v9, 31, v8
	v_lshlrev_b64 v[32:33], 2, v[8:9]
	v_mov_b32_e32 v9, s15
	v_add_co_u32_e64 v32, s[0:1], s14, v32
	v_addc_co_u32_e64 v33, s[0:1], v9, v33, s[0:1]
	v_add_f32_e32 v16, v16, v31
	global_store_dword v[32:33], v26, off
.LBB78_16:                              ;   in Loop: Header=BB78_14 Depth=1
	s_or_b64 exec, exec, s[4:5]
	v_ashrrev_i32_e32 v11, 31, v30
	v_lshrrev_b32_e32 v9, 29, v11
	v_add_u32_e32 v9, v30, v9
	v_ashrrev_i32_e32 v9, 3, v9
	v_lshrrev_b32_e32 v13, 28, v9
	v_add_u32_e32 v13, v9, v13
	v_and_b32_e32 v13, -16, v13
	v_sub_u32_e32 v13, v9, v13
	v_cmp_eq_u32_e64 s[0:1], v15, v13
	s_and_saveexec_b64 s[2:3], s[0:1]
	s_cbranch_execz .LBB78_13
; %bb.17:                               ;   in Loop: Header=BB78_14 Depth=1
	v_lshrrev_b32_e32 v11, 25, v11
	v_add_u32_e32 v11, v30, v11
	v_lshlrev_b32_e32 v9, 3, v9
	v_ashrrev_i32_e32 v11, 7, v11
	v_sub_u32_e32 v9, v30, v9
	v_lshl_add_u32 v9, v11, 3, v9
	v_cmp_ne_u32_e64 s[0:1], 7, v9
	v_cndmask_b32_e64 v3, v29, v3, s[0:1]
	v_cmp_ne_u32_e64 s[0:1], 6, v9
	v_cndmask_b32_e64 v2, v29, v2, s[0:1]
	;; [unrolled: 2-line block ×8, first 2 shown]
	s_branch .LBB78_13
.LBB78_18:
	v_sub_f32_e32 v4, v4, v18
	s_mov_b32 s0, 0x3fb8aa3b
	v_mul_f32_e32 v8, 0x3fb8aa3b, v4
	v_fma_f32 v9, v4, s0, -v8
	v_rndne_f32_e32 v10, v8
	v_fmac_f32_e32 v9, 0x32a5705f, v4
	v_sub_f32_e32 v8, v8, v10
	v_add_f32_e32 v8, v8, v9
	v_exp_f32_e32 v8, v8
	v_cvt_i32_f32_e32 v9, v10
	v_sub_f32_e32 v5, v5, v18
	s_mov_b32 s1, 0xc2ce8ed0
	v_cmp_ngt_f32_e32 vcc, s1, v4
	v_ldexp_f32 v8, v8, v9
	v_mul_f32_e32 v9, 0x3fb8aa3b, v5
	v_fma_f32 v10, v5, s0, -v9
	v_rndne_f32_e32 v11, v9
	v_fmac_f32_e32 v10, 0x32a5705f, v5
	v_sub_f32_e32 v9, v9, v11
	v_add_f32_e32 v9, v9, v10
	v_exp_f32_e32 v9, v9
	v_cvt_i32_f32_e32 v10, v11
	s_mov_b32 s2, 0x42b17218
	v_cndmask_b32_e32 v8, 0, v8, vcc
	v_mov_b32_e32 v11, 0x7f800000
	v_cmp_nlt_f32_e32 vcc, s2, v4
	v_sub_f32_e32 v6, v6, v18
	v_cndmask_b32_e32 v4, v11, v8, vcc
	v_ldexp_f32 v8, v9, v10
	v_mul_f32_e32 v9, 0x3fb8aa3b, v6
	v_fma_f32 v10, v6, s0, -v9
	v_rndne_f32_e32 v12, v9
	v_fmac_f32_e32 v10, 0x32a5705f, v6
	v_sub_f32_e32 v9, v9, v12
	v_add_f32_e32 v9, v9, v10
	v_exp_f32_e32 v9, v9
	v_cvt_i32_f32_e32 v10, v12
	v_cmp_ngt_f32_e32 vcc, s1, v5
	v_cndmask_b32_e32 v8, 0, v8, vcc
	v_cmp_nlt_f32_e32 vcc, s2, v5
	v_sub_f32_e32 v7, v7, v18
	v_cndmask_b32_e32 v5, v11, v8, vcc
	v_mul_f32_e32 v8, 0x3fb8aa3b, v7
	v_add_f32_e32 v4, v4, v5
	v_ldexp_f32 v5, v9, v10
	v_fma_f32 v9, v7, s0, -v8
	v_rndne_f32_e32 v10, v8
	v_fmac_f32_e32 v9, 0x32a5705f, v7
	v_sub_f32_e32 v8, v8, v10
	v_add_f32_e32 v8, v8, v9
	v_exp_f32_e32 v8, v8
	v_cvt_i32_f32_e32 v9, v10
	v_cmp_ngt_f32_e32 vcc, s1, v6
	v_cndmask_b32_e32 v5, 0, v5, vcc
	v_cmp_nlt_f32_e32 vcc, s2, v6
	v_sub_f32_e32 v0, v0, v18
	v_cndmask_b32_e32 v5, v11, v5, vcc
	v_mul_f32_e32 v6, 0x3fb8aa3b, v0
	v_add_f32_e32 v4, v4, v5
	v_ldexp_f32 v5, v8, v9
	v_fma_f32 v8, v0, s0, -v6
	v_rndne_f32_e32 v9, v6
	v_fmac_f32_e32 v8, 0x32a5705f, v0
	v_sub_f32_e32 v6, v6, v9
	v_add_f32_e32 v6, v6, v8
	v_exp_f32_e32 v6, v6
	v_cvt_i32_f32_e32 v8, v9
	v_cmp_ngt_f32_e32 vcc, s1, v7
	v_cndmask_b32_e32 v5, 0, v5, vcc
	v_cmp_nlt_f32_e32 vcc, s2, v7
	v_cndmask_b32_e32 v5, v11, v5, vcc
	v_sub_f32_e32 v1, v1, v18
	v_add_f32_e32 v4, v4, v5
	v_ldexp_f32 v5, v6, v8
	v_mul_f32_e32 v6, 0x3fb8aa3b, v1
	v_fma_f32 v7, v1, s0, -v6
	v_rndne_f32_e32 v8, v6
	v_fmac_f32_e32 v7, 0x32a5705f, v1
	v_sub_f32_e32 v6, v6, v8
	v_add_f32_e32 v6, v6, v7
	v_exp_f32_e32 v6, v6
	v_cvt_i32_f32_e32 v7, v8
	v_cmp_ngt_f32_e32 vcc, s1, v0
	v_cndmask_b32_e32 v5, 0, v5, vcc
	v_cmp_nlt_f32_e32 vcc, s2, v0
	v_sub_f32_e32 v2, v2, v18
	v_cndmask_b32_e32 v0, v11, v5, vcc
	v_mul_f32_e32 v5, 0x3fb8aa3b, v2
	v_add_f32_e32 v0, v4, v0
	v_ldexp_f32 v4, v6, v7
	v_fma_f32 v6, v2, s0, -v5
	v_rndne_f32_e32 v7, v5
	v_fmac_f32_e32 v6, 0x32a5705f, v2
	v_sub_f32_e32 v5, v5, v7
	v_add_f32_e32 v5, v5, v6
	v_exp_f32_e32 v5, v5
	v_cvt_i32_f32_e32 v6, v7
	v_cmp_ngt_f32_e32 vcc, s1, v1
	v_cndmask_b32_e32 v4, 0, v4, vcc
	v_cmp_nlt_f32_e32 vcc, s2, v1
	v_sub_f32_e32 v3, v3, v18
	v_cndmask_b32_e32 v1, v11, v4, vcc
	v_mul_f32_e32 v4, 0x3fb8aa3b, v3
	v_add_f32_e32 v0, v0, v1
	v_ldexp_f32 v1, v5, v6
	v_fma_f32 v5, v3, s0, -v4
	v_rndne_f32_e32 v6, v4
	v_fmac_f32_e32 v5, 0x32a5705f, v3
	v_sub_f32_e32 v4, v4, v6
	v_add_f32_e32 v4, v4, v5
	v_exp_f32_e32 v4, v4
	v_cvt_i32_f32_e32 v5, v6
	v_cmp_ngt_f32_e32 vcc, s1, v2
	v_cndmask_b32_e32 v1, 0, v1, vcc
	v_cmp_nlt_f32_e32 vcc, s2, v2
	v_cndmask_b32_e32 v1, v11, v1, vcc
	v_add_f32_e32 v0, v0, v1
	v_ldexp_f32 v1, v4, v5
	v_cmp_ngt_f32_e32 vcc, s1, v3
	v_cndmask_b32_e32 v1, 0, v1, vcc
	v_cmp_nlt_f32_e32 vcc, s2, v3
	v_cndmask_b32_e32 v1, v11, v1, vcc
	v_add_f32_e32 v0, v0, v1
	v_cmp_eq_u32_e32 vcc, 0, v15
	s_nop 0
	v_mov_b32_dpp v1, v0 quad_perm:[1,0,3,2] row_mask:0xf bank_mask:0xf
	v_add_f32_e32 v0, v0, v1
	s_nop 1
	v_mov_b32_dpp v1, v0 quad_perm:[2,3,0,1] row_mask:0xf bank_mask:0xf
	v_add_f32_e32 v0, v0, v1
	s_nop 1
	v_mov_b32_dpp v1, v0 row_half_mirror row_mask:0xf bank_mask:0xf
	v_add_f32_e32 v0, v0, v1
	s_nop 1
	v_mov_b32_dpp v1, v0 row_mirror row_mask:0xf bank_mask:0xf
	s_and_b64 exec, exec, vcc
	s_cbranch_execz .LBB78_31
; %bb.19:
	v_add_f32_e32 v0, v0, v1
	v_add_f32_e32 v0, v16, v0
	v_cmp_neq_f32_e32 vcc, 0, v0
	s_and_b64 exec, exec, vcc
	s_cbranch_execz .LBB78_31
; %bb.20:
	s_andn2_b64 vcc, exec, s[18:19]
	s_cbranch_vccnz .LBB78_31
; %bb.21:
	v_div_scale_f32 v1, s[0:1], v0, v0, 1.0
	v_rcp_f32_e32 v2, v1
	v_div_scale_f32 v3, vcc, 1.0, v0, 1.0
	s_cmp_gt_u32 s8, 3
	v_fma_f32 v4, -v1, v2, 1.0
	v_fmac_f32_e32 v2, v4, v2
	v_mul_f32_e32 v4, v3, v2
	v_fma_f32 v5, -v1, v4, v3
	v_fmac_f32_e32 v4, v5, v2
	v_fma_f32 v1, -v1, v4, v3
	v_div_fmas_f32 v1, v1, v2, v4
	v_mul_lo_u32 v2, v14, s11
	v_div_fixup_f32 v0, v1, v0, 1.0
	v_ashrrev_i32_e32 v3, 31, v2
	s_cbranch_scc0 .LBB78_25
; %bb.22:
	v_lshlrev_b64 v[4:5], 2, v[2:3]
	v_mov_b32_e32 v6, s7
	v_add_co_u32_e32 v4, vcc, s6, v4
	v_addc_co_u32_e32 v5, vcc, v5, v6, vcc
	s_and_b32 s4, s8, 0x7ffffffc
	v_add_co_u32_e32 v4, vcc, 8, v4
	v_mov_b32_e32 v1, v0
	v_addc_co_u32_e32 v5, vcc, 0, v5, vcc
	s_mov_b32 s0, s4
.LBB78_23:                              ; =>This Inner Loop Header: Depth=1
	global_load_dwordx4 v[6:9], v[4:5], off offset:-8
	s_add_i32 s0, s0, -4
	s_cmp_lg_u32 s0, 0
	s_waitcnt vmcnt(0)
	v_pk_mul_f32 v[6:7], v[0:1], v[6:7]
	v_pk_mul_f32 v[8:9], v[0:1], v[8:9]
	global_store_dwordx4 v[4:5], v[6:9], off offset:-8
	v_add_co_u32_e32 v4, vcc, 16, v4
	v_addc_co_u32_e32 v5, vcc, 0, v5, vcc
	s_cbranch_scc1 .LBB78_23
; %bb.24:
	s_cmp_lg_u32 s4, s8
	s_mov_b64 s[2:3], 0
	s_cselect_b64 s[0:1], -1, 0
	s_branch .LBB78_26
.LBB78_25:
	s_mov_b64 s[2:3], -1
	s_mov_b64 s[0:1], 0
                                        ; implicit-def: $sgpr4
.LBB78_26:
	s_and_b64 vcc, exec, s[2:3]
	s_cbranch_vccz .LBB78_28
; %bb.27:
	s_mov_b64 s[0:1], -1
	s_mov_b32 s4, 0
.LBB78_28:
	s_andn2_b64 vcc, exec, s[0:1]
	s_cbranch_vccnz .LBB78_31
; %bb.29:
	v_add_co_u32_e32 v2, vcc, s4, v2
	v_addc_co_u32_e32 v3, vcc, 0, v3, vcc
	v_lshlrev_b64 v[2:3], 2, v[2:3]
	v_mov_b32_e32 v1, s7
	v_add_co_u32_e32 v2, vcc, s6, v2
	s_sub_i32 s0, s8, s4
	v_addc_co_u32_e32 v3, vcc, v1, v3, vcc
.LBB78_30:                              ; =>This Inner Loop Header: Depth=1
	global_load_dword v1, v[2:3], off
	s_add_i32 s0, s0, -1
	s_cmp_lg_u32 s0, 0
	s_waitcnt vmcnt(0)
	v_mul_f32_e32 v1, v0, v1
	global_store_dword v[2:3], v1, off
	v_add_co_u32_e32 v2, vcc, 4, v2
	v_addc_co_u32_e32 v3, vcc, 0, v3, vcc
	s_cbranch_scc1 .LBB78_30
.LBB78_31:
	s_endpgm
	.section	.rodata,"a",@progbits
	.p2align	6, 0x0
	.amdhsa_kernel _ZN4vllm3moe17topkGatingSoftmaxIfLi8ELi128ELi8ELi32ELb0ELi4ELNS0_23SharedExpertScoringFuncE1EEEvPKT_PKbPfiPiS9_iiiiii
		.amdhsa_group_segment_fixed_size 0
		.amdhsa_private_segment_fixed_size 0
		.amdhsa_kernarg_size 72
		.amdhsa_user_sgpr_count 6
		.amdhsa_user_sgpr_private_segment_buffer 1
		.amdhsa_user_sgpr_dispatch_ptr 0
		.amdhsa_user_sgpr_queue_ptr 0
		.amdhsa_user_sgpr_kernarg_segment_ptr 1
		.amdhsa_user_sgpr_dispatch_id 0
		.amdhsa_user_sgpr_flat_scratch_init 0
		.amdhsa_user_sgpr_kernarg_preload_length 0
		.amdhsa_user_sgpr_kernarg_preload_offset 0
		.amdhsa_user_sgpr_private_segment_size 0
		.amdhsa_uses_dynamic_stack 0
		.amdhsa_system_sgpr_private_segment_wavefront_offset 0
		.amdhsa_system_sgpr_workgroup_id_x 1
		.amdhsa_system_sgpr_workgroup_id_y 0
		.amdhsa_system_sgpr_workgroup_id_z 0
		.amdhsa_system_sgpr_workgroup_info 0
		.amdhsa_system_vgpr_workitem_id 1
		.amdhsa_next_free_vgpr 34
		.amdhsa_next_free_sgpr 25
		.amdhsa_accum_offset 36
		.amdhsa_reserve_vcc 1
		.amdhsa_reserve_flat_scratch 0
		.amdhsa_float_round_mode_32 0
		.amdhsa_float_round_mode_16_64 0
		.amdhsa_float_denorm_mode_32 3
		.amdhsa_float_denorm_mode_16_64 3
		.amdhsa_dx10_clamp 1
		.amdhsa_ieee_mode 1
		.amdhsa_fp16_overflow 0
		.amdhsa_tg_split 0
		.amdhsa_exception_fp_ieee_invalid_op 0
		.amdhsa_exception_fp_denorm_src 0
		.amdhsa_exception_fp_ieee_div_zero 0
		.amdhsa_exception_fp_ieee_overflow 0
		.amdhsa_exception_fp_ieee_underflow 0
		.amdhsa_exception_fp_ieee_inexact 0
		.amdhsa_exception_int_div_zero 0
	.end_amdhsa_kernel
	.section	.text._ZN4vllm3moe17topkGatingSoftmaxIfLi8ELi128ELi8ELi32ELb0ELi4ELNS0_23SharedExpertScoringFuncE1EEEvPKT_PKbPfiPiS9_iiiiii,"axG",@progbits,_ZN4vllm3moe17topkGatingSoftmaxIfLi8ELi128ELi8ELi32ELb0ELi4ELNS0_23SharedExpertScoringFuncE1EEEvPKT_PKbPfiPiS9_iiiiii,comdat
.Lfunc_end78:
	.size	_ZN4vllm3moe17topkGatingSoftmaxIfLi8ELi128ELi8ELi32ELb0ELi4ELNS0_23SharedExpertScoringFuncE1EEEvPKT_PKbPfiPiS9_iiiiii, .Lfunc_end78-_ZN4vllm3moe17topkGatingSoftmaxIfLi8ELi128ELi8ELi32ELb0ELi4ELNS0_23SharedExpertScoringFuncE1EEEvPKT_PKbPfiPiS9_iiiiii
                                        ; -- End function
	.section	.AMDGPU.csdata,"",@progbits
; Kernel info:
; codeLenInByte = 3504
; NumSgprs: 29
; NumVgprs: 34
; NumAgprs: 0
; TotalNumVgprs: 34
; ScratchSize: 0
; MemoryBound: 0
; FloatMode: 240
; IeeeMode: 1
; LDSByteSize: 0 bytes/workgroup (compile time only)
; SGPRBlocks: 3
; VGPRBlocks: 4
; NumSGPRsForWavesPerEU: 29
; NumVGPRsForWavesPerEU: 34
; AccumOffset: 36
; Occupancy: 8
; WaveLimiterHint : 0
; COMPUTE_PGM_RSRC2:SCRATCH_EN: 0
; COMPUTE_PGM_RSRC2:USER_SGPR: 6
; COMPUTE_PGM_RSRC2:TRAP_HANDLER: 0
; COMPUTE_PGM_RSRC2:TGID_X_EN: 1
; COMPUTE_PGM_RSRC2:TGID_Y_EN: 0
; COMPUTE_PGM_RSRC2:TGID_Z_EN: 0
; COMPUTE_PGM_RSRC2:TIDIG_COMP_CNT: 1
; COMPUTE_PGM_RSRC3_GFX90A:ACCUM_OFFSET: 8
; COMPUTE_PGM_RSRC3_GFX90A:TG_SPLIT: 0
	.section	.text._ZN4vllm3moe17topkGatingSoftmaxIfLi8ELi128ELi8ELi32ELb1ELi8ELNS0_23SharedExpertScoringFuncE1EEEvPKT_PKbPfiPiS9_iiiiii,"axG",@progbits,_ZN4vllm3moe17topkGatingSoftmaxIfLi8ELi128ELi8ELi32ELb1ELi8ELNS0_23SharedExpertScoringFuncE1EEEvPKT_PKbPfiPiS9_iiiiii,comdat
	.protected	_ZN4vllm3moe17topkGatingSoftmaxIfLi8ELi128ELi8ELi32ELb1ELi8ELNS0_23SharedExpertScoringFuncE1EEEvPKT_PKbPfiPiS9_iiiiii ; -- Begin function _ZN4vllm3moe17topkGatingSoftmaxIfLi8ELi128ELi8ELi32ELb1ELi8ELNS0_23SharedExpertScoringFuncE1EEEvPKT_PKbPfiPiS9_iiiiii
	.globl	_ZN4vllm3moe17topkGatingSoftmaxIfLi8ELi128ELi8ELi32ELb1ELi8ELNS0_23SharedExpertScoringFuncE1EEEvPKT_PKbPfiPiS9_iiiiii
	.p2align	8
	.type	_ZN4vllm3moe17topkGatingSoftmaxIfLi8ELi128ELi8ELi32ELb1ELi8ELNS0_23SharedExpertScoringFuncE1EEEvPKT_PKbPfiPiS9_iiiiii,@function
_ZN4vllm3moe17topkGatingSoftmaxIfLi8ELi128ELi8ELi32ELb1ELi8ELNS0_23SharedExpertScoringFuncE1EEEvPKT_PKbPfiPiS9_iiiiii: ; @_ZN4vllm3moe17topkGatingSoftmaxIfLi8ELi128ELi8ELi32ELb1ELi8ELNS0_23SharedExpertScoringFuncE1EEEvPKT_PKbPfiPiS9_iiiiii
; %bb.0:
	s_load_dword s24, s[4:5], 0x18
	v_bfe_u32 v1, v0, 10, 10
	v_and_b32_e32 v0, 0x3ff, v0
	s_lshl_b32 s25, s6, 5
	v_lshlrev_b32_e32 v25, 2, v1
	v_lshrrev_b32_e32 v26, 4, v0
	v_add3_u32 v14, s25, v25, v26
	s_waitcnt lgkmcnt(0)
	v_cmp_gt_i32_e32 vcc, s24, v14
	s_and_saveexec_b64 s[0:1], vcc
	s_cbranch_execz .LBB79_29
; %bb.1:
	s_load_dwordx4 s[0:3], s[4:5], 0x0
	s_load_dwordx2 s[16:17], s[4:5], 0x10
	s_waitcnt lgkmcnt(0)
	s_cmp_eq_u64 s[2:3], 0
	s_cbranch_scc1 .LBB79_3
; %bb.2:
	v_ashrrev_i32_e32 v1, 31, v14
	v_mov_b32_e32 v3, s3
	v_add_co_u32_e32 v2, vcc, s2, v14
	v_addc_co_u32_e32 v3, vcc, v3, v1, vcc
	global_load_ubyte v1, v[2:3], off
	s_waitcnt vmcnt(0)
	v_and_b32_e32 v1, 1, v1
	v_cmp_eq_u32_e32 vcc, 1, v1
	s_xor_b64 s[2:3], vcc, -1
	s_orn2_b64 s[18:19], s[2:3], exec
	s_branch .LBB79_4
.LBB79_3:
	s_mov_b64 s[18:19], -1
.LBB79_4:
	s_load_dwordx2 s[22:23], s[4:5], 0x40
	s_load_dwordx4 s[8:11], s[4:5], 0x30
	v_mov_b32_e32 v1, s1
	v_and_b32_e32 v15, 15, v0
	v_lshlrev_b32_e32 v0, 5, v15
	s_waitcnt lgkmcnt(0)
	v_mul_lo_u32 v2, v14, s23
	v_ashrrev_i32_e32 v3, 31, v2
	v_lshlrev_b64 v[2:3], 2, v[2:3]
	v_add_co_u32_e32 v8, vcc, s0, v2
	v_addc_co_u32_e32 v9, vcc, v1, v3, vcc
	v_add_co_u32_e32 v10, vcc, v8, v0
	v_addc_co_u32_e32 v11, vcc, 0, v9, vcc
	global_load_dwordx4 v[0:3], v[10:11], off offset:16
	global_load_dwordx4 v[4:7], v[10:11], off
	v_lshlrev_b32_e32 v17, 3, v15
	v_mov_b32_e32 v16, 0
	v_cmp_gt_u32_e32 vcc, 8, v15
	s_and_saveexec_b64 s[0:1], vcc
	s_cbranch_execz .LBB79_6
; %bb.5:
	v_lshlrev_b32_e32 v10, 2, v15
	v_add_co_u32_e32 v8, vcc, v8, v10
	v_addc_co_u32_e32 v9, vcc, 0, v9, vcc
	global_load_dword v10, v[8:9], off offset:512
	s_mov_b32 s2, 0xbfb8aa3b
	s_mov_b32 s3, 0x42ce8ed0
	s_mov_b32 s6, 0xc2b17218
	v_mov_b32_e32 v11, 0x7f800000
	v_mul_lo_u32 v8, v14, s11
	v_add3_u32 v8, v8, s8, v15
	v_mov_b32_e32 v18, s17
	s_waitcnt vmcnt(0)
	v_mul_f32_e32 v9, 0xbfb8aa3b, v10
	v_fma_f32 v12, v10, s2, -v9
	v_rndne_f32_e32 v13, v9
	v_fmac_f32_e32 v12, 0xb2a5705f, v10
	v_sub_f32_e32 v9, v9, v13
	v_add_f32_e32 v9, v9, v12
	v_cvt_i32_f32_e32 v13, v13
	v_exp_f32_e32 v12, v9
	v_cmp_nlt_f32_e32 vcc, s3, v10
	v_ashrrev_i32_e32 v9, 31, v8
	v_lshlrev_b64 v[8:9], 2, v[8:9]
	v_ldexp_f32 v12, v12, v13
	v_cndmask_b32_e32 v12, 0, v12, vcc
	v_cmp_ngt_f32_e32 vcc, s6, v10
	v_cndmask_b32_e32 v10, v11, v12, vcc
	v_add_f32_e32 v10, 1.0, v10
	v_div_scale_f32 v11, s[2:3], v10, v10, 1.0
	v_rcp_f32_e32 v12, v11
	v_div_scale_f32 v13, vcc, 1.0, v10, 1.0
	v_fma_f32 v19, -v11, v12, 1.0
	v_fmac_f32_e32 v12, v19, v12
	v_mul_f32_e32 v19, v13, v12
	v_fma_f32 v20, -v11, v19, v13
	v_fmac_f32_e32 v19, v20, v12
	v_fma_f32 v11, -v11, v19, v13
	v_div_fmas_f32 v11, v11, v12, v19
	v_add_co_u32_e32 v8, vcc, s16, v8
	v_div_fixup_f32 v10, v11, v10, 1.0
	v_addc_co_u32_e32 v9, vcc, v18, v9, vcc
	global_store_dword v[8:9], v10, off
.LBB79_6:
	s_or_b64 exec, exec, s[0:1]
	s_waitcnt vmcnt(0)
	v_cmp_lt_f32_e32 vcc, v4, v5
	v_or_b32_e32 v18, 1, v17
	v_cndmask_b32_e32 v9, v4, v5, vcc
	v_cndmask_b32_e32 v8, v17, v18, vcc
	v_cmp_lt_f32_e32 vcc, v9, v6
	v_or_b32_e32 v19, 2, v17
	v_cndmask_b32_e32 v9, v9, v6, vcc
	v_cndmask_b32_e32 v8, v8, v19, vcc
	;; [unrolled: 4-line block ×6, first 2 shown]
	v_or_b32_e32 v24, 7, v17
	v_cmp_lt_f32_e32 vcc, v9, v3
	v_cndmask_b32_e32 v8, v8, v24, vcc
	v_cndmask_b32_e32 v9, v9, v3, vcc
	s_nop 0
	v_mov_b32_dpp v10, v8 quad_perm:[1,0,3,2] row_mask:0xf bank_mask:0xf
	v_mov_b32_dpp v11, v9 quad_perm:[1,0,3,2] row_mask:0xf bank_mask:0xf
	v_cmp_eq_f32_e64 s[0:1], v9, v11
	v_cmp_lt_i32_e64 s[2:3], v10, v8
	v_cmp_lt_f32_e32 vcc, v9, v11
	s_and_b64 s[0:1], s[0:1], s[2:3]
	s_or_b64 vcc, vcc, s[0:1]
	v_cndmask_b32_e32 v9, v9, v11, vcc
	v_cndmask_b32_e32 v8, v8, v10, vcc
	s_nop 0
	v_mov_b32_dpp v11, v9 quad_perm:[2,3,0,1] row_mask:0xf bank_mask:0xf
	v_mov_b32_dpp v10, v8 quad_perm:[2,3,0,1] row_mask:0xf bank_mask:0xf
	v_cmp_eq_f32_e64 s[0:1], v9, v11
	v_cmp_lt_i32_e64 s[2:3], v10, v8
	v_cmp_lt_f32_e32 vcc, v9, v11
	s_and_b64 s[0:1], s[0:1], s[2:3]
	s_or_b64 vcc, vcc, s[0:1]
	v_cndmask_b32_e32 v9, v9, v11, vcc
	v_cndmask_b32_e32 v10, v8, v10, vcc
	s_nop 0
	v_mov_b32_dpp v8, v9 row_half_mirror row_mask:0xf bank_mask:0xf
	v_mov_b32_dpp v11, v10 row_half_mirror row_mask:0xf bank_mask:0xf
	v_cmp_eq_f32_e64 s[0:1], v9, v8
	v_cmp_lt_i32_e64 s[2:3], v11, v10
	v_cmp_lt_f32_e32 vcc, v9, v8
	s_and_b64 s[0:1], s[0:1], s[2:3]
	s_or_b64 vcc, vcc, s[0:1]
	v_cndmask_b32_e32 v8, v9, v8, vcc
	v_cndmask_b32_e32 v9, v10, v11, vcc
	s_cmp_gt_i32 s8, 0
	v_mov_b32_dpp v11, v8 row_mirror row_mask:0xf bank_mask:0xf
	v_mov_b32_dpp v10, v9 row_mirror row_mask:0xf bank_mask:0xf
	s_cselect_b64 s[20:21], -1, 0
	s_cmp_lt_i32 s8, 1
	v_cmp_eq_u32_e32 vcc, 0, v15
	s_cbranch_scc1 .LBB79_18
; %bb.7:
	s_load_dwordx4 s[12:15], s[4:5], 0x20
	v_cmp_eq_f32_e64 s[2:3], v8, v11
	v_cmp_lt_i32_e64 s[6:7], v10, v9
	v_cmp_lt_f32_e64 s[0:1], v8, v11
	s_and_b64 s[2:3], s[2:3], s[6:7]
	s_or_b64 s[0:1], s[0:1], s[2:3]
	v_cndmask_b32_e64 v28, v9, v10, s[0:1]
	v_cndmask_b32_e64 v27, v8, v11, s[0:1]
	v_mul_lo_u32 v12, v14, s11
	v_mul_lo_u32 v10, v14, s22
	;; [unrolled: 1-line block ×3, first 2 shown]
	v_mov_b32_e32 v16, 0
	s_and_saveexec_b64 s[4:5], vcc
	s_cbranch_execz .LBB79_9
; %bb.8:
	v_sub_f32_e32 v9, v27, v27
	v_mul_f32_e32 v11, 0x3fb8aa3b, v9
	s_mov_b32 s0, 0x3fb8aa3b
	v_rndne_f32_e32 v13, v11
	v_sub_f32_e32 v16, v11, v13
	v_fma_f32 v11, v9, s0, -v11
	v_fmac_f32_e32 v11, 0x32a5705f, v9
	v_add_f32_e32 v11, v16, v11
	v_exp_f32_e32 v11, v11
	v_cvt_i32_f32_e32 v13, v13
	v_cmp_le_i32_e64 s[0:1], s9, v28
	v_cmp_gt_i32_e64 s[2:3], s10, v28
	s_and_b64 s[2:3], s[0:1], s[2:3]
	s_mov_b32 s0, 0xc2ce8ed0
	v_ldexp_f32 v11, v11, v13
	v_cmp_ngt_f32_e64 s[0:1], s0, v9
	v_cndmask_b32_e64 v11, 0, v11, s[0:1]
	s_mov_b32 s0, 0x42b17218
	v_mov_b32_e32 v13, 0x7f800000
	v_cmp_nlt_f32_e64 s[0:1], s0, v9
	v_cndmask_b32_e64 v16, v13, v11, s[0:1]
	v_ashrrev_i32_e32 v13, 31, v12
	v_lshlrev_b64 v[30:31], 2, v[12:13]
	v_mov_b32_e32 v9, s17
	v_add_co_u32_e64 v30, s[0:1], s16, v30
	v_addc_co_u32_e64 v31, s[0:1], v9, v31, s[0:1]
	v_subrev_u32_e32 v9, s9, v28
	v_mov_b32_e32 v11, 0x80
	s_and_b64 s[0:1], s[18:19], s[2:3]
	v_cndmask_b32_e64 v9, v11, v9, s[0:1]
	v_ashrrev_i32_e32 v11, 31, v10
	global_store_dword v[30:31], v16, off
	v_lshlrev_b64 v[30:31], 2, v[10:11]
	s_waitcnt lgkmcnt(0)
	v_mov_b32_e32 v11, s13
	v_add_co_u32_e64 v30, s[0:1], s12, v30
	v_addc_co_u32_e64 v31, s[0:1], v11, v31, s[0:1]
	global_store_dword v[30:31], v9, off
	v_ashrrev_i32_e32 v9, 31, v8
	v_lshlrev_b64 v[30:31], 2, v[8:9]
	v_mov_b32_e32 v9, s15
	v_add_co_u32_e64 v30, s[0:1], s14, v30
	v_addc_co_u32_e64 v31, s[0:1], v9, v31, s[0:1]
	global_store_dword v[30:31], v14, off
.LBB79_9:
	s_or_b64 exec, exec, s[4:5]
	v_ashrrev_i32_e32 v11, 31, v28
	v_lshrrev_b32_e32 v9, 29, v11
	v_add_u32_e32 v9, v28, v9
	v_ashrrev_i32_e32 v9, 3, v9
	v_lshrrev_b32_e32 v13, 28, v9
	v_add_u32_e32 v13, v9, v13
	v_and_b32_e32 v13, -16, v13
	v_sub_u32_e32 v13, v9, v13
	v_cmp_eq_u32_e64 s[0:1], v15, v13
	s_and_saveexec_b64 s[2:3], s[0:1]
	s_cbranch_execz .LBB79_11
; %bb.10:
	v_lshrrev_b32_e32 v11, 25, v11
	v_add_u32_e32 v11, v28, v11
	v_lshlrev_b32_e32 v9, 3, v9
	v_ashrrev_i32_e32 v11, 7, v11
	v_sub_u32_e32 v9, v28, v9
	v_lshl_add_u32 v9, v11, 3, v9
	v_mov_b32_e32 v11, 0xff800000
	v_cmp_ne_u32_e64 s[0:1], 7, v9
	v_cndmask_b32_e64 v3, v11, v3, s[0:1]
	v_cmp_ne_u32_e64 s[0:1], 6, v9
	v_cndmask_b32_e64 v2, v11, v2, s[0:1]
	;; [unrolled: 2-line block ×8, first 2 shown]
.LBB79_11:
	s_or_b64 exec, exec, s[2:3]
	s_cmp_eq_u32 s8, 1
	s_cbranch_scc1 .LBB79_18
; %bb.12:
	s_add_i32 s25, s25, s24
	s_add_i32 s6, s8, -1
	v_add3_u32 v25, s25, v26, v25
	v_add_u32_e32 v8, 1, v8
	v_add_u32_e32 v10, 1, v10
	;; [unrolled: 1-line block ×3, first 2 shown]
	s_mov_b32 s7, 0x3fb8aa3b
	s_mov_b32 s22, 0xc2ce8ed0
	;; [unrolled: 1-line block ×3, first 2 shown]
	v_mov_b32_e32 v26, 0x7f800000
	v_mov_b32_e32 v28, 0x80
	;; [unrolled: 1-line block ×3, first 2 shown]
	s_branch .LBB79_14
.LBB79_13:                              ;   in Loop: Header=BB79_14 Depth=1
	s_or_b64 exec, exec, s[2:3]
	s_add_i32 s6, s6, -1
	v_add_u32_e32 v25, s24, v25
	v_add_u32_e32 v8, 1, v8
	;; [unrolled: 1-line block ×3, first 2 shown]
	s_cmp_eq_u32 s6, 0
	v_add_u32_e32 v12, 1, v12
	s_cbranch_scc1 .LBB79_18
.LBB79_14:                              ; =>This Inner Loop Header: Depth=1
	v_cmp_gt_f32_e64 s[0:1], v5, v4
	v_cndmask_b32_e64 v11, v4, v5, s[0:1]
	v_cndmask_b32_e64 v9, v17, v18, s[0:1]
	v_cmp_gt_f32_e64 s[0:1], v6, v11
	v_cndmask_b32_e64 v11, v11, v6, s[0:1]
	v_cndmask_b32_e64 v9, v9, v19, s[0:1]
	;; [unrolled: 3-line block ×7, first 2 shown]
	s_nop 0
	v_mov_b32_dpp v13, v9 quad_perm:[1,0,3,2] row_mask:0xf bank_mask:0xf
	v_mov_b32_dpp v30, v11 quad_perm:[1,0,3,2] row_mask:0xf bank_mask:0xf
	v_cmp_eq_f32_e64 s[2:3], v11, v30
	v_cmp_lt_i32_e64 s[4:5], v13, v9
	v_cmp_lt_f32_e64 s[0:1], v11, v30
	s_and_b64 s[2:3], s[2:3], s[4:5]
	s_or_b64 s[0:1], s[0:1], s[2:3]
	v_cndmask_b32_e64 v11, v11, v30, s[0:1]
	v_cndmask_b32_e64 v9, v9, v13, s[0:1]
	s_nop 0
	v_mov_b32_dpp v30, v11 quad_perm:[2,3,0,1] row_mask:0xf bank_mask:0xf
	v_mov_b32_dpp v13, v9 quad_perm:[2,3,0,1] row_mask:0xf bank_mask:0xf
	v_cmp_eq_f32_e64 s[2:3], v11, v30
	v_cmp_lt_i32_e64 s[4:5], v13, v9
	v_cmp_lt_f32_e64 s[0:1], v11, v30
	s_and_b64 s[2:3], s[2:3], s[4:5]
	s_or_b64 s[0:1], s[0:1], s[2:3]
	v_cndmask_b32_e64 v11, v11, v30, s[0:1]
	v_cndmask_b32_e64 v13, v9, v13, s[0:1]
	s_nop 0
	v_mov_b32_dpp v9, v11 row_half_mirror row_mask:0xf bank_mask:0xf
	v_mov_b32_dpp v30, v13 row_half_mirror row_mask:0xf bank_mask:0xf
	v_cmp_eq_f32_e64 s[2:3], v11, v9
	v_cmp_lt_i32_e64 s[4:5], v30, v13
	v_cmp_lt_f32_e64 s[0:1], v11, v9
	s_and_b64 s[2:3], s[2:3], s[4:5]
	s_or_b64 s[0:1], s[0:1], s[2:3]
	v_cndmask_b32_e64 v9, v11, v9, s[0:1]
	v_cndmask_b32_e64 v13, v13, v30, s[0:1]
	s_nop 0
	v_mov_b32_dpp v11, v9 row_mirror row_mask:0xf bank_mask:0xf
	v_mov_b32_dpp v30, v13 row_mirror row_mask:0xf bank_mask:0xf
	v_cmp_eq_f32_e64 s[2:3], v9, v11
	v_cmp_lt_i32_e64 s[4:5], v30, v13
	v_cmp_lt_f32_e64 s[0:1], v9, v11
	s_and_b64 s[2:3], s[2:3], s[4:5]
	s_or_b64 s[0:1], s[0:1], s[2:3]
	v_cndmask_b32_e64 v30, v13, v30, s[0:1]
	s_and_saveexec_b64 s[4:5], vcc
	s_cbranch_execz .LBB79_16
; %bb.15:                               ;   in Loop: Header=BB79_14 Depth=1
	v_cndmask_b32_e64 v9, v9, v11, s[0:1]
	v_sub_f32_e32 v9, v9, v27
	v_mul_f32_e32 v11, 0x3fb8aa3b, v9
	v_fma_f32 v13, v9, s7, -v11
	v_rndne_f32_e32 v31, v11
	v_fmac_f32_e32 v13, 0x32a5705f, v9
	v_sub_f32_e32 v11, v11, v31
	v_add_f32_e32 v11, v11, v13
	v_exp_f32_e32 v11, v11
	v_cvt_i32_f32_e32 v13, v31
	v_cmp_le_i32_e64 s[0:1], s9, v30
	v_cmp_gt_i32_e64 s[2:3], s10, v30
	s_and_b64 s[2:3], s[0:1], s[2:3]
	v_ldexp_f32 v11, v11, v13
	v_cmp_ngt_f32_e64 s[0:1], s22, v9
	v_ashrrev_i32_e32 v13, 31, v12
	v_cndmask_b32_e64 v11, 0, v11, s[0:1]
	v_cmp_nlt_f32_e64 s[0:1], s23, v9
	v_lshlrev_b64 v[32:33], 2, v[12:13]
	v_cndmask_b32_e64 v31, v26, v11, s[0:1]
	v_mov_b32_e32 v9, s17
	v_add_co_u32_e64 v32, s[0:1], s16, v32
	v_addc_co_u32_e64 v33, s[0:1], v9, v33, s[0:1]
	v_ashrrev_i32_e32 v11, 31, v10
	global_store_dword v[32:33], v31, off
	v_subrev_u32_e32 v9, s9, v30
	s_and_b64 s[0:1], s[18:19], s[2:3]
	v_lshlrev_b64 v[32:33], 2, v[10:11]
	v_cndmask_b32_e64 v9, v28, v9, s[0:1]
	s_waitcnt lgkmcnt(0)
	v_mov_b32_e32 v11, s13
	v_add_co_u32_e64 v32, s[0:1], s12, v32
	v_addc_co_u32_e64 v33, s[0:1], v11, v33, s[0:1]
	global_store_dword v[32:33], v9, off
	v_ashrrev_i32_e32 v9, 31, v8
	v_lshlrev_b64 v[32:33], 2, v[8:9]
	v_mov_b32_e32 v9, s15
	v_add_co_u32_e64 v32, s[0:1], s14, v32
	v_addc_co_u32_e64 v33, s[0:1], v9, v33, s[0:1]
	v_add_f32_e32 v16, v16, v31
	global_store_dword v[32:33], v25, off
.LBB79_16:                              ;   in Loop: Header=BB79_14 Depth=1
	s_or_b64 exec, exec, s[4:5]
	v_ashrrev_i32_e32 v11, 31, v30
	v_lshrrev_b32_e32 v9, 29, v11
	v_add_u32_e32 v9, v30, v9
	v_ashrrev_i32_e32 v9, 3, v9
	v_lshrrev_b32_e32 v13, 28, v9
	v_add_u32_e32 v13, v9, v13
	v_and_b32_e32 v13, -16, v13
	v_sub_u32_e32 v13, v9, v13
	v_cmp_eq_u32_e64 s[0:1], v15, v13
	s_and_saveexec_b64 s[2:3], s[0:1]
	s_cbranch_execz .LBB79_13
; %bb.17:                               ;   in Loop: Header=BB79_14 Depth=1
	v_lshrrev_b32_e32 v11, 25, v11
	v_add_u32_e32 v11, v30, v11
	v_lshlrev_b32_e32 v9, 3, v9
	v_ashrrev_i32_e32 v11, 7, v11
	v_sub_u32_e32 v9, v30, v9
	v_lshl_add_u32 v9, v11, 3, v9
	v_cmp_ne_u32_e64 s[0:1], 7, v9
	v_cndmask_b32_e64 v3, v29, v3, s[0:1]
	v_cmp_ne_u32_e64 s[0:1], 6, v9
	v_cndmask_b32_e64 v2, v29, v2, s[0:1]
	;; [unrolled: 2-line block ×8, first 2 shown]
	s_branch .LBB79_13
.LBB79_18:
	v_cmp_eq_u32_e32 vcc, 0, v15
	v_cmp_neq_f32_e64 s[0:1], 0, v16
	s_and_b64 s[0:1], vcc, s[0:1]
	s_and_b64 exec, exec, s[0:1]
	s_cbranch_execz .LBB79_29
; %bb.19:
	s_andn2_b64 vcc, exec, s[20:21]
	s_cbranch_vccnz .LBB79_29
; %bb.20:
	v_div_scale_f32 v0, s[0:1], v16, v16, 1.0
	v_rcp_f32_e32 v1, v0
	v_div_scale_f32 v2, vcc, 1.0, v16, 1.0
	s_cmp_gt_u32 s8, 3
	v_fma_f32 v3, -v0, v1, 1.0
	v_fmac_f32_e32 v1, v3, v1
	v_mul_f32_e32 v3, v2, v1
	v_fma_f32 v4, -v0, v3, v2
	v_fmac_f32_e32 v3, v4, v1
	v_fma_f32 v0, -v0, v3, v2
	v_div_fmas_f32 v0, v0, v1, v3
	v_mul_lo_u32 v2, v14, s11
	v_div_fixup_f32 v0, v0, v16, 1.0
	v_ashrrev_i32_e32 v3, 31, v2
	s_cbranch_scc0 .LBB79_24
; %bb.21:
	v_lshlrev_b64 v[4:5], 2, v[2:3]
	v_mov_b32_e32 v6, s17
	v_add_co_u32_e32 v4, vcc, s16, v4
	v_addc_co_u32_e32 v5, vcc, v5, v6, vcc
	s_and_b32 s4, s8, 0x7ffffffc
	v_add_co_u32_e32 v4, vcc, 8, v4
	v_mov_b32_e32 v1, v0
	v_addc_co_u32_e32 v5, vcc, 0, v5, vcc
	s_mov_b32 s0, s4
.LBB79_22:                              ; =>This Inner Loop Header: Depth=1
	global_load_dwordx4 v[6:9], v[4:5], off offset:-8
	s_add_i32 s0, s0, -4
	s_cmp_lg_u32 s0, 0
	s_waitcnt vmcnt(0)
	v_pk_mul_f32 v[6:7], v[0:1], v[6:7]
	v_pk_mul_f32 v[8:9], v[0:1], v[8:9]
	global_store_dwordx4 v[4:5], v[6:9], off offset:-8
	v_add_co_u32_e32 v4, vcc, 16, v4
	v_addc_co_u32_e32 v5, vcc, 0, v5, vcc
	s_cbranch_scc1 .LBB79_22
; %bb.23:
	s_cmp_lg_u32 s4, s8
	s_cselect_b64 s[0:1], -1, 0
	s_branch .LBB79_26
.LBB79_24:
	s_mov_b64 s[0:1], 0
                                        ; implicit-def: $sgpr4
	s_cbranch_execz .LBB79_26
; %bb.25:
	s_mov_b64 s[0:1], -1
	s_mov_b32 s4, 0
.LBB79_26:
	s_andn2_b64 vcc, exec, s[0:1]
	s_cbranch_vccnz .LBB79_29
; %bb.27:
	v_add_co_u32_e32 v2, vcc, s4, v2
	v_addc_co_u32_e32 v3, vcc, 0, v3, vcc
	v_lshlrev_b64 v[2:3], 2, v[2:3]
	v_mov_b32_e32 v1, s17
	v_add_co_u32_e32 v2, vcc, s16, v2
	s_sub_i32 s0, s8, s4
	v_addc_co_u32_e32 v3, vcc, v1, v3, vcc
.LBB79_28:                              ; =>This Inner Loop Header: Depth=1
	global_load_dword v1, v[2:3], off
	s_add_i32 s0, s0, -1
	s_cmp_lg_u32 s0, 0
	s_waitcnt vmcnt(0)
	v_mul_f32_e32 v1, v0, v1
	global_store_dword v[2:3], v1, off
	v_add_co_u32_e32 v2, vcc, 4, v2
	v_addc_co_u32_e32 v3, vcc, 0, v3, vcc
	s_cbranch_scc1 .LBB79_28
.LBB79_29:
	s_endpgm
	.section	.rodata,"a",@progbits
	.p2align	6, 0x0
	.amdhsa_kernel _ZN4vllm3moe17topkGatingSoftmaxIfLi8ELi128ELi8ELi32ELb1ELi8ELNS0_23SharedExpertScoringFuncE1EEEvPKT_PKbPfiPiS9_iiiiii
		.amdhsa_group_segment_fixed_size 0
		.amdhsa_private_segment_fixed_size 0
		.amdhsa_kernarg_size 72
		.amdhsa_user_sgpr_count 6
		.amdhsa_user_sgpr_private_segment_buffer 1
		.amdhsa_user_sgpr_dispatch_ptr 0
		.amdhsa_user_sgpr_queue_ptr 0
		.amdhsa_user_sgpr_kernarg_segment_ptr 1
		.amdhsa_user_sgpr_dispatch_id 0
		.amdhsa_user_sgpr_flat_scratch_init 0
		.amdhsa_user_sgpr_kernarg_preload_length 0
		.amdhsa_user_sgpr_kernarg_preload_offset 0
		.amdhsa_user_sgpr_private_segment_size 0
		.amdhsa_uses_dynamic_stack 0
		.amdhsa_system_sgpr_private_segment_wavefront_offset 0
		.amdhsa_system_sgpr_workgroup_id_x 1
		.amdhsa_system_sgpr_workgroup_id_y 0
		.amdhsa_system_sgpr_workgroup_id_z 0
		.amdhsa_system_sgpr_workgroup_info 0
		.amdhsa_system_vgpr_workitem_id 1
		.amdhsa_next_free_vgpr 34
		.amdhsa_next_free_sgpr 26
		.amdhsa_accum_offset 36
		.amdhsa_reserve_vcc 1
		.amdhsa_reserve_flat_scratch 0
		.amdhsa_float_round_mode_32 0
		.amdhsa_float_round_mode_16_64 0
		.amdhsa_float_denorm_mode_32 3
		.amdhsa_float_denorm_mode_16_64 3
		.amdhsa_dx10_clamp 1
		.amdhsa_ieee_mode 1
		.amdhsa_fp16_overflow 0
		.amdhsa_tg_split 0
		.amdhsa_exception_fp_ieee_invalid_op 0
		.amdhsa_exception_fp_denorm_src 0
		.amdhsa_exception_fp_ieee_div_zero 0
		.amdhsa_exception_fp_ieee_overflow 0
		.amdhsa_exception_fp_ieee_underflow 0
		.amdhsa_exception_fp_ieee_inexact 0
		.amdhsa_exception_int_div_zero 0
	.end_amdhsa_kernel
	.section	.text._ZN4vllm3moe17topkGatingSoftmaxIfLi8ELi128ELi8ELi32ELb1ELi8ELNS0_23SharedExpertScoringFuncE1EEEvPKT_PKbPfiPiS9_iiiiii,"axG",@progbits,_ZN4vllm3moe17topkGatingSoftmaxIfLi8ELi128ELi8ELi32ELb1ELi8ELNS0_23SharedExpertScoringFuncE1EEEvPKT_PKbPfiPiS9_iiiiii,comdat
.Lfunc_end79:
	.size	_ZN4vllm3moe17topkGatingSoftmaxIfLi8ELi128ELi8ELi32ELb1ELi8ELNS0_23SharedExpertScoringFuncE1EEEvPKT_PKbPfiPiS9_iiiiii, .Lfunc_end79-_ZN4vllm3moe17topkGatingSoftmaxIfLi8ELi128ELi8ELi32ELb1ELi8ELNS0_23SharedExpertScoringFuncE1EEEvPKT_PKbPfiPiS9_iiiiii
                                        ; -- End function
	.section	.AMDGPU.csdata,"",@progbits
; Kernel info:
; codeLenInByte = 2788
; NumSgprs: 30
; NumVgprs: 34
; NumAgprs: 0
; TotalNumVgprs: 34
; ScratchSize: 0
; MemoryBound: 0
; FloatMode: 240
; IeeeMode: 1
; LDSByteSize: 0 bytes/workgroup (compile time only)
; SGPRBlocks: 3
; VGPRBlocks: 4
; NumSGPRsForWavesPerEU: 30
; NumVGPRsForWavesPerEU: 34
; AccumOffset: 36
; Occupancy: 8
; WaveLimiterHint : 0
; COMPUTE_PGM_RSRC2:SCRATCH_EN: 0
; COMPUTE_PGM_RSRC2:USER_SGPR: 6
; COMPUTE_PGM_RSRC2:TRAP_HANDLER: 0
; COMPUTE_PGM_RSRC2:TGID_X_EN: 1
; COMPUTE_PGM_RSRC2:TGID_Y_EN: 0
; COMPUTE_PGM_RSRC2:TGID_Z_EN: 0
; COMPUTE_PGM_RSRC2:TIDIG_COMP_CNT: 1
; COMPUTE_PGM_RSRC3_GFX90A:ACCUM_OFFSET: 8
; COMPUTE_PGM_RSRC3_GFX90A:TG_SPLIT: 0
	.section	.text._ZN4vllm3moe17topkGatingSoftmaxIfLi8ELi128ELi8ELi32ELb0ELi8ELNS0_23SharedExpertScoringFuncE1EEEvPKT_PKbPfiPiS9_iiiiii,"axG",@progbits,_ZN4vllm3moe17topkGatingSoftmaxIfLi8ELi128ELi8ELi32ELb0ELi8ELNS0_23SharedExpertScoringFuncE1EEEvPKT_PKbPfiPiS9_iiiiii,comdat
	.protected	_ZN4vllm3moe17topkGatingSoftmaxIfLi8ELi128ELi8ELi32ELb0ELi8ELNS0_23SharedExpertScoringFuncE1EEEvPKT_PKbPfiPiS9_iiiiii ; -- Begin function _ZN4vllm3moe17topkGatingSoftmaxIfLi8ELi128ELi8ELi32ELb0ELi8ELNS0_23SharedExpertScoringFuncE1EEEvPKT_PKbPfiPiS9_iiiiii
	.globl	_ZN4vllm3moe17topkGatingSoftmaxIfLi8ELi128ELi8ELi32ELb0ELi8ELNS0_23SharedExpertScoringFuncE1EEEvPKT_PKbPfiPiS9_iiiiii
	.p2align	8
	.type	_ZN4vllm3moe17topkGatingSoftmaxIfLi8ELi128ELi8ELi32ELb0ELi8ELNS0_23SharedExpertScoringFuncE1EEEvPKT_PKbPfiPiS9_iiiiii,@function
_ZN4vllm3moe17topkGatingSoftmaxIfLi8ELi128ELi8ELi32ELb0ELi8ELNS0_23SharedExpertScoringFuncE1EEEvPKT_PKbPfiPiS9_iiiiii: ; @_ZN4vllm3moe17topkGatingSoftmaxIfLi8ELi128ELi8ELi32ELb0ELi8ELNS0_23SharedExpertScoringFuncE1EEEvPKT_PKbPfiPiS9_iiiiii
; %bb.0:
	s_load_dword s22, s[4:5], 0x18
	v_bfe_u32 v1, v0, 10, 10
	v_and_b32_e32 v0, 0x3ff, v0
	s_lshl_b32 s23, s6, 5
	v_lshlrev_b32_e32 v26, 2, v1
	v_lshrrev_b32_e32 v27, 4, v0
	v_add3_u32 v14, s23, v26, v27
	s_waitcnt lgkmcnt(0)
	v_cmp_gt_i32_e32 vcc, s22, v14
	s_and_saveexec_b64 s[0:1], vcc
	s_cbranch_execz .LBB80_31
; %bb.1:
	s_load_dwordx4 s[0:3], s[4:5], 0x0
	s_load_dwordx2 s[6:7], s[4:5], 0x10
	s_waitcnt lgkmcnt(0)
	s_cmp_eq_u64 s[2:3], 0
	s_cbranch_scc1 .LBB80_3
; %bb.2:
	v_ashrrev_i32_e32 v1, 31, v14
	v_mov_b32_e32 v3, s3
	v_add_co_u32_e32 v2, vcc, s2, v14
	v_addc_co_u32_e32 v3, vcc, v3, v1, vcc
	global_load_ubyte v1, v[2:3], off
	s_waitcnt vmcnt(0)
	v_and_b32_e32 v1, 1, v1
	v_cmp_eq_u32_e32 vcc, 1, v1
	s_xor_b64 s[2:3], vcc, -1
	s_orn2_b64 s[16:17], s[2:3], exec
	s_branch .LBB80_4
.LBB80_3:
	s_mov_b64 s[16:17], -1
.LBB80_4:
	s_load_dwordx2 s[20:21], s[4:5], 0x40
	s_load_dwordx4 s[8:11], s[4:5], 0x30
	v_mov_b32_e32 v1, s1
	v_and_b32_e32 v15, 15, v0
	v_lshlrev_b32_e32 v0, 5, v15
	s_waitcnt lgkmcnt(0)
	v_mul_lo_u32 v2, v14, s21
	v_ashrrev_i32_e32 v3, 31, v2
	v_lshlrev_b64 v[2:3], 2, v[2:3]
	v_add_co_u32_e32 v8, vcc, s0, v2
	v_addc_co_u32_e32 v9, vcc, v1, v3, vcc
	v_add_co_u32_e32 v10, vcc, v8, v0
	v_addc_co_u32_e32 v11, vcc, 0, v9, vcc
	global_load_dwordx4 v[0:3], v[10:11], off offset:16
	global_load_dwordx4 v[4:7], v[10:11], off
	v_lshlrev_b32_e32 v17, 3, v15
	v_mov_b32_e32 v16, 0
	v_cmp_gt_u32_e32 vcc, 8, v15
	s_and_saveexec_b64 s[0:1], vcc
	s_cbranch_execz .LBB80_6
; %bb.5:
	v_lshlrev_b32_e32 v10, 2, v15
	v_add_co_u32_e32 v8, vcc, v8, v10
	v_addc_co_u32_e32 v9, vcc, 0, v9, vcc
	global_load_dword v10, v[8:9], off offset:512
	s_mov_b32 s2, 0xbfb8aa3b
	s_mov_b32 s3, 0x42ce8ed0
	;; [unrolled: 1-line block ×3, first 2 shown]
	v_mov_b32_e32 v11, 0x7f800000
	v_mul_lo_u32 v8, v14, s11
	v_add3_u32 v8, v8, s8, v15
	v_mov_b32_e32 v18, s7
	s_waitcnt vmcnt(0)
	v_mul_f32_e32 v9, 0xbfb8aa3b, v10
	v_fma_f32 v12, v10, s2, -v9
	v_rndne_f32_e32 v13, v9
	v_fmac_f32_e32 v12, 0xb2a5705f, v10
	v_sub_f32_e32 v9, v9, v13
	v_add_f32_e32 v9, v9, v12
	v_cvt_i32_f32_e32 v13, v13
	v_exp_f32_e32 v12, v9
	v_cmp_nlt_f32_e32 vcc, s3, v10
	v_ashrrev_i32_e32 v9, 31, v8
	v_lshlrev_b64 v[8:9], 2, v[8:9]
	v_ldexp_f32 v12, v12, v13
	v_cndmask_b32_e32 v12, 0, v12, vcc
	v_cmp_ngt_f32_e32 vcc, s12, v10
	v_cndmask_b32_e32 v10, v11, v12, vcc
	v_add_f32_e32 v10, 1.0, v10
	v_div_scale_f32 v11, s[2:3], v10, v10, 1.0
	v_rcp_f32_e32 v12, v11
	v_div_scale_f32 v13, vcc, 1.0, v10, 1.0
	v_fma_f32 v19, -v11, v12, 1.0
	v_fmac_f32_e32 v12, v19, v12
	v_mul_f32_e32 v19, v13, v12
	v_fma_f32 v20, -v11, v19, v13
	v_fmac_f32_e32 v19, v20, v12
	v_fma_f32 v11, -v11, v19, v13
	v_div_fmas_f32 v11, v11, v12, v19
	v_add_co_u32_e32 v8, vcc, s6, v8
	v_div_fixup_f32 v10, v11, v10, 1.0
	v_addc_co_u32_e32 v9, vcc, v18, v9, vcc
	global_store_dword v[8:9], v10, off
.LBB80_6:
	s_or_b64 exec, exec, s[0:1]
	s_waitcnt vmcnt(0)
	v_cmp_lt_f32_e32 vcc, v4, v5
	v_or_b32_e32 v19, 1, v17
	v_cndmask_b32_e32 v9, v4, v5, vcc
	v_cndmask_b32_e32 v8, v17, v19, vcc
	v_cmp_lt_f32_e32 vcc, v9, v6
	v_or_b32_e32 v20, 2, v17
	v_cndmask_b32_e32 v9, v9, v6, vcc
	v_cndmask_b32_e32 v8, v8, v20, vcc
	;; [unrolled: 4-line block ×6, first 2 shown]
	v_or_b32_e32 v25, 7, v17
	v_cmp_lt_f32_e32 vcc, v9, v3
	v_cndmask_b32_e32 v8, v8, v25, vcc
	v_cndmask_b32_e32 v9, v9, v3, vcc
	s_nop 0
	v_mov_b32_dpp v10, v8 quad_perm:[1,0,3,2] row_mask:0xf bank_mask:0xf
	v_mov_b32_dpp v11, v9 quad_perm:[1,0,3,2] row_mask:0xf bank_mask:0xf
	v_cmp_eq_f32_e64 s[0:1], v9, v11
	v_cmp_lt_i32_e64 s[2:3], v10, v8
	v_cmp_lt_f32_e32 vcc, v9, v11
	s_and_b64 s[0:1], s[0:1], s[2:3]
	s_or_b64 vcc, vcc, s[0:1]
	v_cndmask_b32_e32 v9, v9, v11, vcc
	v_cndmask_b32_e32 v8, v8, v10, vcc
	s_nop 0
	v_mov_b32_dpp v11, v9 quad_perm:[2,3,0,1] row_mask:0xf bank_mask:0xf
	v_mov_b32_dpp v10, v8 quad_perm:[2,3,0,1] row_mask:0xf bank_mask:0xf
	v_cmp_eq_f32_e64 s[0:1], v9, v11
	v_cmp_lt_i32_e64 s[2:3], v10, v8
	v_cmp_lt_f32_e32 vcc, v9, v11
	s_and_b64 s[0:1], s[0:1], s[2:3]
	s_or_b64 vcc, vcc, s[0:1]
	v_cndmask_b32_e32 v9, v9, v11, vcc
	v_cndmask_b32_e32 v8, v8, v10, vcc
	s_nop 0
	v_mov_b32_dpp v11, v9 row_half_mirror row_mask:0xf bank_mask:0xf
	v_mov_b32_dpp v10, v8 row_half_mirror row_mask:0xf bank_mask:0xf
	v_cmp_eq_f32_e64 s[0:1], v9, v11
	v_cmp_lt_i32_e64 s[2:3], v10, v8
	v_cmp_lt_f32_e32 vcc, v9, v11
	s_and_b64 s[0:1], s[0:1], s[2:3]
	s_or_b64 vcc, vcc, s[0:1]
	v_cndmask_b32_e32 v11, v9, v11, vcc
	v_cndmask_b32_e32 v8, v8, v10, vcc
	s_nop 0
	v_mov_b32_dpp v10, v11 row_mirror row_mask:0xf bank_mask:0xf
	v_mov_b32_dpp v9, v8 row_mirror row_mask:0xf bank_mask:0xf
	v_cmp_eq_f32_e64 s[0:1], v11, v10
	v_cmp_lt_i32_e64 s[2:3], v9, v8
	v_cmp_lt_f32_e32 vcc, v11, v10
	s_and_b64 s[0:1], s[0:1], s[2:3]
	s_or_b64 s[0:1], vcc, s[0:1]
	s_cmp_gt_i32 s8, 0
	v_cndmask_b32_e64 v18, v11, v10, s[0:1]
	s_cselect_b64 s[18:19], -1, 0
	s_cmp_lt_i32 s8, 1
	v_cmp_eq_u32_e32 vcc, 0, v15
	s_cbranch_scc1 .LBB80_18
; %bb.7:
	s_load_dwordx4 s[12:15], s[4:5], 0x20
	v_cndmask_b32_e64 v28, v8, v9, s[0:1]
	v_mul_lo_u32 v12, v14, s11
	v_mul_lo_u32 v10, v14, s20
	;; [unrolled: 1-line block ×3, first 2 shown]
	v_mov_b32_e32 v16, 0
	s_and_saveexec_b64 s[4:5], vcc
	s_cbranch_execz .LBB80_9
; %bb.8:
	v_sub_f32_e32 v9, v18, v18
	v_mul_f32_e32 v11, 0x3fb8aa3b, v9
	s_mov_b32 s0, 0x3fb8aa3b
	v_rndne_f32_e32 v13, v11
	v_sub_f32_e32 v16, v11, v13
	v_fma_f32 v11, v9, s0, -v11
	v_fmac_f32_e32 v11, 0x32a5705f, v9
	v_add_f32_e32 v11, v16, v11
	v_exp_f32_e32 v11, v11
	v_cvt_i32_f32_e32 v13, v13
	v_cmp_le_i32_e64 s[0:1], s9, v28
	v_cmp_gt_i32_e64 s[2:3], s10, v28
	s_and_b64 s[2:3], s[0:1], s[2:3]
	s_mov_b32 s0, 0xc2ce8ed0
	v_ldexp_f32 v11, v11, v13
	v_cmp_ngt_f32_e64 s[0:1], s0, v9
	v_cndmask_b32_e64 v11, 0, v11, s[0:1]
	s_mov_b32 s0, 0x42b17218
	v_mov_b32_e32 v13, 0x7f800000
	v_cmp_nlt_f32_e64 s[0:1], s0, v9
	v_cndmask_b32_e64 v16, v13, v11, s[0:1]
	v_ashrrev_i32_e32 v13, 31, v12
	v_lshlrev_b64 v[30:31], 2, v[12:13]
	v_mov_b32_e32 v9, s7
	v_add_co_u32_e64 v30, s[0:1], s6, v30
	v_addc_co_u32_e64 v31, s[0:1], v9, v31, s[0:1]
	v_subrev_u32_e32 v9, s9, v28
	v_mov_b32_e32 v11, 0x80
	s_and_b64 s[0:1], s[16:17], s[2:3]
	v_cndmask_b32_e64 v9, v11, v9, s[0:1]
	v_ashrrev_i32_e32 v11, 31, v10
	global_store_dword v[30:31], v16, off
	v_lshlrev_b64 v[30:31], 2, v[10:11]
	s_waitcnt lgkmcnt(0)
	v_mov_b32_e32 v11, s13
	v_add_co_u32_e64 v30, s[0:1], s12, v30
	v_addc_co_u32_e64 v31, s[0:1], v11, v31, s[0:1]
	global_store_dword v[30:31], v9, off
	v_ashrrev_i32_e32 v9, 31, v8
	v_lshlrev_b64 v[30:31], 2, v[8:9]
	v_mov_b32_e32 v9, s15
	v_add_co_u32_e64 v30, s[0:1], s14, v30
	v_addc_co_u32_e64 v31, s[0:1], v9, v31, s[0:1]
	global_store_dword v[30:31], v14, off
.LBB80_9:
	s_or_b64 exec, exec, s[4:5]
	v_ashrrev_i32_e32 v11, 31, v28
	v_lshrrev_b32_e32 v9, 29, v11
	v_add_u32_e32 v9, v28, v9
	v_ashrrev_i32_e32 v9, 3, v9
	v_lshrrev_b32_e32 v13, 28, v9
	v_add_u32_e32 v13, v9, v13
	v_and_b32_e32 v13, -16, v13
	v_sub_u32_e32 v13, v9, v13
	v_cmp_eq_u32_e64 s[0:1], v15, v13
	s_and_saveexec_b64 s[2:3], s[0:1]
	s_cbranch_execz .LBB80_11
; %bb.10:
	v_lshrrev_b32_e32 v11, 25, v11
	v_add_u32_e32 v11, v28, v11
	v_lshlrev_b32_e32 v9, 3, v9
	v_ashrrev_i32_e32 v11, 7, v11
	v_sub_u32_e32 v9, v28, v9
	v_lshl_add_u32 v9, v11, 3, v9
	v_mov_b32_e32 v11, 0xff800000
	v_cmp_ne_u32_e64 s[0:1], 7, v9
	v_cndmask_b32_e64 v3, v11, v3, s[0:1]
	v_cmp_ne_u32_e64 s[0:1], 6, v9
	v_cndmask_b32_e64 v2, v11, v2, s[0:1]
	;; [unrolled: 2-line block ×8, first 2 shown]
.LBB80_11:
	s_or_b64 exec, exec, s[2:3]
	s_cmp_eq_u32 s8, 1
	s_cbranch_scc1 .LBB80_18
; %bb.12:
	s_add_i32 s23, s23, s22
	s_add_i32 s20, s8, -1
	v_add3_u32 v26, s23, v27, v26
	v_add_u32_e32 v8, 1, v8
	v_add_u32_e32 v10, 1, v10
	;; [unrolled: 1-line block ×3, first 2 shown]
	s_mov_b32 s21, 0x3fb8aa3b
	s_mov_b32 s23, 0xc2ce8ed0
	;; [unrolled: 1-line block ×3, first 2 shown]
	v_mov_b32_e32 v27, 0x7f800000
	v_mov_b32_e32 v28, 0x80
	;; [unrolled: 1-line block ×3, first 2 shown]
	s_branch .LBB80_14
.LBB80_13:                              ;   in Loop: Header=BB80_14 Depth=1
	s_or_b64 exec, exec, s[2:3]
	s_add_i32 s20, s20, -1
	v_add_u32_e32 v26, s22, v26
	v_add_u32_e32 v8, 1, v8
	;; [unrolled: 1-line block ×3, first 2 shown]
	s_cmp_eq_u32 s20, 0
	v_add_u32_e32 v12, 1, v12
	s_cbranch_scc1 .LBB80_18
.LBB80_14:                              ; =>This Inner Loop Header: Depth=1
	v_cmp_gt_f32_e64 s[0:1], v5, v4
	v_cndmask_b32_e64 v11, v4, v5, s[0:1]
	v_cndmask_b32_e64 v9, v17, v19, s[0:1]
	v_cmp_gt_f32_e64 s[0:1], v6, v11
	v_cndmask_b32_e64 v11, v11, v6, s[0:1]
	v_cndmask_b32_e64 v9, v9, v20, s[0:1]
	v_cmp_gt_f32_e64 s[0:1], v7, v11
	v_cndmask_b32_e64 v11, v11, v7, s[0:1]
	v_cndmask_b32_e64 v9, v9, v21, s[0:1]
	v_cmp_gt_f32_e64 s[0:1], v0, v11
	v_cndmask_b32_e64 v11, v11, v0, s[0:1]
	v_cndmask_b32_e64 v9, v9, v22, s[0:1]
	v_cmp_gt_f32_e64 s[0:1], v1, v11
	v_cndmask_b32_e64 v11, v11, v1, s[0:1]
	v_cndmask_b32_e64 v9, v9, v23, s[0:1]
	v_cmp_gt_f32_e64 s[0:1], v2, v11
	v_cndmask_b32_e64 v11, v11, v2, s[0:1]
	v_cndmask_b32_e64 v9, v9, v24, s[0:1]
	v_cmp_gt_f32_e64 s[0:1], v3, v11
	v_cndmask_b32_e64 v9, v9, v25, s[0:1]
	v_cndmask_b32_e64 v11, v11, v3, s[0:1]
	s_nop 0
	v_mov_b32_dpp v13, v9 quad_perm:[1,0,3,2] row_mask:0xf bank_mask:0xf
	v_mov_b32_dpp v30, v11 quad_perm:[1,0,3,2] row_mask:0xf bank_mask:0xf
	v_cmp_eq_f32_e64 s[2:3], v11, v30
	v_cmp_lt_i32_e64 s[4:5], v13, v9
	v_cmp_lt_f32_e64 s[0:1], v11, v30
	s_and_b64 s[2:3], s[2:3], s[4:5]
	s_or_b64 s[0:1], s[0:1], s[2:3]
	v_cndmask_b32_e64 v11, v11, v30, s[0:1]
	v_cndmask_b32_e64 v9, v9, v13, s[0:1]
	s_nop 0
	v_mov_b32_dpp v30, v11 quad_perm:[2,3,0,1] row_mask:0xf bank_mask:0xf
	v_mov_b32_dpp v13, v9 quad_perm:[2,3,0,1] row_mask:0xf bank_mask:0xf
	v_cmp_eq_f32_e64 s[2:3], v11, v30
	v_cmp_lt_i32_e64 s[4:5], v13, v9
	v_cmp_lt_f32_e64 s[0:1], v11, v30
	s_and_b64 s[2:3], s[2:3], s[4:5]
	s_or_b64 s[0:1], s[0:1], s[2:3]
	v_cndmask_b32_e64 v11, v11, v30, s[0:1]
	v_cndmask_b32_e64 v13, v9, v13, s[0:1]
	s_nop 0
	v_mov_b32_dpp v9, v11 row_half_mirror row_mask:0xf bank_mask:0xf
	v_mov_b32_dpp v30, v13 row_half_mirror row_mask:0xf bank_mask:0xf
	v_cmp_eq_f32_e64 s[2:3], v11, v9
	v_cmp_lt_i32_e64 s[4:5], v30, v13
	v_cmp_lt_f32_e64 s[0:1], v11, v9
	s_and_b64 s[2:3], s[2:3], s[4:5]
	s_or_b64 s[0:1], s[0:1], s[2:3]
	v_cndmask_b32_e64 v9, v11, v9, s[0:1]
	v_cndmask_b32_e64 v13, v13, v30, s[0:1]
	s_nop 0
	v_mov_b32_dpp v11, v9 row_mirror row_mask:0xf bank_mask:0xf
	v_mov_b32_dpp v30, v13 row_mirror row_mask:0xf bank_mask:0xf
	v_cmp_eq_f32_e64 s[2:3], v9, v11
	v_cmp_lt_i32_e64 s[4:5], v30, v13
	v_cmp_lt_f32_e64 s[0:1], v9, v11
	s_and_b64 s[2:3], s[2:3], s[4:5]
	s_or_b64 s[0:1], s[0:1], s[2:3]
	v_cndmask_b32_e64 v30, v13, v30, s[0:1]
	s_and_saveexec_b64 s[4:5], vcc
	s_cbranch_execz .LBB80_16
; %bb.15:                               ;   in Loop: Header=BB80_14 Depth=1
	v_cndmask_b32_e64 v9, v9, v11, s[0:1]
	v_sub_f32_e32 v9, v9, v18
	v_mul_f32_e32 v11, 0x3fb8aa3b, v9
	v_fma_f32 v13, v9, s21, -v11
	v_rndne_f32_e32 v31, v11
	v_fmac_f32_e32 v13, 0x32a5705f, v9
	v_sub_f32_e32 v11, v11, v31
	v_add_f32_e32 v11, v11, v13
	v_exp_f32_e32 v11, v11
	v_cvt_i32_f32_e32 v13, v31
	v_cmp_le_i32_e64 s[0:1], s9, v30
	v_cmp_gt_i32_e64 s[2:3], s10, v30
	s_and_b64 s[2:3], s[0:1], s[2:3]
	v_ldexp_f32 v11, v11, v13
	v_cmp_ngt_f32_e64 s[0:1], s23, v9
	v_ashrrev_i32_e32 v13, 31, v12
	v_cndmask_b32_e64 v11, 0, v11, s[0:1]
	v_cmp_nlt_f32_e64 s[0:1], s24, v9
	v_lshlrev_b64 v[32:33], 2, v[12:13]
	v_cndmask_b32_e64 v31, v27, v11, s[0:1]
	v_mov_b32_e32 v9, s7
	v_add_co_u32_e64 v32, s[0:1], s6, v32
	v_addc_co_u32_e64 v33, s[0:1], v9, v33, s[0:1]
	v_ashrrev_i32_e32 v11, 31, v10
	global_store_dword v[32:33], v31, off
	v_subrev_u32_e32 v9, s9, v30
	s_and_b64 s[0:1], s[16:17], s[2:3]
	v_lshlrev_b64 v[32:33], 2, v[10:11]
	v_cndmask_b32_e64 v9, v28, v9, s[0:1]
	s_waitcnt lgkmcnt(0)
	v_mov_b32_e32 v11, s13
	v_add_co_u32_e64 v32, s[0:1], s12, v32
	v_addc_co_u32_e64 v33, s[0:1], v11, v33, s[0:1]
	global_store_dword v[32:33], v9, off
	v_ashrrev_i32_e32 v9, 31, v8
	v_lshlrev_b64 v[32:33], 2, v[8:9]
	v_mov_b32_e32 v9, s15
	v_add_co_u32_e64 v32, s[0:1], s14, v32
	v_addc_co_u32_e64 v33, s[0:1], v9, v33, s[0:1]
	v_add_f32_e32 v16, v16, v31
	global_store_dword v[32:33], v26, off
.LBB80_16:                              ;   in Loop: Header=BB80_14 Depth=1
	s_or_b64 exec, exec, s[4:5]
	v_ashrrev_i32_e32 v11, 31, v30
	v_lshrrev_b32_e32 v9, 29, v11
	v_add_u32_e32 v9, v30, v9
	v_ashrrev_i32_e32 v9, 3, v9
	v_lshrrev_b32_e32 v13, 28, v9
	v_add_u32_e32 v13, v9, v13
	v_and_b32_e32 v13, -16, v13
	v_sub_u32_e32 v13, v9, v13
	v_cmp_eq_u32_e64 s[0:1], v15, v13
	s_and_saveexec_b64 s[2:3], s[0:1]
	s_cbranch_execz .LBB80_13
; %bb.17:                               ;   in Loop: Header=BB80_14 Depth=1
	v_lshrrev_b32_e32 v11, 25, v11
	v_add_u32_e32 v11, v30, v11
	v_lshlrev_b32_e32 v9, 3, v9
	v_ashrrev_i32_e32 v11, 7, v11
	v_sub_u32_e32 v9, v30, v9
	v_lshl_add_u32 v9, v11, 3, v9
	v_cmp_ne_u32_e64 s[0:1], 7, v9
	v_cndmask_b32_e64 v3, v29, v3, s[0:1]
	v_cmp_ne_u32_e64 s[0:1], 6, v9
	v_cndmask_b32_e64 v2, v29, v2, s[0:1]
	;; [unrolled: 2-line block ×8, first 2 shown]
	s_branch .LBB80_13
.LBB80_18:
	v_sub_f32_e32 v4, v4, v18
	s_mov_b32 s0, 0x3fb8aa3b
	v_mul_f32_e32 v8, 0x3fb8aa3b, v4
	v_fma_f32 v9, v4, s0, -v8
	v_rndne_f32_e32 v10, v8
	v_fmac_f32_e32 v9, 0x32a5705f, v4
	v_sub_f32_e32 v8, v8, v10
	v_add_f32_e32 v8, v8, v9
	v_exp_f32_e32 v8, v8
	v_cvt_i32_f32_e32 v9, v10
	v_sub_f32_e32 v5, v5, v18
	s_mov_b32 s1, 0xc2ce8ed0
	v_cmp_ngt_f32_e32 vcc, s1, v4
	v_ldexp_f32 v8, v8, v9
	v_mul_f32_e32 v9, 0x3fb8aa3b, v5
	v_fma_f32 v10, v5, s0, -v9
	v_rndne_f32_e32 v11, v9
	v_fmac_f32_e32 v10, 0x32a5705f, v5
	v_sub_f32_e32 v9, v9, v11
	v_add_f32_e32 v9, v9, v10
	v_exp_f32_e32 v9, v9
	v_cvt_i32_f32_e32 v10, v11
	s_mov_b32 s2, 0x42b17218
	v_cndmask_b32_e32 v8, 0, v8, vcc
	v_mov_b32_e32 v11, 0x7f800000
	v_cmp_nlt_f32_e32 vcc, s2, v4
	v_sub_f32_e32 v6, v6, v18
	v_cndmask_b32_e32 v4, v11, v8, vcc
	v_ldexp_f32 v8, v9, v10
	v_mul_f32_e32 v9, 0x3fb8aa3b, v6
	v_fma_f32 v10, v6, s0, -v9
	v_rndne_f32_e32 v12, v9
	v_fmac_f32_e32 v10, 0x32a5705f, v6
	v_sub_f32_e32 v9, v9, v12
	v_add_f32_e32 v9, v9, v10
	v_exp_f32_e32 v9, v9
	v_cvt_i32_f32_e32 v10, v12
	v_cmp_ngt_f32_e32 vcc, s1, v5
	v_cndmask_b32_e32 v8, 0, v8, vcc
	v_cmp_nlt_f32_e32 vcc, s2, v5
	v_sub_f32_e32 v7, v7, v18
	v_cndmask_b32_e32 v5, v11, v8, vcc
	v_mul_f32_e32 v8, 0x3fb8aa3b, v7
	v_add_f32_e32 v4, v4, v5
	v_ldexp_f32 v5, v9, v10
	v_fma_f32 v9, v7, s0, -v8
	v_rndne_f32_e32 v10, v8
	v_fmac_f32_e32 v9, 0x32a5705f, v7
	v_sub_f32_e32 v8, v8, v10
	v_add_f32_e32 v8, v8, v9
	v_exp_f32_e32 v8, v8
	v_cvt_i32_f32_e32 v9, v10
	v_cmp_ngt_f32_e32 vcc, s1, v6
	v_cndmask_b32_e32 v5, 0, v5, vcc
	v_cmp_nlt_f32_e32 vcc, s2, v6
	v_sub_f32_e32 v0, v0, v18
	v_cndmask_b32_e32 v5, v11, v5, vcc
	v_mul_f32_e32 v6, 0x3fb8aa3b, v0
	v_add_f32_e32 v4, v4, v5
	v_ldexp_f32 v5, v8, v9
	v_fma_f32 v8, v0, s0, -v6
	v_rndne_f32_e32 v9, v6
	v_fmac_f32_e32 v8, 0x32a5705f, v0
	v_sub_f32_e32 v6, v6, v9
	v_add_f32_e32 v6, v6, v8
	v_exp_f32_e32 v6, v6
	v_cvt_i32_f32_e32 v8, v9
	v_cmp_ngt_f32_e32 vcc, s1, v7
	v_cndmask_b32_e32 v5, 0, v5, vcc
	v_cmp_nlt_f32_e32 vcc, s2, v7
	v_cndmask_b32_e32 v5, v11, v5, vcc
	v_sub_f32_e32 v1, v1, v18
	v_add_f32_e32 v4, v4, v5
	v_ldexp_f32 v5, v6, v8
	v_mul_f32_e32 v6, 0x3fb8aa3b, v1
	v_fma_f32 v7, v1, s0, -v6
	v_rndne_f32_e32 v8, v6
	v_fmac_f32_e32 v7, 0x32a5705f, v1
	v_sub_f32_e32 v6, v6, v8
	v_add_f32_e32 v6, v6, v7
	v_exp_f32_e32 v6, v6
	v_cvt_i32_f32_e32 v7, v8
	v_cmp_ngt_f32_e32 vcc, s1, v0
	v_cndmask_b32_e32 v5, 0, v5, vcc
	v_cmp_nlt_f32_e32 vcc, s2, v0
	v_sub_f32_e32 v2, v2, v18
	v_cndmask_b32_e32 v0, v11, v5, vcc
	v_mul_f32_e32 v5, 0x3fb8aa3b, v2
	v_add_f32_e32 v0, v4, v0
	v_ldexp_f32 v4, v6, v7
	v_fma_f32 v6, v2, s0, -v5
	v_rndne_f32_e32 v7, v5
	v_fmac_f32_e32 v6, 0x32a5705f, v2
	v_sub_f32_e32 v5, v5, v7
	v_add_f32_e32 v5, v5, v6
	v_exp_f32_e32 v5, v5
	v_cvt_i32_f32_e32 v6, v7
	v_cmp_ngt_f32_e32 vcc, s1, v1
	v_cndmask_b32_e32 v4, 0, v4, vcc
	v_cmp_nlt_f32_e32 vcc, s2, v1
	v_sub_f32_e32 v3, v3, v18
	v_cndmask_b32_e32 v1, v11, v4, vcc
	v_mul_f32_e32 v4, 0x3fb8aa3b, v3
	v_add_f32_e32 v0, v0, v1
	v_ldexp_f32 v1, v5, v6
	v_fma_f32 v5, v3, s0, -v4
	v_rndne_f32_e32 v6, v4
	v_fmac_f32_e32 v5, 0x32a5705f, v3
	v_sub_f32_e32 v4, v4, v6
	v_add_f32_e32 v4, v4, v5
	v_exp_f32_e32 v4, v4
	v_cvt_i32_f32_e32 v5, v6
	v_cmp_ngt_f32_e32 vcc, s1, v2
	v_cndmask_b32_e32 v1, 0, v1, vcc
	v_cmp_nlt_f32_e32 vcc, s2, v2
	v_cndmask_b32_e32 v1, v11, v1, vcc
	v_add_f32_e32 v0, v0, v1
	v_ldexp_f32 v1, v4, v5
	v_cmp_ngt_f32_e32 vcc, s1, v3
	v_cndmask_b32_e32 v1, 0, v1, vcc
	v_cmp_nlt_f32_e32 vcc, s2, v3
	v_cndmask_b32_e32 v1, v11, v1, vcc
	v_add_f32_e32 v0, v0, v1
	v_cmp_eq_u32_e32 vcc, 0, v15
	s_nop 0
	v_mov_b32_dpp v1, v0 quad_perm:[1,0,3,2] row_mask:0xf bank_mask:0xf
	v_add_f32_e32 v0, v0, v1
	s_nop 1
	v_mov_b32_dpp v1, v0 quad_perm:[2,3,0,1] row_mask:0xf bank_mask:0xf
	v_add_f32_e32 v0, v0, v1
	s_nop 1
	v_mov_b32_dpp v1, v0 row_half_mirror row_mask:0xf bank_mask:0xf
	v_add_f32_e32 v0, v0, v1
	s_nop 1
	v_mov_b32_dpp v1, v0 row_mirror row_mask:0xf bank_mask:0xf
	s_and_b64 exec, exec, vcc
	s_cbranch_execz .LBB80_31
; %bb.19:
	v_add_f32_e32 v0, v0, v1
	v_add_f32_e32 v0, v16, v0
	v_cmp_neq_f32_e32 vcc, 0, v0
	s_and_b64 exec, exec, vcc
	s_cbranch_execz .LBB80_31
; %bb.20:
	s_andn2_b64 vcc, exec, s[18:19]
	s_cbranch_vccnz .LBB80_31
; %bb.21:
	v_div_scale_f32 v1, s[0:1], v0, v0, 1.0
	v_rcp_f32_e32 v2, v1
	v_div_scale_f32 v3, vcc, 1.0, v0, 1.0
	s_cmp_gt_u32 s8, 3
	v_fma_f32 v4, -v1, v2, 1.0
	v_fmac_f32_e32 v2, v4, v2
	v_mul_f32_e32 v4, v3, v2
	v_fma_f32 v5, -v1, v4, v3
	v_fmac_f32_e32 v4, v5, v2
	v_fma_f32 v1, -v1, v4, v3
	v_div_fmas_f32 v1, v1, v2, v4
	v_mul_lo_u32 v2, v14, s11
	v_div_fixup_f32 v0, v1, v0, 1.0
	v_ashrrev_i32_e32 v3, 31, v2
	s_cbranch_scc0 .LBB80_25
; %bb.22:
	v_lshlrev_b64 v[4:5], 2, v[2:3]
	v_mov_b32_e32 v6, s7
	v_add_co_u32_e32 v4, vcc, s6, v4
	v_addc_co_u32_e32 v5, vcc, v5, v6, vcc
	s_and_b32 s4, s8, 0x7ffffffc
	v_add_co_u32_e32 v4, vcc, 8, v4
	v_mov_b32_e32 v1, v0
	v_addc_co_u32_e32 v5, vcc, 0, v5, vcc
	s_mov_b32 s0, s4
.LBB80_23:                              ; =>This Inner Loop Header: Depth=1
	global_load_dwordx4 v[6:9], v[4:5], off offset:-8
	s_add_i32 s0, s0, -4
	s_cmp_lg_u32 s0, 0
	s_waitcnt vmcnt(0)
	v_pk_mul_f32 v[6:7], v[0:1], v[6:7]
	v_pk_mul_f32 v[8:9], v[0:1], v[8:9]
	global_store_dwordx4 v[4:5], v[6:9], off offset:-8
	v_add_co_u32_e32 v4, vcc, 16, v4
	v_addc_co_u32_e32 v5, vcc, 0, v5, vcc
	s_cbranch_scc1 .LBB80_23
; %bb.24:
	s_cmp_lg_u32 s4, s8
	s_mov_b64 s[2:3], 0
	s_cselect_b64 s[0:1], -1, 0
	s_branch .LBB80_26
.LBB80_25:
	s_mov_b64 s[2:3], -1
	s_mov_b64 s[0:1], 0
                                        ; implicit-def: $sgpr4
.LBB80_26:
	s_and_b64 vcc, exec, s[2:3]
	s_cbranch_vccz .LBB80_28
; %bb.27:
	s_mov_b64 s[0:1], -1
	s_mov_b32 s4, 0
.LBB80_28:
	s_andn2_b64 vcc, exec, s[0:1]
	s_cbranch_vccnz .LBB80_31
; %bb.29:
	v_add_co_u32_e32 v2, vcc, s4, v2
	v_addc_co_u32_e32 v3, vcc, 0, v3, vcc
	v_lshlrev_b64 v[2:3], 2, v[2:3]
	v_mov_b32_e32 v1, s7
	v_add_co_u32_e32 v2, vcc, s6, v2
	s_sub_i32 s0, s8, s4
	v_addc_co_u32_e32 v3, vcc, v1, v3, vcc
.LBB80_30:                              ; =>This Inner Loop Header: Depth=1
	global_load_dword v1, v[2:3], off
	s_add_i32 s0, s0, -1
	s_cmp_lg_u32 s0, 0
	s_waitcnt vmcnt(0)
	v_mul_f32_e32 v1, v0, v1
	global_store_dword v[2:3], v1, off
	v_add_co_u32_e32 v2, vcc, 4, v2
	v_addc_co_u32_e32 v3, vcc, 0, v3, vcc
	s_cbranch_scc1 .LBB80_30
.LBB80_31:
	s_endpgm
	.section	.rodata,"a",@progbits
	.p2align	6, 0x0
	.amdhsa_kernel _ZN4vllm3moe17topkGatingSoftmaxIfLi8ELi128ELi8ELi32ELb0ELi8ELNS0_23SharedExpertScoringFuncE1EEEvPKT_PKbPfiPiS9_iiiiii
		.amdhsa_group_segment_fixed_size 0
		.amdhsa_private_segment_fixed_size 0
		.amdhsa_kernarg_size 72
		.amdhsa_user_sgpr_count 6
		.amdhsa_user_sgpr_private_segment_buffer 1
		.amdhsa_user_sgpr_dispatch_ptr 0
		.amdhsa_user_sgpr_queue_ptr 0
		.amdhsa_user_sgpr_kernarg_segment_ptr 1
		.amdhsa_user_sgpr_dispatch_id 0
		.amdhsa_user_sgpr_flat_scratch_init 0
		.amdhsa_user_sgpr_kernarg_preload_length 0
		.amdhsa_user_sgpr_kernarg_preload_offset 0
		.amdhsa_user_sgpr_private_segment_size 0
		.amdhsa_uses_dynamic_stack 0
		.amdhsa_system_sgpr_private_segment_wavefront_offset 0
		.amdhsa_system_sgpr_workgroup_id_x 1
		.amdhsa_system_sgpr_workgroup_id_y 0
		.amdhsa_system_sgpr_workgroup_id_z 0
		.amdhsa_system_sgpr_workgroup_info 0
		.amdhsa_system_vgpr_workitem_id 1
		.amdhsa_next_free_vgpr 34
		.amdhsa_next_free_sgpr 25
		.amdhsa_accum_offset 36
		.amdhsa_reserve_vcc 1
		.amdhsa_reserve_flat_scratch 0
		.amdhsa_float_round_mode_32 0
		.amdhsa_float_round_mode_16_64 0
		.amdhsa_float_denorm_mode_32 3
		.amdhsa_float_denorm_mode_16_64 3
		.amdhsa_dx10_clamp 1
		.amdhsa_ieee_mode 1
		.amdhsa_fp16_overflow 0
		.amdhsa_tg_split 0
		.amdhsa_exception_fp_ieee_invalid_op 0
		.amdhsa_exception_fp_denorm_src 0
		.amdhsa_exception_fp_ieee_div_zero 0
		.amdhsa_exception_fp_ieee_overflow 0
		.amdhsa_exception_fp_ieee_underflow 0
		.amdhsa_exception_fp_ieee_inexact 0
		.amdhsa_exception_int_div_zero 0
	.end_amdhsa_kernel
	.section	.text._ZN4vllm3moe17topkGatingSoftmaxIfLi8ELi128ELi8ELi32ELb0ELi8ELNS0_23SharedExpertScoringFuncE1EEEvPKT_PKbPfiPiS9_iiiiii,"axG",@progbits,_ZN4vllm3moe17topkGatingSoftmaxIfLi8ELi128ELi8ELi32ELb0ELi8ELNS0_23SharedExpertScoringFuncE1EEEvPKT_PKbPfiPiS9_iiiiii,comdat
.Lfunc_end80:
	.size	_ZN4vllm3moe17topkGatingSoftmaxIfLi8ELi128ELi8ELi32ELb0ELi8ELNS0_23SharedExpertScoringFuncE1EEEvPKT_PKbPfiPiS9_iiiiii, .Lfunc_end80-_ZN4vllm3moe17topkGatingSoftmaxIfLi8ELi128ELi8ELi32ELb0ELi8ELNS0_23SharedExpertScoringFuncE1EEEvPKT_PKbPfiPiS9_iiiiii
                                        ; -- End function
	.section	.AMDGPU.csdata,"",@progbits
; Kernel info:
; codeLenInByte = 3504
; NumSgprs: 29
; NumVgprs: 34
; NumAgprs: 0
; TotalNumVgprs: 34
; ScratchSize: 0
; MemoryBound: 0
; FloatMode: 240
; IeeeMode: 1
; LDSByteSize: 0 bytes/workgroup (compile time only)
; SGPRBlocks: 3
; VGPRBlocks: 4
; NumSGPRsForWavesPerEU: 29
; NumVGPRsForWavesPerEU: 34
; AccumOffset: 36
; Occupancy: 8
; WaveLimiterHint : 0
; COMPUTE_PGM_RSRC2:SCRATCH_EN: 0
; COMPUTE_PGM_RSRC2:USER_SGPR: 6
; COMPUTE_PGM_RSRC2:TRAP_HANDLER: 0
; COMPUTE_PGM_RSRC2:TGID_X_EN: 1
; COMPUTE_PGM_RSRC2:TGID_Y_EN: 0
; COMPUTE_PGM_RSRC2:TGID_Z_EN: 0
; COMPUTE_PGM_RSRC2:TIDIG_COMP_CNT: 1
; COMPUTE_PGM_RSRC3_GFX90A:ACCUM_OFFSET: 8
; COMPUTE_PGM_RSRC3_GFX90A:TG_SPLIT: 0
	.section	.text._ZN4vllm3moe17topkGatingSoftmaxIfLi8ELi256ELi8ELi32ELb1ELi0ELNS0_23SharedExpertScoringFuncE0EEEvPKT_PKbPfiPiS9_iiiiii,"axG",@progbits,_ZN4vllm3moe17topkGatingSoftmaxIfLi8ELi256ELi8ELi32ELb1ELi0ELNS0_23SharedExpertScoringFuncE0EEEvPKT_PKbPfiPiS9_iiiiii,comdat
	.protected	_ZN4vllm3moe17topkGatingSoftmaxIfLi8ELi256ELi8ELi32ELb1ELi0ELNS0_23SharedExpertScoringFuncE0EEEvPKT_PKbPfiPiS9_iiiiii ; -- Begin function _ZN4vllm3moe17topkGatingSoftmaxIfLi8ELi256ELi8ELi32ELb1ELi0ELNS0_23SharedExpertScoringFuncE0EEEvPKT_PKbPfiPiS9_iiiiii
	.globl	_ZN4vllm3moe17topkGatingSoftmaxIfLi8ELi256ELi8ELi32ELb1ELi0ELNS0_23SharedExpertScoringFuncE0EEEvPKT_PKbPfiPiS9_iiiiii
	.p2align	8
	.type	_ZN4vllm3moe17topkGatingSoftmaxIfLi8ELi256ELi8ELi32ELb1ELi0ELNS0_23SharedExpertScoringFuncE0EEEvPKT_PKbPfiPiS9_iiiiii,@function
_ZN4vllm3moe17topkGatingSoftmaxIfLi8ELi256ELi8ELi32ELb1ELi0ELNS0_23SharedExpertScoringFuncE0EEEvPKT_PKbPfiPiS9_iiiiii: ; @_ZN4vllm3moe17topkGatingSoftmaxIfLi8ELi256ELi8ELi32ELb1ELi0ELNS0_23SharedExpertScoringFuncE0EEEvPKT_PKbPfiPiS9_iiiiii
; %bb.0:
	s_load_dword s22, s[4:5], 0x18
	v_bfe_u32 v1, v0, 10, 10
	v_and_b32_e32 v0, 0x3ff, v0
	s_lshl_b32 s23, s6, 4
	v_lshlrev_b32_e32 v26, 1, v1
	v_lshrrev_b32_e32 v28, 5, v0
	v_add3_u32 v14, s23, v26, v28
	s_waitcnt lgkmcnt(0)
	v_cmp_gt_i32_e32 vcc, s22, v14
	s_and_saveexec_b64 s[0:1], vcc
	s_cbranch_execz .LBB81_27
; %bb.1:
	s_load_dwordx4 s[0:3], s[4:5], 0x0
	s_load_dwordx2 s[6:7], s[4:5], 0x10
	s_waitcnt lgkmcnt(0)
	s_cmp_eq_u64 s[2:3], 0
	s_cbranch_scc1 .LBB81_3
; %bb.2:
	v_ashrrev_i32_e32 v1, 31, v14
	v_mov_b32_e32 v3, s3
	v_add_co_u32_e32 v2, vcc, s2, v14
	v_addc_co_u32_e32 v3, vcc, v3, v1, vcc
	global_load_ubyte v1, v[2:3], off
	s_waitcnt vmcnt(0)
	v_and_b32_e32 v1, 1, v1
	v_cmp_eq_u32_e32 vcc, 1, v1
	s_xor_b64 s[2:3], vcc, -1
	s_orn2_b64 s[16:17], s[2:3], exec
	s_branch .LBB81_4
.LBB81_3:
	s_mov_b64 s[16:17], -1
.LBB81_4:
	s_load_dwordx2 s[20:21], s[4:5], 0x40
	s_load_dwordx4 s[8:11], s[4:5], 0x30
	v_mov_b32_e32 v1, s1
	v_and_b32_e32 v15, 31, v0
	v_lshlrev_b32_e32 v0, 5, v15
	s_waitcnt lgkmcnt(0)
	v_mul_lo_u32 v2, v14, s21
	v_ashrrev_i32_e32 v3, 31, v2
	v_lshlrev_b64 v[2:3], 2, v[2:3]
	v_add_co_u32_e32 v2, vcc, s0, v2
	v_addc_co_u32_e32 v1, vcc, v1, v3, vcc
	v_add_co_u32_e32 v8, vcc, v2, v0
	v_addc_co_u32_e32 v9, vcc, 0, v1, vcc
	global_load_dwordx4 v[0:3], v[8:9], off
	global_load_dwordx4 v[4:7], v[8:9], off offset:16
	v_mbcnt_lo_u32_b32 v8, -1, 0
	v_mov_b32_e32 v9, 0x7c
	v_lshlrev_b32_e32 v17, 3, v15
	v_mbcnt_hi_u32_b32 v8, -1, v8
	v_or_b32_e32 v18, 1, v17
	v_lshl_or_b32 v25, v8, 2, v9
	v_or_b32_e32 v19, 2, v17
	v_or_b32_e32 v20, 3, v17
	;; [unrolled: 1-line block ×6, first 2 shown]
	v_mov_b32_e32 v16, 0
	s_waitcnt vmcnt(1)
	v_cmp_lt_f32_e32 vcc, v0, v1
	v_cndmask_b32_e32 v9, v0, v1, vcc
	v_cndmask_b32_e32 v8, v17, v18, vcc
	v_cmp_lt_f32_e32 vcc, v9, v2
	v_cndmask_b32_e32 v9, v9, v2, vcc
	v_cndmask_b32_e32 v8, v8, v19, vcc
	;; [unrolled: 3-line block ×3, first 2 shown]
	s_waitcnt vmcnt(0)
	v_cmp_lt_f32_e32 vcc, v9, v4
	v_cndmask_b32_e32 v9, v9, v4, vcc
	v_cndmask_b32_e32 v8, v8, v21, vcc
	v_cmp_lt_f32_e32 vcc, v9, v5
	v_cndmask_b32_e32 v9, v9, v5, vcc
	v_cndmask_b32_e32 v8, v8, v22, vcc
	;; [unrolled: 3-line block ×4, first 2 shown]
	s_nop 0
	v_mov_b32_dpp v10, v8 quad_perm:[1,0,3,2] row_mask:0xf bank_mask:0xf
	v_mov_b32_dpp v11, v9 quad_perm:[1,0,3,2] row_mask:0xf bank_mask:0xf
	v_cmp_lt_i32_e32 vcc, v10, v8
	v_cmp_eq_f32_e64 s[2:3], v9, v11
	v_cmp_lt_f32_e64 s[0:1], v9, v11
	s_and_b64 s[2:3], s[2:3], vcc
	s_or_b64 vcc, s[0:1], s[2:3]
	v_cndmask_b32_e32 v9, v9, v11, vcc
	v_cndmask_b32_e32 v8, v8, v10, vcc
	s_nop 0
	v_mov_b32_dpp v10, v9 quad_perm:[2,3,0,1] row_mask:0xf bank_mask:0xf
	v_mov_b32_dpp v11, v8 quad_perm:[2,3,0,1] row_mask:0xf bank_mask:0xf
	v_cmp_eq_f32_e64 s[0:1], v9, v10
	v_cmp_lt_i32_e64 s[2:3], v11, v8
	v_cmp_lt_f32_e32 vcc, v9, v10
	s_and_b64 s[0:1], s[0:1], s[2:3]
	s_or_b64 vcc, vcc, s[0:1]
	v_cndmask_b32_e32 v9, v9, v10, vcc
	v_cndmask_b32_e32 v8, v8, v11, vcc
	s_nop 0
	v_mov_b32_dpp v10, v9 row_half_mirror row_mask:0xf bank_mask:0xf
	v_mov_b32_dpp v11, v8 row_half_mirror row_mask:0xf bank_mask:0xf
	v_cmp_eq_f32_e64 s[0:1], v9, v10
	v_cmp_lt_i32_e64 s[2:3], v11, v8
	v_cmp_lt_f32_e32 vcc, v9, v10
	s_and_b64 s[0:1], s[0:1], s[2:3]
	s_or_b64 vcc, vcc, s[0:1]
	v_cndmask_b32_e32 v9, v9, v10, vcc
	v_cndmask_b32_e32 v8, v8, v11, vcc
	s_nop 0
	v_mov_b32_dpp v10, v9 row_mirror row_mask:0xf bank_mask:0xf
	v_mov_b32_dpp v11, v8 row_mirror row_mask:0xf bank_mask:0xf
	v_cmp_eq_f32_e64 s[0:1], v9, v10
	v_cmp_lt_i32_e64 s[2:3], v11, v8
	v_cmp_lt_f32_e32 vcc, v9, v10
	s_and_b64 s[0:1], s[0:1], s[2:3]
	s_or_b64 vcc, vcc, s[0:1]
	v_cndmask_b32_e32 v9, v9, v10, vcc
	v_cndmask_b32_e32 v8, v8, v11, vcc
	s_nop 0
	v_mov_b32_dpp v10, v9 row_bcast:15 row_mask:0xa bank_mask:0xf
	v_mov_b32_dpp v11, v8 row_bcast:15 row_mask:0xa bank_mask:0xf
	v_cmp_eq_f32_e32 vcc, v9, v10
	v_cmp_lt_i32_e64 s[0:1], v11, v8
	s_and_b64 vcc, vcc, s[0:1]
	v_cmp_lt_f32_e64 s[0:1], v9, v10
	v_cndmask_b32_e32 v12, v9, v10, vcc
	s_or_b64 vcc, s[0:1], vcc
	v_cndmask_b32_e64 v9, v12, v10, s[0:1]
	v_cndmask_b32_e32 v8, v8, v11, vcc
	ds_bpermute_b32 v29, v25, v8
	ds_bpermute_b32 v27, v25, v9
	s_cmp_gt_i32 s8, 0
	s_cselect_b64 s[18:19], -1, 0
	s_cmp_lt_i32 s8, 1
	v_cmp_eq_u32_e32 vcc, 0, v15
	s_cbranch_scc1 .LBB81_16
; %bb.5:
	s_load_dwordx4 s[12:15], s[4:5], 0x20
	v_mul_lo_u32 v12, v14, s11
	v_mul_lo_u32 v10, v14, s20
	;; [unrolled: 1-line block ×3, first 2 shown]
	v_mov_b32_e32 v16, 0
	s_and_saveexec_b64 s[4:5], vcc
	s_cbranch_execz .LBB81_7
; %bb.6:
	s_waitcnt lgkmcnt(0)
	v_sub_f32_e32 v9, v27, v27
	v_mul_f32_e32 v11, 0x3fb8aa3b, v9
	s_mov_b32 s0, 0x3fb8aa3b
	v_rndne_f32_e32 v13, v11
	v_sub_f32_e32 v16, v11, v13
	v_fma_f32 v11, v9, s0, -v11
	v_fmac_f32_e32 v11, 0x32a5705f, v9
	v_add_f32_e32 v11, v16, v11
	v_exp_f32_e32 v11, v11
	v_cvt_i32_f32_e32 v13, v13
	v_cmp_le_i32_e64 s[0:1], s9, v29
	v_cmp_gt_i32_e64 s[2:3], s10, v29
	s_and_b64 s[2:3], s[0:1], s[2:3]
	s_mov_b32 s0, 0xc2ce8ed0
	v_ldexp_f32 v11, v11, v13
	v_cmp_ngt_f32_e64 s[0:1], s0, v9
	v_cndmask_b32_e64 v11, 0, v11, s[0:1]
	s_mov_b32 s0, 0x42b17218
	v_mov_b32_e32 v13, 0x7f800000
	v_cmp_nlt_f32_e64 s[0:1], s0, v9
	v_cndmask_b32_e64 v16, v13, v11, s[0:1]
	v_ashrrev_i32_e32 v13, 31, v12
	v_lshlrev_b64 v[30:31], 2, v[12:13]
	v_mov_b32_e32 v9, s7
	v_add_co_u32_e64 v30, s[0:1], s6, v30
	v_addc_co_u32_e64 v31, s[0:1], v9, v31, s[0:1]
	v_subrev_u32_e32 v9, s9, v29
	v_mov_b32_e32 v11, 0x100
	s_and_b64 s[0:1], s[16:17], s[2:3]
	v_cndmask_b32_e64 v9, v11, v9, s[0:1]
	v_ashrrev_i32_e32 v11, 31, v10
	global_store_dword v[30:31], v16, off
	v_lshlrev_b64 v[30:31], 2, v[10:11]
	v_mov_b32_e32 v11, s13
	v_add_co_u32_e64 v30, s[0:1], s12, v30
	v_addc_co_u32_e64 v31, s[0:1], v11, v31, s[0:1]
	global_store_dword v[30:31], v9, off
	v_ashrrev_i32_e32 v9, 31, v8
	v_lshlrev_b64 v[30:31], 2, v[8:9]
	v_mov_b32_e32 v9, s15
	v_add_co_u32_e64 v30, s[0:1], s14, v30
	v_addc_co_u32_e64 v31, s[0:1], v9, v31, s[0:1]
	global_store_dword v[30:31], v14, off
.LBB81_7:
	s_or_b64 exec, exec, s[4:5]
	s_waitcnt lgkmcnt(0)
	v_ashrrev_i32_e32 v9, 31, v29
	v_lshrrev_b32_e32 v11, 29, v9
	v_add_u32_e32 v13, v29, v11
	v_ashrrev_i32_e32 v11, 3, v13
	v_ashrrev_i32_e32 v13, 31, v13
	v_lshrrev_b32_e32 v13, 27, v13
	v_add_u32_e32 v13, v11, v13
	v_and_b32_e32 v13, 0xffffffe0, v13
	v_sub_u32_e32 v13, v11, v13
	v_cmp_eq_u32_e64 s[0:1], v15, v13
	s_and_saveexec_b64 s[2:3], s[0:1]
	s_cbranch_execz .LBB81_9
; %bb.8:
	v_add_u32_sdwa v9, v29, v9 dst_sel:DWORD dst_unused:UNUSED_PAD src0_sel:DWORD src1_sel:BYTE_3
	v_lshlrev_b32_e32 v11, 3, v11
	v_ashrrev_i32_e32 v9, 8, v9
	v_sub_u32_e32 v11, v29, v11
	v_lshl_add_u32 v9, v9, 3, v11
	v_mov_b32_e32 v11, 0xff800000
	v_cmp_ne_u32_e64 s[0:1], 7, v9
	v_cndmask_b32_e64 v7, v11, v7, s[0:1]
	v_cmp_ne_u32_e64 s[0:1], 6, v9
	v_cndmask_b32_e64 v6, v11, v6, s[0:1]
	;; [unrolled: 2-line block ×8, first 2 shown]
.LBB81_9:
	s_or_b64 exec, exec, s[2:3]
	s_cmp_eq_u32 s8, 1
	s_cbranch_scc1 .LBB81_16
; %bb.10:
	s_add_i32 s23, s23, s22
	s_add_i32 s20, s8, -1
	v_add3_u32 v26, s23, v28, v26
	v_add_u32_e32 v8, 1, v8
	v_add_u32_e32 v10, 1, v10
	;; [unrolled: 1-line block ×3, first 2 shown]
	s_mov_b32 s21, 0x3fb8aa3b
	s_mov_b32 s23, 0xc2ce8ed0
	;; [unrolled: 1-line block ×3, first 2 shown]
	v_mov_b32_e32 v28, 0x7f800000
	v_mov_b32_e32 v29, 0x100
	;; [unrolled: 1-line block ×3, first 2 shown]
	s_branch .LBB81_12
.LBB81_11:                              ;   in Loop: Header=BB81_12 Depth=1
	s_or_b64 exec, exec, s[2:3]
	s_add_i32 s20, s20, -1
	v_add_u32_e32 v26, s22, v26
	v_add_u32_e32 v8, 1, v8
	;; [unrolled: 1-line block ×3, first 2 shown]
	s_cmp_eq_u32 s20, 0
	v_add_u32_e32 v12, 1, v12
	s_cbranch_scc1 .LBB81_16
.LBB81_12:                              ; =>This Inner Loop Header: Depth=1
	v_cmp_gt_f32_e64 s[0:1], v1, v0
	v_cndmask_b32_e64 v11, v0, v1, s[0:1]
	v_cndmask_b32_e64 v9, v17, v18, s[0:1]
	v_cmp_gt_f32_e64 s[0:1], v2, v11
	v_cndmask_b32_e64 v11, v11, v2, s[0:1]
	v_cndmask_b32_e64 v9, v9, v19, s[0:1]
	;; [unrolled: 3-line block ×7, first 2 shown]
	s_nop 0
	v_mov_b32_dpp v13, v9 quad_perm:[1,0,3,2] row_mask:0xf bank_mask:0xf
	v_mov_b32_dpp v31, v11 quad_perm:[1,0,3,2] row_mask:0xf bank_mask:0xf
	v_cmp_eq_f32_e64 s[2:3], v11, v31
	v_cmp_lt_i32_e64 s[4:5], v13, v9
	v_cmp_lt_f32_e64 s[0:1], v11, v31
	s_and_b64 s[2:3], s[2:3], s[4:5]
	s_or_b64 s[0:1], s[0:1], s[2:3]
	v_cndmask_b32_e64 v11, v11, v31, s[0:1]
	v_cndmask_b32_e64 v9, v9, v13, s[0:1]
	s_nop 0
	v_mov_b32_dpp v31, v11 quad_perm:[2,3,0,1] row_mask:0xf bank_mask:0xf
	v_mov_b32_dpp v13, v9 quad_perm:[2,3,0,1] row_mask:0xf bank_mask:0xf
	v_cmp_eq_f32_e64 s[2:3], v11, v31
	v_cmp_lt_i32_e64 s[4:5], v13, v9
	v_cmp_lt_f32_e64 s[0:1], v11, v31
	s_and_b64 s[2:3], s[2:3], s[4:5]
	s_or_b64 s[0:1], s[0:1], s[2:3]
	v_cndmask_b32_e64 v11, v11, v31, s[0:1]
	v_cndmask_b32_e64 v9, v9, v13, s[0:1]
	s_nop 0
	v_mov_b32_dpp v31, v11 row_half_mirror row_mask:0xf bank_mask:0xf
	v_mov_b32_dpp v13, v9 row_half_mirror row_mask:0xf bank_mask:0xf
	v_cmp_eq_f32_e64 s[2:3], v11, v31
	v_cmp_lt_i32_e64 s[4:5], v13, v9
	v_cmp_lt_f32_e64 s[0:1], v11, v31
	s_and_b64 s[2:3], s[2:3], s[4:5]
	s_or_b64 s[0:1], s[0:1], s[2:3]
	v_cndmask_b32_e64 v11, v11, v31, s[0:1]
	v_cndmask_b32_e64 v9, v9, v13, s[0:1]
	s_nop 0
	v_mov_b32_dpp v31, v11 row_mirror row_mask:0xf bank_mask:0xf
	v_mov_b32_dpp v13, v9 row_mirror row_mask:0xf bank_mask:0xf
	v_cmp_eq_f32_e64 s[2:3], v11, v31
	v_cmp_lt_i32_e64 s[4:5], v13, v9
	v_cmp_lt_f32_e64 s[0:1], v11, v31
	s_and_b64 s[2:3], s[2:3], s[4:5]
	s_or_b64 s[0:1], s[0:1], s[2:3]
	v_cndmask_b32_e64 v11, v11, v31, s[0:1]
	v_cndmask_b32_e64 v9, v9, v13, s[0:1]
	s_nop 0
	v_mov_b32_dpp v31, v11 row_bcast:15 row_mask:0xa bank_mask:0xf
	v_mov_b32_dpp v13, v9 row_bcast:15 row_mask:0xa bank_mask:0xf
	v_cmp_eq_f32_e64 s[0:1], v11, v31
	v_cmp_lt_i32_e64 s[2:3], v13, v9
	s_and_b64 s[0:1], s[0:1], s[2:3]
	v_cmp_lt_f32_e64 s[2:3], v11, v31
	v_cndmask_b32_e64 v32, v11, v31, s[0:1]
	s_or_b64 s[0:1], s[2:3], s[0:1]
	v_cndmask_b32_e64 v11, v32, v31, s[2:3]
	v_cndmask_b32_e64 v9, v9, v13, s[0:1]
	ds_bpermute_b32 v31, v25, v9
	ds_bpermute_b32 v9, v25, v11
	s_and_saveexec_b64 s[4:5], vcc
	s_cbranch_execz .LBB81_14
; %bb.13:                               ;   in Loop: Header=BB81_12 Depth=1
	s_waitcnt lgkmcnt(0)
	v_sub_f32_e32 v9, v9, v27
	v_mul_f32_e32 v11, 0x3fb8aa3b, v9
	v_fma_f32 v13, v9, s21, -v11
	v_rndne_f32_e32 v32, v11
	v_fmac_f32_e32 v13, 0x32a5705f, v9
	v_sub_f32_e32 v11, v11, v32
	v_add_f32_e32 v11, v11, v13
	v_exp_f32_e32 v11, v11
	v_cvt_i32_f32_e32 v13, v32
	v_cmp_le_i32_e64 s[0:1], s9, v31
	v_cmp_gt_i32_e64 s[2:3], s10, v31
	s_and_b64 s[2:3], s[0:1], s[2:3]
	v_ldexp_f32 v11, v11, v13
	v_cmp_ngt_f32_e64 s[0:1], s23, v9
	v_ashrrev_i32_e32 v13, 31, v12
	v_cndmask_b32_e64 v11, 0, v11, s[0:1]
	v_cmp_nlt_f32_e64 s[0:1], s24, v9
	v_lshlrev_b64 v[32:33], 2, v[12:13]
	v_cndmask_b32_e64 v34, v28, v11, s[0:1]
	v_mov_b32_e32 v9, s7
	v_add_co_u32_e64 v32, s[0:1], s6, v32
	v_addc_co_u32_e64 v33, s[0:1], v9, v33, s[0:1]
	v_ashrrev_i32_e32 v11, 31, v10
	global_store_dword v[32:33], v34, off
	v_subrev_u32_e32 v9, s9, v31
	s_and_b64 s[0:1], s[16:17], s[2:3]
	v_lshlrev_b64 v[32:33], 2, v[10:11]
	v_cndmask_b32_e64 v9, v29, v9, s[0:1]
	v_mov_b32_e32 v11, s13
	v_add_co_u32_e64 v32, s[0:1], s12, v32
	v_addc_co_u32_e64 v33, s[0:1], v11, v33, s[0:1]
	global_store_dword v[32:33], v9, off
	v_ashrrev_i32_e32 v9, 31, v8
	v_lshlrev_b64 v[32:33], 2, v[8:9]
	v_mov_b32_e32 v9, s15
	v_add_co_u32_e64 v32, s[0:1], s14, v32
	v_addc_co_u32_e64 v33, s[0:1], v9, v33, s[0:1]
	v_add_f32_e32 v16, v16, v34
	global_store_dword v[32:33], v26, off
.LBB81_14:                              ;   in Loop: Header=BB81_12 Depth=1
	s_or_b64 exec, exec, s[4:5]
	s_waitcnt lgkmcnt(0)
	v_ashrrev_i32_e32 v9, 31, v31
	v_lshrrev_b32_e32 v11, 29, v9
	v_add_u32_e32 v13, v31, v11
	v_ashrrev_i32_e32 v11, 3, v13
	v_ashrrev_i32_e32 v13, 31, v13
	v_lshrrev_b32_e32 v13, 27, v13
	v_add_u32_e32 v13, v11, v13
	v_and_b32_e32 v13, 0xffffffe0, v13
	v_sub_u32_e32 v13, v11, v13
	v_cmp_eq_u32_e64 s[0:1], v15, v13
	s_and_saveexec_b64 s[2:3], s[0:1]
	s_cbranch_execz .LBB81_11
; %bb.15:                               ;   in Loop: Header=BB81_12 Depth=1
	v_add_u32_sdwa v9, v31, v9 dst_sel:DWORD dst_unused:UNUSED_PAD src0_sel:DWORD src1_sel:BYTE_3
	v_lshlrev_b32_e32 v11, 3, v11
	v_ashrrev_i32_e32 v9, 8, v9
	v_sub_u32_e32 v11, v31, v11
	v_lshl_add_u32 v9, v9, 3, v11
	v_cmp_ne_u32_e64 s[0:1], 7, v9
	v_cndmask_b32_e64 v7, v30, v7, s[0:1]
	v_cmp_ne_u32_e64 s[0:1], 6, v9
	v_cndmask_b32_e64 v6, v30, v6, s[0:1]
	;; [unrolled: 2-line block ×8, first 2 shown]
	s_branch .LBB81_11
.LBB81_16:
	v_cmp_eq_u32_e32 vcc, 0, v15
	v_cmp_neq_f32_e64 s[0:1], 0, v16
	s_and_b64 s[0:1], vcc, s[0:1]
	s_and_b64 exec, exec, s[0:1]
	s_cbranch_execz .LBB81_27
; %bb.17:
	s_andn2_b64 vcc, exec, s[18:19]
	s_cbranch_vccnz .LBB81_27
; %bb.18:
	v_div_scale_f32 v0, s[0:1], v16, v16, 1.0
	v_rcp_f32_e32 v1, v0
	v_div_scale_f32 v2, vcc, 1.0, v16, 1.0
	s_cmp_gt_u32 s8, 3
	v_fma_f32 v3, -v0, v1, 1.0
	v_fmac_f32_e32 v1, v3, v1
	v_mul_f32_e32 v3, v2, v1
	v_fma_f32 v4, -v0, v3, v2
	v_fmac_f32_e32 v3, v4, v1
	v_fma_f32 v0, -v0, v3, v2
	v_div_fmas_f32 v0, v0, v1, v3
	v_mul_lo_u32 v2, v14, s11
	v_div_fixup_f32 v0, v0, v16, 1.0
	v_ashrrev_i32_e32 v3, 31, v2
	s_cbranch_scc0 .LBB81_22
; %bb.19:
	v_lshlrev_b64 v[4:5], 2, v[2:3]
	v_mov_b32_e32 v6, s7
	v_add_co_u32_e32 v4, vcc, s6, v4
	v_addc_co_u32_e32 v5, vcc, v5, v6, vcc
	s_and_b32 s4, s8, 0x7ffffffc
	v_add_co_u32_e32 v4, vcc, 8, v4
	v_mov_b32_e32 v1, v0
	v_addc_co_u32_e32 v5, vcc, 0, v5, vcc
	s_mov_b32 s0, s4
.LBB81_20:                              ; =>This Inner Loop Header: Depth=1
	global_load_dwordx4 v[6:9], v[4:5], off offset:-8
	s_add_i32 s0, s0, -4
	s_cmp_lg_u32 s0, 0
	s_waitcnt vmcnt(0)
	v_pk_mul_f32 v[6:7], v[0:1], v[6:7]
	v_pk_mul_f32 v[8:9], v[0:1], v[8:9]
	global_store_dwordx4 v[4:5], v[6:9], off offset:-8
	v_add_co_u32_e32 v4, vcc, 16, v4
	v_addc_co_u32_e32 v5, vcc, 0, v5, vcc
	s_cbranch_scc1 .LBB81_20
; %bb.21:
	s_cmp_lg_u32 s4, s8
	s_cselect_b64 s[0:1], -1, 0
	s_branch .LBB81_24
.LBB81_22:
	s_mov_b64 s[0:1], 0
                                        ; implicit-def: $sgpr4
	s_cbranch_execz .LBB81_24
; %bb.23:
	s_mov_b64 s[0:1], -1
	s_mov_b32 s4, 0
.LBB81_24:
	s_andn2_b64 vcc, exec, s[0:1]
	s_cbranch_vccnz .LBB81_27
; %bb.25:
	v_add_co_u32_e32 v2, vcc, s4, v2
	v_addc_co_u32_e32 v3, vcc, 0, v3, vcc
	v_lshlrev_b64 v[2:3], 2, v[2:3]
	v_mov_b32_e32 v1, s7
	v_add_co_u32_e32 v2, vcc, s6, v2
	s_sub_i32 s0, s8, s4
	v_addc_co_u32_e32 v3, vcc, v1, v3, vcc
.LBB81_26:                              ; =>This Inner Loop Header: Depth=1
	global_load_dword v1, v[2:3], off
	s_add_i32 s0, s0, -1
	s_cmp_lg_u32 s0, 0
	s_waitcnt vmcnt(0)
	v_mul_f32_e32 v1, v0, v1
	global_store_dword v[2:3], v1, off
	v_add_co_u32_e32 v2, vcc, 4, v2
	v_addc_co_u32_e32 v3, vcc, 0, v3, vcc
	s_cbranch_scc1 .LBB81_26
.LBB81_27:
	s_endpgm
	.section	.rodata,"a",@progbits
	.p2align	6, 0x0
	.amdhsa_kernel _ZN4vllm3moe17topkGatingSoftmaxIfLi8ELi256ELi8ELi32ELb1ELi0ELNS0_23SharedExpertScoringFuncE0EEEvPKT_PKbPfiPiS9_iiiiii
		.amdhsa_group_segment_fixed_size 0
		.amdhsa_private_segment_fixed_size 0
		.amdhsa_kernarg_size 72
		.amdhsa_user_sgpr_count 6
		.amdhsa_user_sgpr_private_segment_buffer 1
		.amdhsa_user_sgpr_dispatch_ptr 0
		.amdhsa_user_sgpr_queue_ptr 0
		.amdhsa_user_sgpr_kernarg_segment_ptr 1
		.amdhsa_user_sgpr_dispatch_id 0
		.amdhsa_user_sgpr_flat_scratch_init 0
		.amdhsa_user_sgpr_kernarg_preload_length 0
		.amdhsa_user_sgpr_kernarg_preload_offset 0
		.amdhsa_user_sgpr_private_segment_size 0
		.amdhsa_uses_dynamic_stack 0
		.amdhsa_system_sgpr_private_segment_wavefront_offset 0
		.amdhsa_system_sgpr_workgroup_id_x 1
		.amdhsa_system_sgpr_workgroup_id_y 0
		.amdhsa_system_sgpr_workgroup_id_z 0
		.amdhsa_system_sgpr_workgroup_info 0
		.amdhsa_system_vgpr_workitem_id 1
		.amdhsa_next_free_vgpr 35
		.amdhsa_next_free_sgpr 25
		.amdhsa_accum_offset 36
		.amdhsa_reserve_vcc 1
		.amdhsa_reserve_flat_scratch 0
		.amdhsa_float_round_mode_32 0
		.amdhsa_float_round_mode_16_64 0
		.amdhsa_float_denorm_mode_32 3
		.amdhsa_float_denorm_mode_16_64 3
		.amdhsa_dx10_clamp 1
		.amdhsa_ieee_mode 1
		.amdhsa_fp16_overflow 0
		.amdhsa_tg_split 0
		.amdhsa_exception_fp_ieee_invalid_op 0
		.amdhsa_exception_fp_denorm_src 0
		.amdhsa_exception_fp_ieee_div_zero 0
		.amdhsa_exception_fp_ieee_overflow 0
		.amdhsa_exception_fp_ieee_underflow 0
		.amdhsa_exception_fp_ieee_inexact 0
		.amdhsa_exception_int_div_zero 0
	.end_amdhsa_kernel
	.section	.text._ZN4vllm3moe17topkGatingSoftmaxIfLi8ELi256ELi8ELi32ELb1ELi0ELNS0_23SharedExpertScoringFuncE0EEEvPKT_PKbPfiPiS9_iiiiii,"axG",@progbits,_ZN4vllm3moe17topkGatingSoftmaxIfLi8ELi256ELi8ELi32ELb1ELi0ELNS0_23SharedExpertScoringFuncE0EEEvPKT_PKbPfiPiS9_iiiiii,comdat
.Lfunc_end81:
	.size	_ZN4vllm3moe17topkGatingSoftmaxIfLi8ELi256ELi8ELi32ELb1ELi0ELNS0_23SharedExpertScoringFuncE0EEEvPKT_PKbPfiPiS9_iiiiii, .Lfunc_end81-_ZN4vllm3moe17topkGatingSoftmaxIfLi8ELi256ELi8ELi32ELb1ELi0ELNS0_23SharedExpertScoringFuncE0EEEvPKT_PKbPfiPiS9_iiiiii
                                        ; -- End function
	.section	.AMDGPU.csdata,"",@progbits
; Kernel info:
; codeLenInByte = 2748
; NumSgprs: 29
; NumVgprs: 35
; NumAgprs: 0
; TotalNumVgprs: 35
; ScratchSize: 0
; MemoryBound: 0
; FloatMode: 240
; IeeeMode: 1
; LDSByteSize: 0 bytes/workgroup (compile time only)
; SGPRBlocks: 3
; VGPRBlocks: 4
; NumSGPRsForWavesPerEU: 29
; NumVGPRsForWavesPerEU: 35
; AccumOffset: 36
; Occupancy: 8
; WaveLimiterHint : 0
; COMPUTE_PGM_RSRC2:SCRATCH_EN: 0
; COMPUTE_PGM_RSRC2:USER_SGPR: 6
; COMPUTE_PGM_RSRC2:TRAP_HANDLER: 0
; COMPUTE_PGM_RSRC2:TGID_X_EN: 1
; COMPUTE_PGM_RSRC2:TGID_Y_EN: 0
; COMPUTE_PGM_RSRC2:TGID_Z_EN: 0
; COMPUTE_PGM_RSRC2:TIDIG_COMP_CNT: 1
; COMPUTE_PGM_RSRC3_GFX90A:ACCUM_OFFSET: 8
; COMPUTE_PGM_RSRC3_GFX90A:TG_SPLIT: 0
	.section	.text._ZN4vllm3moe17topkGatingSoftmaxIfLi8ELi256ELi8ELi32ELb0ELi0ELNS0_23SharedExpertScoringFuncE0EEEvPKT_PKbPfiPiS9_iiiiii,"axG",@progbits,_ZN4vllm3moe17topkGatingSoftmaxIfLi8ELi256ELi8ELi32ELb0ELi0ELNS0_23SharedExpertScoringFuncE0EEEvPKT_PKbPfiPiS9_iiiiii,comdat
	.protected	_ZN4vllm3moe17topkGatingSoftmaxIfLi8ELi256ELi8ELi32ELb0ELi0ELNS0_23SharedExpertScoringFuncE0EEEvPKT_PKbPfiPiS9_iiiiii ; -- Begin function _ZN4vllm3moe17topkGatingSoftmaxIfLi8ELi256ELi8ELi32ELb0ELi0ELNS0_23SharedExpertScoringFuncE0EEEvPKT_PKbPfiPiS9_iiiiii
	.globl	_ZN4vllm3moe17topkGatingSoftmaxIfLi8ELi256ELi8ELi32ELb0ELi0ELNS0_23SharedExpertScoringFuncE0EEEvPKT_PKbPfiPiS9_iiiiii
	.p2align	8
	.type	_ZN4vllm3moe17topkGatingSoftmaxIfLi8ELi256ELi8ELi32ELb0ELi0ELNS0_23SharedExpertScoringFuncE0EEEvPKT_PKbPfiPiS9_iiiiii,@function
_ZN4vllm3moe17topkGatingSoftmaxIfLi8ELi256ELi8ELi32ELb0ELi0ELNS0_23SharedExpertScoringFuncE0EEEvPKT_PKbPfiPiS9_iiiiii: ; @_ZN4vllm3moe17topkGatingSoftmaxIfLi8ELi256ELi8ELi32ELb0ELi0ELNS0_23SharedExpertScoringFuncE0EEEvPKT_PKbPfiPiS9_iiiiii
; %bb.0:
	s_load_dword s22, s[4:5], 0x18
	v_bfe_u32 v1, v0, 10, 10
	v_and_b32_e32 v0, 0x3ff, v0
	s_lshl_b32 s23, s6, 4
	v_lshlrev_b32_e32 v27, 1, v1
	v_lshrrev_b32_e32 v28, 5, v0
	v_add3_u32 v14, s23, v27, v28
	s_waitcnt lgkmcnt(0)
	v_cmp_gt_i32_e32 vcc, s22, v14
	s_and_saveexec_b64 s[0:1], vcc
	s_cbranch_execz .LBB82_29
; %bb.1:
	s_load_dwordx4 s[0:3], s[4:5], 0x0
	s_load_dwordx2 s[6:7], s[4:5], 0x10
	s_waitcnt lgkmcnt(0)
	s_cmp_eq_u64 s[2:3], 0
	s_cbranch_scc1 .LBB82_3
; %bb.2:
	v_ashrrev_i32_e32 v1, 31, v14
	v_mov_b32_e32 v3, s3
	v_add_co_u32_e32 v2, vcc, s2, v14
	v_addc_co_u32_e32 v3, vcc, v3, v1, vcc
	global_load_ubyte v1, v[2:3], off
	s_waitcnt vmcnt(0)
	v_and_b32_e32 v1, 1, v1
	v_cmp_eq_u32_e32 vcc, 1, v1
	s_xor_b64 s[2:3], vcc, -1
	s_orn2_b64 s[16:17], s[2:3], exec
	s_branch .LBB82_4
.LBB82_3:
	s_mov_b64 s[16:17], -1
.LBB82_4:
	s_load_dwordx2 s[20:21], s[4:5], 0x40
	s_load_dwordx4 s[8:11], s[4:5], 0x30
	v_mov_b32_e32 v1, s1
	v_and_b32_e32 v15, 31, v0
	v_lshlrev_b32_e32 v0, 5, v15
	s_waitcnt lgkmcnt(0)
	v_mul_lo_u32 v2, v14, s21
	v_ashrrev_i32_e32 v3, 31, v2
	v_lshlrev_b64 v[2:3], 2, v[2:3]
	v_add_co_u32_e32 v2, vcc, s0, v2
	v_addc_co_u32_e32 v1, vcc, v1, v3, vcc
	v_add_co_u32_e32 v8, vcc, v2, v0
	v_addc_co_u32_e32 v9, vcc, 0, v1, vcc
	global_load_dwordx4 v[4:7], v[8:9], off
	global_load_dwordx4 v[0:3], v[8:9], off offset:16
	v_mbcnt_lo_u32_b32 v8, -1, 0
	v_mov_b32_e32 v9, 0x7c
	v_lshlrev_b32_e32 v19, 3, v15
	v_mbcnt_hi_u32_b32 v8, -1, v8
	v_or_b32_e32 v20, 1, v19
	v_lshl_or_b32 v17, v8, 2, v9
	v_or_b32_e32 v21, 2, v19
	v_or_b32_e32 v22, 3, v19
	;; [unrolled: 1-line block ×6, first 2 shown]
	v_mov_b32_e32 v16, 0
	s_waitcnt vmcnt(1)
	v_cmp_lt_f32_e32 vcc, v4, v5
	v_cndmask_b32_e32 v9, v4, v5, vcc
	v_cndmask_b32_e32 v8, v19, v20, vcc
	v_cmp_lt_f32_e32 vcc, v9, v6
	v_cndmask_b32_e32 v9, v9, v6, vcc
	v_cndmask_b32_e32 v8, v8, v21, vcc
	;; [unrolled: 3-line block ×3, first 2 shown]
	s_waitcnt vmcnt(0)
	v_cmp_lt_f32_e32 vcc, v9, v0
	v_cndmask_b32_e32 v9, v9, v0, vcc
	v_cndmask_b32_e32 v8, v8, v23, vcc
	v_cmp_lt_f32_e32 vcc, v9, v1
	v_cndmask_b32_e32 v9, v9, v1, vcc
	v_cndmask_b32_e32 v8, v8, v24, vcc
	;; [unrolled: 3-line block ×4, first 2 shown]
	s_nop 0
	v_mov_b32_dpp v10, v8 quad_perm:[1,0,3,2] row_mask:0xf bank_mask:0xf
	v_mov_b32_dpp v11, v9 quad_perm:[1,0,3,2] row_mask:0xf bank_mask:0xf
	v_cmp_lt_i32_e32 vcc, v10, v8
	v_cmp_eq_f32_e64 s[2:3], v9, v11
	v_cmp_lt_f32_e64 s[0:1], v9, v11
	s_and_b64 s[2:3], s[2:3], vcc
	s_or_b64 vcc, s[0:1], s[2:3]
	v_cndmask_b32_e32 v9, v9, v11, vcc
	v_cndmask_b32_e32 v8, v8, v10, vcc
	s_nop 0
	v_mov_b32_dpp v10, v9 quad_perm:[2,3,0,1] row_mask:0xf bank_mask:0xf
	v_mov_b32_dpp v11, v8 quad_perm:[2,3,0,1] row_mask:0xf bank_mask:0xf
	v_cmp_eq_f32_e64 s[0:1], v9, v10
	v_cmp_lt_i32_e64 s[2:3], v11, v8
	v_cmp_lt_f32_e32 vcc, v9, v10
	s_and_b64 s[0:1], s[0:1], s[2:3]
	s_or_b64 vcc, vcc, s[0:1]
	v_cndmask_b32_e32 v9, v9, v10, vcc
	v_cndmask_b32_e32 v8, v8, v11, vcc
	s_nop 0
	v_mov_b32_dpp v10, v9 row_half_mirror row_mask:0xf bank_mask:0xf
	v_mov_b32_dpp v11, v8 row_half_mirror row_mask:0xf bank_mask:0xf
	v_cmp_eq_f32_e64 s[0:1], v9, v10
	v_cmp_lt_i32_e64 s[2:3], v11, v8
	v_cmp_lt_f32_e32 vcc, v9, v10
	s_and_b64 s[0:1], s[0:1], s[2:3]
	s_or_b64 vcc, vcc, s[0:1]
	v_cndmask_b32_e32 v9, v9, v10, vcc
	v_cndmask_b32_e32 v8, v8, v11, vcc
	s_nop 0
	v_mov_b32_dpp v10, v9 row_mirror row_mask:0xf bank_mask:0xf
	v_mov_b32_dpp v11, v8 row_mirror row_mask:0xf bank_mask:0xf
	v_cmp_eq_f32_e64 s[0:1], v9, v10
	v_cmp_lt_i32_e64 s[2:3], v11, v8
	v_cmp_lt_f32_e32 vcc, v9, v10
	s_and_b64 s[0:1], s[0:1], s[2:3]
	s_or_b64 vcc, vcc, s[0:1]
	v_cndmask_b32_e32 v9, v9, v10, vcc
	v_cndmask_b32_e32 v8, v8, v11, vcc
	s_nop 0
	v_mov_b32_dpp v10, v9 row_bcast:15 row_mask:0xa bank_mask:0xf
	v_mov_b32_dpp v11, v8 row_bcast:15 row_mask:0xa bank_mask:0xf
	v_cmp_eq_f32_e32 vcc, v9, v10
	v_cmp_lt_i32_e64 s[0:1], v11, v8
	s_and_b64 vcc, vcc, s[0:1]
	v_cmp_lt_f32_e64 s[0:1], v9, v10
	v_cndmask_b32_e32 v12, v9, v10, vcc
	s_or_b64 vcc, s[0:1], vcc
	v_cndmask_b32_e64 v9, v12, v10, s[0:1]
	v_cndmask_b32_e32 v8, v8, v11, vcc
	ds_bpermute_b32 v29, v17, v8
	ds_bpermute_b32 v18, v17, v9
	s_cmp_gt_i32 s8, 0
	s_cselect_b64 s[18:19], -1, 0
	s_cmp_lt_i32 s8, 1
	v_cmp_eq_u32_e32 vcc, 0, v15
	s_cbranch_scc1 .LBB82_16
; %bb.5:
	s_load_dwordx4 s[12:15], s[4:5], 0x20
	v_mul_lo_u32 v12, v14, s11
	v_mul_lo_u32 v10, v14, s20
	;; [unrolled: 1-line block ×3, first 2 shown]
	v_mov_b32_e32 v16, 0
	s_and_saveexec_b64 s[4:5], vcc
	s_cbranch_execz .LBB82_7
; %bb.6:
	s_waitcnt lgkmcnt(0)
	v_sub_f32_e32 v9, v18, v18
	v_mul_f32_e32 v11, 0x3fb8aa3b, v9
	s_mov_b32 s0, 0x3fb8aa3b
	v_rndne_f32_e32 v13, v11
	v_sub_f32_e32 v16, v11, v13
	v_fma_f32 v11, v9, s0, -v11
	v_fmac_f32_e32 v11, 0x32a5705f, v9
	v_add_f32_e32 v11, v16, v11
	v_exp_f32_e32 v11, v11
	v_cvt_i32_f32_e32 v13, v13
	v_cmp_le_i32_e64 s[0:1], s9, v29
	v_cmp_gt_i32_e64 s[2:3], s10, v29
	s_and_b64 s[2:3], s[0:1], s[2:3]
	s_mov_b32 s0, 0xc2ce8ed0
	v_ldexp_f32 v11, v11, v13
	v_cmp_ngt_f32_e64 s[0:1], s0, v9
	v_cndmask_b32_e64 v11, 0, v11, s[0:1]
	s_mov_b32 s0, 0x42b17218
	v_mov_b32_e32 v13, 0x7f800000
	v_cmp_nlt_f32_e64 s[0:1], s0, v9
	v_cndmask_b32_e64 v16, v13, v11, s[0:1]
	v_ashrrev_i32_e32 v13, 31, v12
	v_lshlrev_b64 v[30:31], 2, v[12:13]
	v_mov_b32_e32 v9, s7
	v_add_co_u32_e64 v30, s[0:1], s6, v30
	v_addc_co_u32_e64 v31, s[0:1], v9, v31, s[0:1]
	v_subrev_u32_e32 v9, s9, v29
	v_mov_b32_e32 v11, 0x100
	s_and_b64 s[0:1], s[16:17], s[2:3]
	v_cndmask_b32_e64 v9, v11, v9, s[0:1]
	v_ashrrev_i32_e32 v11, 31, v10
	global_store_dword v[30:31], v16, off
	v_lshlrev_b64 v[30:31], 2, v[10:11]
	v_mov_b32_e32 v11, s13
	v_add_co_u32_e64 v30, s[0:1], s12, v30
	v_addc_co_u32_e64 v31, s[0:1], v11, v31, s[0:1]
	global_store_dword v[30:31], v9, off
	v_ashrrev_i32_e32 v9, 31, v8
	v_lshlrev_b64 v[30:31], 2, v[8:9]
	v_mov_b32_e32 v9, s15
	v_add_co_u32_e64 v30, s[0:1], s14, v30
	v_addc_co_u32_e64 v31, s[0:1], v9, v31, s[0:1]
	global_store_dword v[30:31], v14, off
.LBB82_7:
	s_or_b64 exec, exec, s[4:5]
	s_waitcnt lgkmcnt(0)
	v_ashrrev_i32_e32 v9, 31, v29
	v_lshrrev_b32_e32 v11, 29, v9
	v_add_u32_e32 v13, v29, v11
	v_ashrrev_i32_e32 v11, 3, v13
	v_ashrrev_i32_e32 v13, 31, v13
	v_lshrrev_b32_e32 v13, 27, v13
	v_add_u32_e32 v13, v11, v13
	v_and_b32_e32 v13, 0xffffffe0, v13
	v_sub_u32_e32 v13, v11, v13
	v_cmp_eq_u32_e64 s[0:1], v15, v13
	s_and_saveexec_b64 s[2:3], s[0:1]
	s_cbranch_execz .LBB82_9
; %bb.8:
	v_add_u32_sdwa v9, v29, v9 dst_sel:DWORD dst_unused:UNUSED_PAD src0_sel:DWORD src1_sel:BYTE_3
	v_lshlrev_b32_e32 v11, 3, v11
	v_ashrrev_i32_e32 v9, 8, v9
	v_sub_u32_e32 v11, v29, v11
	v_lshl_add_u32 v9, v9, 3, v11
	v_mov_b32_e32 v11, 0xff800000
	v_cmp_ne_u32_e64 s[0:1], 7, v9
	v_cndmask_b32_e64 v3, v11, v3, s[0:1]
	v_cmp_ne_u32_e64 s[0:1], 6, v9
	v_cndmask_b32_e64 v2, v11, v2, s[0:1]
	v_cmp_ne_u32_e64 s[0:1], 5, v9
	v_cndmask_b32_e64 v1, v11, v1, s[0:1]
	v_cmp_ne_u32_e64 s[0:1], 4, v9
	v_cndmask_b32_e64 v0, v11, v0, s[0:1]
	v_cmp_ne_u32_e64 s[0:1], 3, v9
	v_cndmask_b32_e64 v7, v11, v7, s[0:1]
	v_cmp_ne_u32_e64 s[0:1], 2, v9
	v_cndmask_b32_e64 v6, v11, v6, s[0:1]
	v_cmp_ne_u32_e64 s[0:1], 1, v9
	v_cndmask_b32_e64 v5, v11, v5, s[0:1]
	v_cmp_ne_u32_e64 s[0:1], 0, v9
	v_cndmask_b32_e64 v4, v11, v4, s[0:1]
.LBB82_9:
	s_or_b64 exec, exec, s[2:3]
	s_cmp_eq_u32 s8, 1
	s_cbranch_scc1 .LBB82_16
; %bb.10:
	s_add_i32 s23, s23, s22
	s_add_i32 s20, s8, -1
	v_add3_u32 v27, s23, v28, v27
	v_add_u32_e32 v8, 1, v8
	v_add_u32_e32 v10, 1, v10
	;; [unrolled: 1-line block ×3, first 2 shown]
	s_mov_b32 s21, 0x3fb8aa3b
	s_mov_b32 s23, 0xc2ce8ed0
	;; [unrolled: 1-line block ×3, first 2 shown]
	v_mov_b32_e32 v28, 0x7f800000
	v_mov_b32_e32 v29, 0x100
	;; [unrolled: 1-line block ×3, first 2 shown]
	s_branch .LBB82_12
.LBB82_11:                              ;   in Loop: Header=BB82_12 Depth=1
	s_or_b64 exec, exec, s[2:3]
	s_add_i32 s20, s20, -1
	v_add_u32_e32 v27, s22, v27
	v_add_u32_e32 v8, 1, v8
	;; [unrolled: 1-line block ×3, first 2 shown]
	s_cmp_eq_u32 s20, 0
	v_add_u32_e32 v12, 1, v12
	s_cbranch_scc1 .LBB82_16
.LBB82_12:                              ; =>This Inner Loop Header: Depth=1
	v_cmp_gt_f32_e64 s[0:1], v5, v4
	v_cndmask_b32_e64 v11, v4, v5, s[0:1]
	v_cndmask_b32_e64 v9, v19, v20, s[0:1]
	v_cmp_gt_f32_e64 s[0:1], v6, v11
	v_cndmask_b32_e64 v11, v11, v6, s[0:1]
	v_cndmask_b32_e64 v9, v9, v21, s[0:1]
	;; [unrolled: 3-line block ×7, first 2 shown]
	s_nop 0
	v_mov_b32_dpp v13, v9 quad_perm:[1,0,3,2] row_mask:0xf bank_mask:0xf
	v_mov_b32_dpp v31, v11 quad_perm:[1,0,3,2] row_mask:0xf bank_mask:0xf
	v_cmp_eq_f32_e64 s[2:3], v11, v31
	v_cmp_lt_i32_e64 s[4:5], v13, v9
	v_cmp_lt_f32_e64 s[0:1], v11, v31
	s_and_b64 s[2:3], s[2:3], s[4:5]
	s_or_b64 s[0:1], s[0:1], s[2:3]
	v_cndmask_b32_e64 v11, v11, v31, s[0:1]
	v_cndmask_b32_e64 v9, v9, v13, s[0:1]
	s_nop 0
	v_mov_b32_dpp v31, v11 quad_perm:[2,3,0,1] row_mask:0xf bank_mask:0xf
	v_mov_b32_dpp v13, v9 quad_perm:[2,3,0,1] row_mask:0xf bank_mask:0xf
	v_cmp_eq_f32_e64 s[2:3], v11, v31
	v_cmp_lt_i32_e64 s[4:5], v13, v9
	v_cmp_lt_f32_e64 s[0:1], v11, v31
	s_and_b64 s[2:3], s[2:3], s[4:5]
	s_or_b64 s[0:1], s[0:1], s[2:3]
	v_cndmask_b32_e64 v11, v11, v31, s[0:1]
	v_cndmask_b32_e64 v9, v9, v13, s[0:1]
	s_nop 0
	v_mov_b32_dpp v31, v11 row_half_mirror row_mask:0xf bank_mask:0xf
	v_mov_b32_dpp v13, v9 row_half_mirror row_mask:0xf bank_mask:0xf
	v_cmp_eq_f32_e64 s[2:3], v11, v31
	v_cmp_lt_i32_e64 s[4:5], v13, v9
	v_cmp_lt_f32_e64 s[0:1], v11, v31
	s_and_b64 s[2:3], s[2:3], s[4:5]
	s_or_b64 s[0:1], s[0:1], s[2:3]
	v_cndmask_b32_e64 v11, v11, v31, s[0:1]
	v_cndmask_b32_e64 v9, v9, v13, s[0:1]
	s_nop 0
	v_mov_b32_dpp v31, v11 row_mirror row_mask:0xf bank_mask:0xf
	v_mov_b32_dpp v13, v9 row_mirror row_mask:0xf bank_mask:0xf
	v_cmp_eq_f32_e64 s[2:3], v11, v31
	v_cmp_lt_i32_e64 s[4:5], v13, v9
	v_cmp_lt_f32_e64 s[0:1], v11, v31
	s_and_b64 s[2:3], s[2:3], s[4:5]
	s_or_b64 s[0:1], s[0:1], s[2:3]
	v_cndmask_b32_e64 v11, v11, v31, s[0:1]
	v_cndmask_b32_e64 v9, v9, v13, s[0:1]
	s_nop 0
	v_mov_b32_dpp v31, v11 row_bcast:15 row_mask:0xa bank_mask:0xf
	v_mov_b32_dpp v13, v9 row_bcast:15 row_mask:0xa bank_mask:0xf
	v_cmp_eq_f32_e64 s[0:1], v11, v31
	v_cmp_lt_i32_e64 s[2:3], v13, v9
	s_and_b64 s[0:1], s[0:1], s[2:3]
	v_cmp_lt_f32_e64 s[2:3], v11, v31
	v_cndmask_b32_e64 v32, v11, v31, s[0:1]
	s_or_b64 s[0:1], s[2:3], s[0:1]
	v_cndmask_b32_e64 v11, v32, v31, s[2:3]
	v_cndmask_b32_e64 v9, v9, v13, s[0:1]
	ds_bpermute_b32 v31, v17, v9
	ds_bpermute_b32 v9, v17, v11
	s_and_saveexec_b64 s[4:5], vcc
	s_cbranch_execz .LBB82_14
; %bb.13:                               ;   in Loop: Header=BB82_12 Depth=1
	s_waitcnt lgkmcnt(0)
	v_sub_f32_e32 v9, v9, v18
	v_mul_f32_e32 v11, 0x3fb8aa3b, v9
	v_fma_f32 v13, v9, s21, -v11
	v_rndne_f32_e32 v32, v11
	v_fmac_f32_e32 v13, 0x32a5705f, v9
	v_sub_f32_e32 v11, v11, v32
	v_add_f32_e32 v11, v11, v13
	v_exp_f32_e32 v11, v11
	v_cvt_i32_f32_e32 v13, v32
	v_cmp_le_i32_e64 s[0:1], s9, v31
	v_cmp_gt_i32_e64 s[2:3], s10, v31
	s_and_b64 s[2:3], s[0:1], s[2:3]
	v_ldexp_f32 v11, v11, v13
	v_cmp_ngt_f32_e64 s[0:1], s23, v9
	v_ashrrev_i32_e32 v13, 31, v12
	v_cndmask_b32_e64 v11, 0, v11, s[0:1]
	v_cmp_nlt_f32_e64 s[0:1], s24, v9
	v_lshlrev_b64 v[32:33], 2, v[12:13]
	v_cndmask_b32_e64 v34, v28, v11, s[0:1]
	v_mov_b32_e32 v9, s7
	v_add_co_u32_e64 v32, s[0:1], s6, v32
	v_addc_co_u32_e64 v33, s[0:1], v9, v33, s[0:1]
	v_ashrrev_i32_e32 v11, 31, v10
	global_store_dword v[32:33], v34, off
	v_subrev_u32_e32 v9, s9, v31
	s_and_b64 s[0:1], s[16:17], s[2:3]
	v_lshlrev_b64 v[32:33], 2, v[10:11]
	v_cndmask_b32_e64 v9, v29, v9, s[0:1]
	v_mov_b32_e32 v11, s13
	v_add_co_u32_e64 v32, s[0:1], s12, v32
	v_addc_co_u32_e64 v33, s[0:1], v11, v33, s[0:1]
	global_store_dword v[32:33], v9, off
	v_ashrrev_i32_e32 v9, 31, v8
	v_lshlrev_b64 v[32:33], 2, v[8:9]
	v_mov_b32_e32 v9, s15
	v_add_co_u32_e64 v32, s[0:1], s14, v32
	v_addc_co_u32_e64 v33, s[0:1], v9, v33, s[0:1]
	v_add_f32_e32 v16, v16, v34
	global_store_dword v[32:33], v27, off
.LBB82_14:                              ;   in Loop: Header=BB82_12 Depth=1
	s_or_b64 exec, exec, s[4:5]
	s_waitcnt lgkmcnt(0)
	v_ashrrev_i32_e32 v9, 31, v31
	v_lshrrev_b32_e32 v11, 29, v9
	v_add_u32_e32 v13, v31, v11
	v_ashrrev_i32_e32 v11, 3, v13
	v_ashrrev_i32_e32 v13, 31, v13
	v_lshrrev_b32_e32 v13, 27, v13
	v_add_u32_e32 v13, v11, v13
	v_and_b32_e32 v13, 0xffffffe0, v13
	v_sub_u32_e32 v13, v11, v13
	v_cmp_eq_u32_e64 s[0:1], v15, v13
	s_and_saveexec_b64 s[2:3], s[0:1]
	s_cbranch_execz .LBB82_11
; %bb.15:                               ;   in Loop: Header=BB82_12 Depth=1
	v_add_u32_sdwa v9, v31, v9 dst_sel:DWORD dst_unused:UNUSED_PAD src0_sel:DWORD src1_sel:BYTE_3
	v_lshlrev_b32_e32 v11, 3, v11
	v_ashrrev_i32_e32 v9, 8, v9
	v_sub_u32_e32 v11, v31, v11
	v_lshl_add_u32 v9, v9, 3, v11
	v_cmp_ne_u32_e64 s[0:1], 7, v9
	v_cndmask_b32_e64 v3, v30, v3, s[0:1]
	v_cmp_ne_u32_e64 s[0:1], 6, v9
	v_cndmask_b32_e64 v2, v30, v2, s[0:1]
	;; [unrolled: 2-line block ×8, first 2 shown]
	s_branch .LBB82_11
.LBB82_16:
	s_waitcnt lgkmcnt(0)
	v_sub_f32_e32 v4, v4, v18
	s_mov_b32 s0, 0x3fb8aa3b
	v_mul_f32_e32 v8, 0x3fb8aa3b, v4
	v_fma_f32 v9, v4, s0, -v8
	v_rndne_f32_e32 v10, v8
	v_fmac_f32_e32 v9, 0x32a5705f, v4
	v_sub_f32_e32 v8, v8, v10
	v_add_f32_e32 v8, v8, v9
	v_exp_f32_e32 v8, v8
	v_cvt_i32_f32_e32 v9, v10
	v_sub_f32_e32 v5, v5, v18
	s_mov_b32 s1, 0xc2ce8ed0
	v_cmp_ngt_f32_e32 vcc, s1, v4
	v_ldexp_f32 v8, v8, v9
	v_mul_f32_e32 v9, 0x3fb8aa3b, v5
	v_fma_f32 v10, v5, s0, -v9
	v_rndne_f32_e32 v11, v9
	v_fmac_f32_e32 v10, 0x32a5705f, v5
	v_sub_f32_e32 v9, v9, v11
	v_add_f32_e32 v9, v9, v10
	v_exp_f32_e32 v9, v9
	v_cvt_i32_f32_e32 v10, v11
	s_mov_b32 s2, 0x42b17218
	v_cndmask_b32_e32 v8, 0, v8, vcc
	v_mov_b32_e32 v11, 0x7f800000
	v_cmp_nlt_f32_e32 vcc, s2, v4
	v_sub_f32_e32 v6, v6, v18
	v_cndmask_b32_e32 v4, v11, v8, vcc
	v_ldexp_f32 v8, v9, v10
	v_mul_f32_e32 v9, 0x3fb8aa3b, v6
	v_fma_f32 v10, v6, s0, -v9
	v_rndne_f32_e32 v12, v9
	v_fmac_f32_e32 v10, 0x32a5705f, v6
	v_sub_f32_e32 v9, v9, v12
	v_add_f32_e32 v9, v9, v10
	v_exp_f32_e32 v9, v9
	v_cvt_i32_f32_e32 v10, v12
	v_cmp_ngt_f32_e32 vcc, s1, v5
	v_cndmask_b32_e32 v8, 0, v8, vcc
	v_cmp_nlt_f32_e32 vcc, s2, v5
	v_sub_f32_e32 v7, v7, v18
	v_cndmask_b32_e32 v5, v11, v8, vcc
	v_mul_f32_e32 v8, 0x3fb8aa3b, v7
	v_add_f32_e32 v4, v4, v5
	v_ldexp_f32 v5, v9, v10
	v_fma_f32 v9, v7, s0, -v8
	v_rndne_f32_e32 v10, v8
	v_fmac_f32_e32 v9, 0x32a5705f, v7
	v_sub_f32_e32 v8, v8, v10
	v_add_f32_e32 v8, v8, v9
	v_exp_f32_e32 v8, v8
	v_cvt_i32_f32_e32 v9, v10
	v_cmp_ngt_f32_e32 vcc, s1, v6
	v_cndmask_b32_e32 v5, 0, v5, vcc
	v_cmp_nlt_f32_e32 vcc, s2, v6
	v_sub_f32_e32 v0, v0, v18
	v_cndmask_b32_e32 v5, v11, v5, vcc
	v_mul_f32_e32 v6, 0x3fb8aa3b, v0
	v_add_f32_e32 v4, v4, v5
	v_ldexp_f32 v5, v8, v9
	v_fma_f32 v8, v0, s0, -v6
	v_rndne_f32_e32 v9, v6
	v_fmac_f32_e32 v8, 0x32a5705f, v0
	v_sub_f32_e32 v6, v6, v9
	v_add_f32_e32 v6, v6, v8
	v_exp_f32_e32 v6, v6
	v_cvt_i32_f32_e32 v8, v9
	v_cmp_ngt_f32_e32 vcc, s1, v7
	v_cndmask_b32_e32 v5, 0, v5, vcc
	v_cmp_nlt_f32_e32 vcc, s2, v7
	v_cndmask_b32_e32 v5, v11, v5, vcc
	v_sub_f32_e32 v1, v1, v18
	v_add_f32_e32 v4, v4, v5
	v_ldexp_f32 v5, v6, v8
	v_mul_f32_e32 v6, 0x3fb8aa3b, v1
	v_fma_f32 v7, v1, s0, -v6
	v_rndne_f32_e32 v8, v6
	v_fmac_f32_e32 v7, 0x32a5705f, v1
	v_sub_f32_e32 v6, v6, v8
	v_add_f32_e32 v6, v6, v7
	v_exp_f32_e32 v6, v6
	v_cvt_i32_f32_e32 v7, v8
	v_cmp_ngt_f32_e32 vcc, s1, v0
	v_cndmask_b32_e32 v5, 0, v5, vcc
	v_cmp_nlt_f32_e32 vcc, s2, v0
	v_sub_f32_e32 v2, v2, v18
	v_cndmask_b32_e32 v0, v11, v5, vcc
	v_mul_f32_e32 v5, 0x3fb8aa3b, v2
	v_add_f32_e32 v0, v4, v0
	v_ldexp_f32 v4, v6, v7
	v_fma_f32 v6, v2, s0, -v5
	v_rndne_f32_e32 v7, v5
	v_fmac_f32_e32 v6, 0x32a5705f, v2
	v_sub_f32_e32 v5, v5, v7
	v_add_f32_e32 v5, v5, v6
	v_exp_f32_e32 v5, v5
	v_cvt_i32_f32_e32 v6, v7
	v_cmp_ngt_f32_e32 vcc, s1, v1
	v_cndmask_b32_e32 v4, 0, v4, vcc
	v_cmp_nlt_f32_e32 vcc, s2, v1
	v_sub_f32_e32 v3, v3, v18
	v_cndmask_b32_e32 v1, v11, v4, vcc
	v_mul_f32_e32 v4, 0x3fb8aa3b, v3
	v_add_f32_e32 v0, v0, v1
	v_ldexp_f32 v1, v5, v6
	v_fma_f32 v5, v3, s0, -v4
	v_rndne_f32_e32 v6, v4
	v_fmac_f32_e32 v5, 0x32a5705f, v3
	v_sub_f32_e32 v4, v4, v6
	v_add_f32_e32 v4, v4, v5
	v_exp_f32_e32 v4, v4
	v_cvt_i32_f32_e32 v5, v6
	v_cmp_ngt_f32_e32 vcc, s1, v2
	v_cndmask_b32_e32 v1, 0, v1, vcc
	v_cmp_nlt_f32_e32 vcc, s2, v2
	v_cndmask_b32_e32 v1, v11, v1, vcc
	v_add_f32_e32 v0, v0, v1
	v_ldexp_f32 v1, v4, v5
	v_cmp_ngt_f32_e32 vcc, s1, v3
	v_cndmask_b32_e32 v1, 0, v1, vcc
	v_cmp_nlt_f32_e32 vcc, s2, v3
	v_cndmask_b32_e32 v1, v11, v1, vcc
	v_add_f32_e32 v0, v0, v1
	v_cmp_eq_u32_e32 vcc, 0, v15
	s_nop 0
	v_mov_b32_dpp v1, v0 quad_perm:[1,0,3,2] row_mask:0xf bank_mask:0xf
	v_add_f32_e32 v0, v0, v1
	s_nop 1
	v_mov_b32_dpp v1, v0 quad_perm:[2,3,0,1] row_mask:0xf bank_mask:0xf
	v_add_f32_e32 v0, v0, v1
	s_nop 1
	v_mov_b32_dpp v1, v0 row_half_mirror row_mask:0xf bank_mask:0xf
	v_add_f32_e32 v0, v0, v1
	s_nop 1
	v_mov_b32_dpp v1, v0 row_mirror row_mask:0xf bank_mask:0xf
	v_add_f32_e32 v0, v0, v1
	s_nop 1
	v_mov_b32_dpp v1, v0 row_bcast:15 row_mask:0xa bank_mask:0xf
	v_add_f32_e32 v0, v0, v1
	ds_bpermute_b32 v0, v17, v0
	s_and_b64 exec, exec, vcc
	s_cbranch_execz .LBB82_29
; %bb.17:
	s_waitcnt lgkmcnt(0)
	v_add_f32_e32 v0, v16, v0
	v_cmp_neq_f32_e32 vcc, 0, v0
	s_and_b64 exec, exec, vcc
	s_cbranch_execz .LBB82_29
; %bb.18:
	s_andn2_b64 vcc, exec, s[18:19]
	s_cbranch_vccnz .LBB82_29
; %bb.19:
	v_div_scale_f32 v1, s[0:1], v0, v0, 1.0
	v_rcp_f32_e32 v2, v1
	v_div_scale_f32 v3, vcc, 1.0, v0, 1.0
	s_cmp_gt_u32 s8, 3
	v_fma_f32 v4, -v1, v2, 1.0
	v_fmac_f32_e32 v2, v4, v2
	v_mul_f32_e32 v4, v3, v2
	v_fma_f32 v5, -v1, v4, v3
	v_fmac_f32_e32 v4, v5, v2
	v_fma_f32 v1, -v1, v4, v3
	v_div_fmas_f32 v1, v1, v2, v4
	v_mul_lo_u32 v2, v14, s11
	v_div_fixup_f32 v0, v1, v0, 1.0
	v_ashrrev_i32_e32 v3, 31, v2
	s_cbranch_scc0 .LBB82_23
; %bb.20:
	v_lshlrev_b64 v[4:5], 2, v[2:3]
	v_mov_b32_e32 v6, s7
	v_add_co_u32_e32 v4, vcc, s6, v4
	v_addc_co_u32_e32 v5, vcc, v5, v6, vcc
	s_and_b32 s4, s8, 0x7ffffffc
	v_add_co_u32_e32 v4, vcc, 8, v4
	v_mov_b32_e32 v1, v0
	v_addc_co_u32_e32 v5, vcc, 0, v5, vcc
	s_mov_b32 s0, s4
.LBB82_21:                              ; =>This Inner Loop Header: Depth=1
	global_load_dwordx4 v[6:9], v[4:5], off offset:-8
	s_add_i32 s0, s0, -4
	s_cmp_lg_u32 s0, 0
	s_waitcnt vmcnt(0)
	v_pk_mul_f32 v[6:7], v[0:1], v[6:7]
	v_pk_mul_f32 v[8:9], v[0:1], v[8:9]
	global_store_dwordx4 v[4:5], v[6:9], off offset:-8
	v_add_co_u32_e32 v4, vcc, 16, v4
	v_addc_co_u32_e32 v5, vcc, 0, v5, vcc
	s_cbranch_scc1 .LBB82_21
; %bb.22:
	s_cmp_lg_u32 s4, s8
	s_mov_b64 s[2:3], 0
	s_cselect_b64 s[0:1], -1, 0
	s_branch .LBB82_24
.LBB82_23:
	s_mov_b64 s[2:3], -1
	s_mov_b64 s[0:1], 0
                                        ; implicit-def: $sgpr4
.LBB82_24:
	s_and_b64 vcc, exec, s[2:3]
	s_cbranch_vccz .LBB82_26
; %bb.25:
	s_mov_b64 s[0:1], -1
	s_mov_b32 s4, 0
.LBB82_26:
	s_andn2_b64 vcc, exec, s[0:1]
	s_cbranch_vccnz .LBB82_29
; %bb.27:
	v_add_co_u32_e32 v2, vcc, s4, v2
	v_addc_co_u32_e32 v3, vcc, 0, v3, vcc
	v_lshlrev_b64 v[2:3], 2, v[2:3]
	v_mov_b32_e32 v1, s7
	v_add_co_u32_e32 v2, vcc, s6, v2
	s_sub_i32 s0, s8, s4
	v_addc_co_u32_e32 v3, vcc, v1, v3, vcc
.LBB82_28:                              ; =>This Inner Loop Header: Depth=1
	global_load_dword v1, v[2:3], off
	s_add_i32 s0, s0, -1
	s_cmp_lg_u32 s0, 0
	s_waitcnt vmcnt(0)
	v_mul_f32_e32 v1, v0, v1
	global_store_dword v[2:3], v1, off
	v_add_co_u32_e32 v2, vcc, 4, v2
	v_addc_co_u32_e32 v3, vcc, 0, v3, vcc
	s_cbranch_scc1 .LBB82_28
.LBB82_29:
	s_endpgm
	.section	.rodata,"a",@progbits
	.p2align	6, 0x0
	.amdhsa_kernel _ZN4vllm3moe17topkGatingSoftmaxIfLi8ELi256ELi8ELi32ELb0ELi0ELNS0_23SharedExpertScoringFuncE0EEEvPKT_PKbPfiPiS9_iiiiii
		.amdhsa_group_segment_fixed_size 0
		.amdhsa_private_segment_fixed_size 0
		.amdhsa_kernarg_size 72
		.amdhsa_user_sgpr_count 6
		.amdhsa_user_sgpr_private_segment_buffer 1
		.amdhsa_user_sgpr_dispatch_ptr 0
		.amdhsa_user_sgpr_queue_ptr 0
		.amdhsa_user_sgpr_kernarg_segment_ptr 1
		.amdhsa_user_sgpr_dispatch_id 0
		.amdhsa_user_sgpr_flat_scratch_init 0
		.amdhsa_user_sgpr_kernarg_preload_length 0
		.amdhsa_user_sgpr_kernarg_preload_offset 0
		.amdhsa_user_sgpr_private_segment_size 0
		.amdhsa_uses_dynamic_stack 0
		.amdhsa_system_sgpr_private_segment_wavefront_offset 0
		.amdhsa_system_sgpr_workgroup_id_x 1
		.amdhsa_system_sgpr_workgroup_id_y 0
		.amdhsa_system_sgpr_workgroup_id_z 0
		.amdhsa_system_sgpr_workgroup_info 0
		.amdhsa_system_vgpr_workitem_id 1
		.amdhsa_next_free_vgpr 35
		.amdhsa_next_free_sgpr 25
		.amdhsa_accum_offset 36
		.amdhsa_reserve_vcc 1
		.amdhsa_reserve_flat_scratch 0
		.amdhsa_float_round_mode_32 0
		.amdhsa_float_round_mode_16_64 0
		.amdhsa_float_denorm_mode_32 3
		.amdhsa_float_denorm_mode_16_64 3
		.amdhsa_dx10_clamp 1
		.amdhsa_ieee_mode 1
		.amdhsa_fp16_overflow 0
		.amdhsa_tg_split 0
		.amdhsa_exception_fp_ieee_invalid_op 0
		.amdhsa_exception_fp_denorm_src 0
		.amdhsa_exception_fp_ieee_div_zero 0
		.amdhsa_exception_fp_ieee_overflow 0
		.amdhsa_exception_fp_ieee_underflow 0
		.amdhsa_exception_fp_ieee_inexact 0
		.amdhsa_exception_int_div_zero 0
	.end_amdhsa_kernel
	.section	.text._ZN4vllm3moe17topkGatingSoftmaxIfLi8ELi256ELi8ELi32ELb0ELi0ELNS0_23SharedExpertScoringFuncE0EEEvPKT_PKbPfiPiS9_iiiiii,"axG",@progbits,_ZN4vllm3moe17topkGatingSoftmaxIfLi8ELi256ELi8ELi32ELb0ELi0ELNS0_23SharedExpertScoringFuncE0EEEvPKT_PKbPfiPiS9_iiiiii,comdat
.Lfunc_end82:
	.size	_ZN4vllm3moe17topkGatingSoftmaxIfLi8ELi256ELi8ELi32ELb0ELi0ELNS0_23SharedExpertScoringFuncE0EEEvPKT_PKbPfiPiS9_iiiiii, .Lfunc_end82-_ZN4vllm3moe17topkGatingSoftmaxIfLi8ELi256ELi8ELi32ELb0ELi0ELNS0_23SharedExpertScoringFuncE0EEEvPKT_PKbPfiPiS9_iiiiii
                                        ; -- End function
	.section	.AMDGPU.csdata,"",@progbits
; Kernel info:
; codeLenInByte = 3496
; NumSgprs: 29
; NumVgprs: 35
; NumAgprs: 0
; TotalNumVgprs: 35
; ScratchSize: 0
; MemoryBound: 0
; FloatMode: 240
; IeeeMode: 1
; LDSByteSize: 0 bytes/workgroup (compile time only)
; SGPRBlocks: 3
; VGPRBlocks: 4
; NumSGPRsForWavesPerEU: 29
; NumVGPRsForWavesPerEU: 35
; AccumOffset: 36
; Occupancy: 8
; WaveLimiterHint : 0
; COMPUTE_PGM_RSRC2:SCRATCH_EN: 0
; COMPUTE_PGM_RSRC2:USER_SGPR: 6
; COMPUTE_PGM_RSRC2:TRAP_HANDLER: 0
; COMPUTE_PGM_RSRC2:TGID_X_EN: 1
; COMPUTE_PGM_RSRC2:TGID_Y_EN: 0
; COMPUTE_PGM_RSRC2:TGID_Z_EN: 0
; COMPUTE_PGM_RSRC2:TIDIG_COMP_CNT: 1
; COMPUTE_PGM_RSRC3_GFX90A:ACCUM_OFFSET: 8
; COMPUTE_PGM_RSRC3_GFX90A:TG_SPLIT: 0
	.section	.text._ZN4vllm3moe17topkGatingSoftmaxIfLi8ELi256ELi8ELi32ELb1ELi1ELNS0_23SharedExpertScoringFuncE1EEEvPKT_PKbPfiPiS9_iiiiii,"axG",@progbits,_ZN4vllm3moe17topkGatingSoftmaxIfLi8ELi256ELi8ELi32ELb1ELi1ELNS0_23SharedExpertScoringFuncE1EEEvPKT_PKbPfiPiS9_iiiiii,comdat
	.protected	_ZN4vllm3moe17topkGatingSoftmaxIfLi8ELi256ELi8ELi32ELb1ELi1ELNS0_23SharedExpertScoringFuncE1EEEvPKT_PKbPfiPiS9_iiiiii ; -- Begin function _ZN4vllm3moe17topkGatingSoftmaxIfLi8ELi256ELi8ELi32ELb1ELi1ELNS0_23SharedExpertScoringFuncE1EEEvPKT_PKbPfiPiS9_iiiiii
	.globl	_ZN4vllm3moe17topkGatingSoftmaxIfLi8ELi256ELi8ELi32ELb1ELi1ELNS0_23SharedExpertScoringFuncE1EEEvPKT_PKbPfiPiS9_iiiiii
	.p2align	8
	.type	_ZN4vllm3moe17topkGatingSoftmaxIfLi8ELi256ELi8ELi32ELb1ELi1ELNS0_23SharedExpertScoringFuncE1EEEvPKT_PKbPfiPiS9_iiiiii,@function
_ZN4vllm3moe17topkGatingSoftmaxIfLi8ELi256ELi8ELi32ELb1ELi1ELNS0_23SharedExpertScoringFuncE1EEEvPKT_PKbPfiPiS9_iiiiii: ; @_ZN4vllm3moe17topkGatingSoftmaxIfLi8ELi256ELi8ELi32ELb1ELi1ELNS0_23SharedExpertScoringFuncE1EEEvPKT_PKbPfiPiS9_iiiiii
; %bb.0:
	s_load_dword s22, s[4:5], 0x18
	v_bfe_u32 v1, v0, 10, 10
	v_and_b32_e32 v0, 0x3ff, v0
	s_lshl_b32 s23, s6, 4
	v_lshlrev_b32_e32 v25, 1, v1
	v_lshrrev_b32_e32 v26, 5, v0
	v_add3_u32 v14, s23, v25, v26
	s_waitcnt lgkmcnt(0)
	v_cmp_gt_i32_e32 vcc, s22, v14
	s_and_saveexec_b64 s[0:1], vcc
	s_cbranch_execz .LBB83_29
; %bb.1:
	s_load_dwordx4 s[0:3], s[4:5], 0x0
	s_load_dwordx2 s[16:17], s[4:5], 0x10
	s_waitcnt lgkmcnt(0)
	s_cmp_eq_u64 s[2:3], 0
	s_cbranch_scc1 .LBB83_3
; %bb.2:
	v_ashrrev_i32_e32 v1, 31, v14
	v_mov_b32_e32 v3, s3
	v_add_co_u32_e32 v2, vcc, s2, v14
	v_addc_co_u32_e32 v3, vcc, v3, v1, vcc
	global_load_ubyte v1, v[2:3], off
	s_waitcnt vmcnt(0)
	v_and_b32_e32 v1, 1, v1
	v_cmp_eq_u32_e32 vcc, 1, v1
	s_xor_b64 s[2:3], vcc, -1
	s_orn2_b64 s[18:19], s[2:3], exec
	s_branch .LBB83_4
.LBB83_3:
	s_mov_b64 s[18:19], -1
.LBB83_4:
	s_load_dwordx2 s[20:21], s[4:5], 0x40
	s_load_dwordx4 s[8:11], s[4:5], 0x30
	v_mov_b32_e32 v1, s1
	v_and_b32_e32 v15, 31, v0
	v_lshlrev_b32_e32 v0, 5, v15
	s_waitcnt lgkmcnt(0)
	v_mul_lo_u32 v2, v14, s21
	v_ashrrev_i32_e32 v3, 31, v2
	v_lshlrev_b64 v[2:3], 2, v[2:3]
	v_add_co_u32_e32 v8, vcc, s0, v2
	v_addc_co_u32_e32 v9, vcc, v1, v3, vcc
	v_add_co_u32_e32 v10, vcc, v8, v0
	v_addc_co_u32_e32 v11, vcc, 0, v9, vcc
	global_load_dwordx4 v[0:3], v[10:11], off offset:16
	global_load_dwordx4 v[4:7], v[10:11], off
	v_lshlrev_b32_e32 v17, 3, v15
	v_mov_b32_e32 v16, 0
	v_cmp_eq_u32_e64 s[0:1], 0, v15
	s_and_saveexec_b64 s[2:3], s[0:1]
	s_cbranch_execz .LBB83_6
; %bb.5:
	global_load_dword v10, v[8:9], off offset:1024
	s_mov_b32 s6, 0xbfb8aa3b
	s_mov_b32 s7, 0x42ce8ed0
	;; [unrolled: 1-line block ×3, first 2 shown]
	v_mov_b32_e32 v11, 0x7f800000
	v_mul_lo_u32 v8, v14, s11
	v_add_u32_e32 v8, s8, v8
	v_mov_b32_e32 v18, s17
	s_waitcnt vmcnt(0)
	v_mul_f32_e32 v9, 0xbfb8aa3b, v10
	v_rndne_f32_e32 v12, v9
	v_fma_f32 v13, v10, s6, -v9
	v_sub_f32_e32 v9, v9, v12
	v_fmac_f32_e32 v13, 0xb2a5705f, v10
	v_add_f32_e32 v9, v9, v13
	v_cvt_i32_f32_e32 v12, v12
	v_exp_f32_e32 v13, v9
	v_cmp_nlt_f32_e32 vcc, s7, v10
	v_ashrrev_i32_e32 v9, 31, v8
	v_lshlrev_b64 v[8:9], 2, v[8:9]
	v_ldexp_f32 v12, v13, v12
	v_cndmask_b32_e32 v12, 0, v12, vcc
	v_cmp_ngt_f32_e32 vcc, s12, v10
	v_cndmask_b32_e32 v10, v11, v12, vcc
	v_add_f32_e32 v10, 1.0, v10
	v_div_scale_f32 v11, s[6:7], v10, v10, 1.0
	v_rcp_f32_e32 v12, v11
	v_div_scale_f32 v13, vcc, 1.0, v10, 1.0
	v_fma_f32 v19, -v11, v12, 1.0
	v_fmac_f32_e32 v12, v19, v12
	v_mul_f32_e32 v19, v13, v12
	v_fma_f32 v20, -v11, v19, v13
	v_fmac_f32_e32 v19, v20, v12
	v_fma_f32 v11, -v11, v19, v13
	v_div_fmas_f32 v11, v11, v12, v19
	v_add_co_u32_e32 v8, vcc, s16, v8
	v_div_fixup_f32 v10, v11, v10, 1.0
	v_addc_co_u32_e32 v9, vcc, v18, v9, vcc
	global_store_dword v[8:9], v10, off
.LBB83_6:
	s_or_b64 exec, exec, s[2:3]
	s_waitcnt vmcnt(0)
	v_cmp_lt_f32_e32 vcc, v4, v5
	v_or_b32_e32 v18, 1, v17
	v_cndmask_b32_e32 v9, v4, v5, vcc
	v_cndmask_b32_e32 v8, v17, v18, vcc
	v_cmp_lt_f32_e32 vcc, v9, v6
	v_or_b32_e32 v19, 2, v17
	v_cndmask_b32_e32 v9, v9, v6, vcc
	v_cndmask_b32_e32 v8, v8, v19, vcc
	;; [unrolled: 4-line block ×6, first 2 shown]
	v_or_b32_e32 v24, 7, v17
	v_cmp_lt_f32_e32 vcc, v9, v3
	v_cndmask_b32_e32 v8, v8, v24, vcc
	v_cndmask_b32_e32 v9, v9, v3, vcc
	s_nop 0
	v_mov_b32_dpp v10, v8 quad_perm:[1,0,3,2] row_mask:0xf bank_mask:0xf
	v_mov_b32_dpp v11, v9 quad_perm:[1,0,3,2] row_mask:0xf bank_mask:0xf
	v_cmp_eq_f32_e64 s[2:3], v9, v11
	v_cmp_lt_i32_e64 s[6:7], v10, v8
	v_cmp_lt_f32_e32 vcc, v9, v11
	s_and_b64 s[2:3], s[2:3], s[6:7]
	s_or_b64 vcc, vcc, s[2:3]
	v_cndmask_b32_e32 v9, v9, v11, vcc
	v_cndmask_b32_e32 v8, v8, v10, vcc
	s_nop 0
	v_mov_b32_dpp v11, v9 quad_perm:[2,3,0,1] row_mask:0xf bank_mask:0xf
	v_mov_b32_dpp v10, v8 quad_perm:[2,3,0,1] row_mask:0xf bank_mask:0xf
	v_cmp_eq_f32_e64 s[2:3], v9, v11
	v_cmp_lt_i32_e64 s[6:7], v10, v8
	v_cmp_lt_f32_e32 vcc, v9, v11
	s_and_b64 s[2:3], s[2:3], s[6:7]
	s_or_b64 vcc, vcc, s[2:3]
	v_cndmask_b32_e32 v9, v9, v11, vcc
	v_cndmask_b32_e32 v8, v8, v10, vcc
	s_nop 0
	v_mov_b32_dpp v11, v9 row_half_mirror row_mask:0xf bank_mask:0xf
	v_mov_b32_dpp v10, v8 row_half_mirror row_mask:0xf bank_mask:0xf
	v_cmp_eq_f32_e64 s[2:3], v9, v11
	v_cmp_lt_i32_e64 s[6:7], v10, v8
	v_cmp_lt_f32_e32 vcc, v9, v11
	s_and_b64 s[2:3], s[2:3], s[6:7]
	s_or_b64 vcc, vcc, s[2:3]
	v_cndmask_b32_e32 v9, v9, v11, vcc
	v_cndmask_b32_e32 v8, v8, v10, vcc
	s_nop 0
	v_mov_b32_dpp v11, v9 row_mirror row_mask:0xf bank_mask:0xf
	v_mov_b32_dpp v10, v8 row_mirror row_mask:0xf bank_mask:0xf
	v_cmp_eq_f32_e64 s[2:3], v9, v11
	v_cmp_lt_i32_e64 s[6:7], v10, v8
	v_cmp_lt_f32_e32 vcc, v9, v11
	s_and_b64 s[2:3], s[2:3], s[6:7]
	s_or_b64 vcc, vcc, s[2:3]
	v_cndmask_b32_e32 v9, v9, v11, vcc
	v_cndmask_b32_e32 v8, v8, v10, vcc
	s_nop 0
	v_mov_b32_dpp v11, v9 row_bcast:15 row_mask:0xa bank_mask:0xf
	v_mov_b32_dpp v10, v8 row_bcast:15 row_mask:0xa bank_mask:0xf
	v_cmp_eq_f32_e32 vcc, v9, v11
	v_cmp_lt_i32_e64 s[2:3], v10, v8
	s_and_b64 vcc, vcc, s[2:3]
	v_cmp_lt_f32_e64 s[2:3], v9, v11
	v_cndmask_b32_e32 v12, v9, v11, vcc
	s_or_b64 vcc, s[2:3], vcc
	v_cndmask_b32_e32 v8, v8, v10, vcc
	v_mbcnt_lo_u32_b32 v10, -1, 0
	v_cndmask_b32_e64 v9, v12, v11, s[2:3]
	v_mbcnt_hi_u32_b32 v10, -1, v10
	v_mov_b32_e32 v11, 0x7c
	v_lshl_or_b32 v27, v10, 2, v11
	ds_bpermute_b32 v29, v27, v8
	ds_bpermute_b32 v28, v27, v9
	s_cmp_gt_i32 s8, 0
	s_cselect_b64 s[6:7], -1, 0
	s_and_b64 vcc, exec, s[6:7]
	s_cbranch_vccz .LBB83_18
; %bb.7:
	s_load_dwordx4 s[12:15], s[4:5], 0x20
	v_mul_lo_u32 v12, v14, s11
	v_mul_lo_u32 v10, v14, s20
	;; [unrolled: 1-line block ×3, first 2 shown]
	v_mov_b32_e32 v16, 0
	s_and_saveexec_b64 s[4:5], s[0:1]
	s_cbranch_execz .LBB83_9
; %bb.8:
	s_waitcnt lgkmcnt(0)
	v_sub_f32_e32 v9, v28, v28
	v_mul_f32_e32 v11, 0x3fb8aa3b, v9
	s_mov_b32 s2, 0x3fb8aa3b
	v_rndne_f32_e32 v13, v11
	v_sub_f32_e32 v16, v11, v13
	v_fma_f32 v11, v9, s2, -v11
	v_fmac_f32_e32 v11, 0x32a5705f, v9
	v_add_f32_e32 v11, v16, v11
	v_exp_f32_e32 v11, v11
	v_cvt_i32_f32_e32 v13, v13
	v_cmp_le_i32_e32 vcc, s9, v29
	v_cmp_gt_i32_e64 s[2:3], s10, v29
	s_mov_b32 s20, 0xc2ce8ed0
	s_and_b64 s[2:3], vcc, s[2:3]
	v_ldexp_f32 v11, v11, v13
	v_cmp_ngt_f32_e32 vcc, s20, v9
	s_mov_b32 s20, 0x42b17218
	v_cndmask_b32_e32 v11, 0, v11, vcc
	v_mov_b32_e32 v13, 0x7f800000
	v_cmp_nlt_f32_e32 vcc, s20, v9
	v_cndmask_b32_e32 v16, v13, v11, vcc
	v_ashrrev_i32_e32 v13, 31, v12
	v_lshlrev_b64 v[30:31], 2, v[12:13]
	v_mov_b32_e32 v9, s17
	v_add_co_u32_e32 v30, vcc, s16, v30
	v_addc_co_u32_e32 v31, vcc, v9, v31, vcc
	v_subrev_u32_e32 v9, s9, v29
	v_mov_b32_e32 v11, 0x100
	s_and_b64 vcc, s[18:19], s[2:3]
	v_cndmask_b32_e32 v9, v11, v9, vcc
	v_ashrrev_i32_e32 v11, 31, v10
	global_store_dword v[30:31], v16, off
	v_lshlrev_b64 v[30:31], 2, v[10:11]
	v_mov_b32_e32 v11, s13
	v_add_co_u32_e32 v30, vcc, s12, v30
	v_addc_co_u32_e32 v31, vcc, v11, v31, vcc
	global_store_dword v[30:31], v9, off
	v_ashrrev_i32_e32 v9, 31, v8
	v_lshlrev_b64 v[30:31], 2, v[8:9]
	v_mov_b32_e32 v9, s15
	v_add_co_u32_e32 v30, vcc, s14, v30
	v_addc_co_u32_e32 v31, vcc, v9, v31, vcc
	global_store_dword v[30:31], v14, off
.LBB83_9:
	s_or_b64 exec, exec, s[4:5]
	s_waitcnt lgkmcnt(0)
	v_ashrrev_i32_e32 v9, 31, v29
	v_lshrrev_b32_e32 v11, 29, v9
	v_add_u32_e32 v13, v29, v11
	v_ashrrev_i32_e32 v11, 3, v13
	v_ashrrev_i32_e32 v13, 31, v13
	v_lshrrev_b32_e32 v13, 27, v13
	v_add_u32_e32 v13, v11, v13
	v_and_b32_e32 v13, 0xffffffe0, v13
	v_sub_u32_e32 v13, v11, v13
	v_cmp_eq_u32_e32 vcc, v15, v13
	s_and_saveexec_b64 s[2:3], vcc
	s_cbranch_execz .LBB83_11
; %bb.10:
	v_add_u32_sdwa v9, v29, v9 dst_sel:DWORD dst_unused:UNUSED_PAD src0_sel:DWORD src1_sel:BYTE_3
	v_lshlrev_b32_e32 v11, 3, v11
	v_ashrrev_i32_e32 v9, 8, v9
	v_sub_u32_e32 v11, v29, v11
	v_lshl_add_u32 v9, v9, 3, v11
	v_mov_b32_e32 v11, 0xff800000
	v_cmp_ne_u32_e32 vcc, 7, v9
	v_cndmask_b32_e32 v3, v11, v3, vcc
	v_cmp_ne_u32_e32 vcc, 6, v9
	v_cndmask_b32_e32 v2, v11, v2, vcc
	;; [unrolled: 2-line block ×8, first 2 shown]
.LBB83_11:
	s_or_b64 exec, exec, s[2:3]
	s_cmp_eq_u32 s8, 1
	s_cbranch_scc1 .LBB83_18
; %bb.12:
	s_add_i32 s23, s23, s22
	s_add_i32 s20, s8, -1
	v_add3_u32 v25, s23, v26, v25
	v_add_u32_e32 v8, 1, v8
	v_add_u32_e32 v10, 1, v10
	;; [unrolled: 1-line block ×3, first 2 shown]
	s_mov_b32 s21, 0x3fb8aa3b
	s_mov_b32 s23, 0xc2ce8ed0
	;; [unrolled: 1-line block ×3, first 2 shown]
	v_mov_b32_e32 v26, 0x7f800000
	v_mov_b32_e32 v29, 0x100
	;; [unrolled: 1-line block ×3, first 2 shown]
	s_branch .LBB83_14
.LBB83_13:                              ;   in Loop: Header=BB83_14 Depth=1
	s_or_b64 exec, exec, s[2:3]
	s_add_i32 s20, s20, -1
	v_add_u32_e32 v25, s22, v25
	v_add_u32_e32 v8, 1, v8
	;; [unrolled: 1-line block ×3, first 2 shown]
	s_cmp_eq_u32 s20, 0
	v_add_u32_e32 v12, 1, v12
	s_cbranch_scc1 .LBB83_18
.LBB83_14:                              ; =>This Inner Loop Header: Depth=1
	v_cmp_gt_f32_e32 vcc, v5, v4
	v_cndmask_b32_e32 v11, v4, v5, vcc
	v_cndmask_b32_e32 v9, v17, v18, vcc
	v_cmp_gt_f32_e32 vcc, v6, v11
	v_cndmask_b32_e32 v11, v11, v6, vcc
	v_cndmask_b32_e32 v9, v9, v19, vcc
	;; [unrolled: 3-line block ×7, first 2 shown]
	s_nop 0
	v_mov_b32_dpp v13, v9 quad_perm:[1,0,3,2] row_mask:0xf bank_mask:0xf
	v_mov_b32_dpp v31, v11 quad_perm:[1,0,3,2] row_mask:0xf bank_mask:0xf
	v_cmp_eq_f32_e64 s[2:3], v11, v31
	v_cmp_lt_i32_e64 s[4:5], v13, v9
	v_cmp_lt_f32_e32 vcc, v11, v31
	s_and_b64 s[2:3], s[2:3], s[4:5]
	s_or_b64 vcc, vcc, s[2:3]
	v_cndmask_b32_e32 v11, v11, v31, vcc
	v_cndmask_b32_e32 v9, v9, v13, vcc
	s_nop 0
	v_mov_b32_dpp v31, v11 quad_perm:[2,3,0,1] row_mask:0xf bank_mask:0xf
	v_mov_b32_dpp v13, v9 quad_perm:[2,3,0,1] row_mask:0xf bank_mask:0xf
	v_cmp_eq_f32_e64 s[2:3], v11, v31
	v_cmp_lt_i32_e64 s[4:5], v13, v9
	v_cmp_lt_f32_e32 vcc, v11, v31
	s_and_b64 s[2:3], s[2:3], s[4:5]
	s_or_b64 vcc, vcc, s[2:3]
	v_cndmask_b32_e32 v11, v11, v31, vcc
	v_cndmask_b32_e32 v9, v9, v13, vcc
	s_nop 0
	v_mov_b32_dpp v31, v11 row_half_mirror row_mask:0xf bank_mask:0xf
	v_mov_b32_dpp v13, v9 row_half_mirror row_mask:0xf bank_mask:0xf
	v_cmp_eq_f32_e64 s[2:3], v11, v31
	v_cmp_lt_i32_e64 s[4:5], v13, v9
	v_cmp_lt_f32_e32 vcc, v11, v31
	s_and_b64 s[2:3], s[2:3], s[4:5]
	s_or_b64 vcc, vcc, s[2:3]
	v_cndmask_b32_e32 v11, v11, v31, vcc
	v_cndmask_b32_e32 v9, v9, v13, vcc
	s_nop 0
	v_mov_b32_dpp v31, v11 row_mirror row_mask:0xf bank_mask:0xf
	v_mov_b32_dpp v13, v9 row_mirror row_mask:0xf bank_mask:0xf
	v_cmp_eq_f32_e64 s[2:3], v11, v31
	v_cmp_lt_i32_e64 s[4:5], v13, v9
	v_cmp_lt_f32_e32 vcc, v11, v31
	s_and_b64 s[2:3], s[2:3], s[4:5]
	s_or_b64 vcc, vcc, s[2:3]
	v_cndmask_b32_e32 v11, v11, v31, vcc
	v_cndmask_b32_e32 v9, v9, v13, vcc
	s_nop 0
	v_mov_b32_dpp v31, v11 row_bcast:15 row_mask:0xa bank_mask:0xf
	v_mov_b32_dpp v13, v9 row_bcast:15 row_mask:0xa bank_mask:0xf
	v_cmp_eq_f32_e32 vcc, v11, v31
	v_cmp_lt_i32_e64 s[2:3], v13, v9
	s_and_b64 vcc, vcc, s[2:3]
	v_cmp_lt_f32_e64 s[2:3], v11, v31
	v_cndmask_b32_e32 v32, v11, v31, vcc
	s_or_b64 vcc, s[2:3], vcc
	v_cndmask_b32_e64 v11, v32, v31, s[2:3]
	v_cndmask_b32_e32 v9, v9, v13, vcc
	ds_bpermute_b32 v31, v27, v9
	ds_bpermute_b32 v9, v27, v11
	s_and_saveexec_b64 s[4:5], s[0:1]
	s_cbranch_execz .LBB83_16
; %bb.15:                               ;   in Loop: Header=BB83_14 Depth=1
	s_waitcnt lgkmcnt(0)
	v_sub_f32_e32 v9, v9, v28
	v_mul_f32_e32 v11, 0x3fb8aa3b, v9
	v_fma_f32 v13, v9, s21, -v11
	v_rndne_f32_e32 v32, v11
	v_fmac_f32_e32 v13, 0x32a5705f, v9
	v_sub_f32_e32 v11, v11, v32
	v_add_f32_e32 v11, v11, v13
	v_exp_f32_e32 v11, v11
	v_cvt_i32_f32_e32 v13, v32
	v_cmp_le_i32_e32 vcc, s9, v31
	v_cmp_gt_i32_e64 s[2:3], s10, v31
	s_and_b64 s[2:3], vcc, s[2:3]
	v_ldexp_f32 v11, v11, v13
	v_cmp_ngt_f32_e32 vcc, s23, v9
	v_ashrrev_i32_e32 v13, 31, v12
	v_cndmask_b32_e32 v11, 0, v11, vcc
	v_cmp_nlt_f32_e32 vcc, s24, v9
	v_lshlrev_b64 v[32:33], 2, v[12:13]
	v_cndmask_b32_e32 v34, v26, v11, vcc
	v_mov_b32_e32 v9, s17
	v_add_co_u32_e32 v32, vcc, s16, v32
	v_addc_co_u32_e32 v33, vcc, v9, v33, vcc
	v_ashrrev_i32_e32 v11, 31, v10
	global_store_dword v[32:33], v34, off
	v_subrev_u32_e32 v9, s9, v31
	s_and_b64 vcc, s[18:19], s[2:3]
	v_lshlrev_b64 v[32:33], 2, v[10:11]
	v_cndmask_b32_e32 v9, v29, v9, vcc
	v_mov_b32_e32 v11, s13
	v_add_co_u32_e32 v32, vcc, s12, v32
	v_addc_co_u32_e32 v33, vcc, v11, v33, vcc
	global_store_dword v[32:33], v9, off
	v_ashrrev_i32_e32 v9, 31, v8
	v_lshlrev_b64 v[32:33], 2, v[8:9]
	v_mov_b32_e32 v9, s15
	v_add_co_u32_e32 v32, vcc, s14, v32
	v_addc_co_u32_e32 v33, vcc, v9, v33, vcc
	v_add_f32_e32 v16, v16, v34
	global_store_dword v[32:33], v25, off
.LBB83_16:                              ;   in Loop: Header=BB83_14 Depth=1
	s_or_b64 exec, exec, s[4:5]
	s_waitcnt lgkmcnt(0)
	v_ashrrev_i32_e32 v9, 31, v31
	v_lshrrev_b32_e32 v11, 29, v9
	v_add_u32_e32 v13, v31, v11
	v_ashrrev_i32_e32 v11, 3, v13
	v_ashrrev_i32_e32 v13, 31, v13
	v_lshrrev_b32_e32 v13, 27, v13
	v_add_u32_e32 v13, v11, v13
	v_and_b32_e32 v13, 0xffffffe0, v13
	v_sub_u32_e32 v13, v11, v13
	v_cmp_eq_u32_e32 vcc, v15, v13
	s_and_saveexec_b64 s[2:3], vcc
	s_cbranch_execz .LBB83_13
; %bb.17:                               ;   in Loop: Header=BB83_14 Depth=1
	v_add_u32_sdwa v9, v31, v9 dst_sel:DWORD dst_unused:UNUSED_PAD src0_sel:DWORD src1_sel:BYTE_3
	v_lshlrev_b32_e32 v11, 3, v11
	v_ashrrev_i32_e32 v9, 8, v9
	v_sub_u32_e32 v11, v31, v11
	v_lshl_add_u32 v9, v9, 3, v11
	v_cmp_ne_u32_e32 vcc, 7, v9
	v_cndmask_b32_e32 v3, v30, v3, vcc
	v_cmp_ne_u32_e32 vcc, 6, v9
	v_cndmask_b32_e32 v2, v30, v2, vcc
	;; [unrolled: 2-line block ×8, first 2 shown]
	s_branch .LBB83_13
.LBB83_18:
	v_cmp_neq_f32_e32 vcc, 0, v16
	s_and_b64 s[0:1], s[0:1], vcc
	s_and_b64 exec, exec, s[0:1]
	s_cbranch_execz .LBB83_29
; %bb.19:
	s_andn2_b64 vcc, exec, s[6:7]
	s_cbranch_vccnz .LBB83_29
; %bb.20:
	v_div_scale_f32 v0, s[0:1], v16, v16, 1.0
	v_rcp_f32_e32 v1, v0
	v_div_scale_f32 v2, vcc, 1.0, v16, 1.0
	s_cmp_gt_u32 s8, 3
	v_fma_f32 v3, -v0, v1, 1.0
	v_fmac_f32_e32 v1, v3, v1
	v_mul_f32_e32 v3, v2, v1
	v_fma_f32 v4, -v0, v3, v2
	v_fmac_f32_e32 v3, v4, v1
	v_fma_f32 v0, -v0, v3, v2
	v_div_fmas_f32 v0, v0, v1, v3
	v_mul_lo_u32 v2, v14, s11
	v_div_fixup_f32 v0, v0, v16, 1.0
	v_ashrrev_i32_e32 v3, 31, v2
	s_cbranch_scc0 .LBB83_24
; %bb.21:
	v_lshlrev_b64 v[4:5], 2, v[2:3]
	v_mov_b32_e32 v6, s17
	v_add_co_u32_e32 v4, vcc, s16, v4
	v_addc_co_u32_e32 v5, vcc, v5, v6, vcc
	s_and_b32 s4, s8, 0x7ffffffc
	v_add_co_u32_e32 v4, vcc, 8, v4
	v_mov_b32_e32 v1, v0
	v_addc_co_u32_e32 v5, vcc, 0, v5, vcc
	s_mov_b32 s0, s4
.LBB83_22:                              ; =>This Inner Loop Header: Depth=1
	global_load_dwordx4 v[6:9], v[4:5], off offset:-8
	s_add_i32 s0, s0, -4
	s_cmp_lg_u32 s0, 0
	s_waitcnt vmcnt(0)
	v_pk_mul_f32 v[6:7], v[0:1], v[6:7]
	v_pk_mul_f32 v[8:9], v[0:1], v[8:9]
	global_store_dwordx4 v[4:5], v[6:9], off offset:-8
	v_add_co_u32_e32 v4, vcc, 16, v4
	v_addc_co_u32_e32 v5, vcc, 0, v5, vcc
	s_cbranch_scc1 .LBB83_22
; %bb.23:
	s_cmp_lg_u32 s4, s8
	s_cselect_b64 s[0:1], -1, 0
	s_branch .LBB83_26
.LBB83_24:
	s_mov_b64 s[0:1], 0
                                        ; implicit-def: $sgpr4
	s_cbranch_execz .LBB83_26
; %bb.25:
	s_mov_b64 s[0:1], -1
	s_mov_b32 s4, 0
.LBB83_26:
	s_andn2_b64 vcc, exec, s[0:1]
	s_cbranch_vccnz .LBB83_29
; %bb.27:
	v_add_co_u32_e32 v2, vcc, s4, v2
	v_addc_co_u32_e32 v3, vcc, 0, v3, vcc
	v_lshlrev_b64 v[2:3], 2, v[2:3]
	v_mov_b32_e32 v1, s17
	v_add_co_u32_e32 v2, vcc, s16, v2
	s_sub_i32 s0, s8, s4
	v_addc_co_u32_e32 v3, vcc, v1, v3, vcc
.LBB83_28:                              ; =>This Inner Loop Header: Depth=1
	global_load_dword v1, v[2:3], off
	s_add_i32 s0, s0, -1
	s_cmp_lg_u32 s0, 0
	s_waitcnt vmcnt(0)
	v_mul_f32_e32 v1, v0, v1
	global_store_dword v[2:3], v1, off
	v_add_co_u32_e32 v2, vcc, 4, v2
	v_addc_co_u32_e32 v3, vcc, 0, v3, vcc
	s_cbranch_scc1 .LBB83_28
.LBB83_29:
	s_endpgm
	.section	.rodata,"a",@progbits
	.p2align	6, 0x0
	.amdhsa_kernel _ZN4vllm3moe17topkGatingSoftmaxIfLi8ELi256ELi8ELi32ELb1ELi1ELNS0_23SharedExpertScoringFuncE1EEEvPKT_PKbPfiPiS9_iiiiii
		.amdhsa_group_segment_fixed_size 0
		.amdhsa_private_segment_fixed_size 0
		.amdhsa_kernarg_size 72
		.amdhsa_user_sgpr_count 6
		.amdhsa_user_sgpr_private_segment_buffer 1
		.amdhsa_user_sgpr_dispatch_ptr 0
		.amdhsa_user_sgpr_queue_ptr 0
		.amdhsa_user_sgpr_kernarg_segment_ptr 1
		.amdhsa_user_sgpr_dispatch_id 0
		.amdhsa_user_sgpr_flat_scratch_init 0
		.amdhsa_user_sgpr_kernarg_preload_length 0
		.amdhsa_user_sgpr_kernarg_preload_offset 0
		.amdhsa_user_sgpr_private_segment_size 0
		.amdhsa_uses_dynamic_stack 0
		.amdhsa_system_sgpr_private_segment_wavefront_offset 0
		.amdhsa_system_sgpr_workgroup_id_x 1
		.amdhsa_system_sgpr_workgroup_id_y 0
		.amdhsa_system_sgpr_workgroup_id_z 0
		.amdhsa_system_sgpr_workgroup_info 0
		.amdhsa_system_vgpr_workitem_id 1
		.amdhsa_next_free_vgpr 35
		.amdhsa_next_free_sgpr 25
		.amdhsa_accum_offset 36
		.amdhsa_reserve_vcc 1
		.amdhsa_reserve_flat_scratch 0
		.amdhsa_float_round_mode_32 0
		.amdhsa_float_round_mode_16_64 0
		.amdhsa_float_denorm_mode_32 3
		.amdhsa_float_denorm_mode_16_64 3
		.amdhsa_dx10_clamp 1
		.amdhsa_ieee_mode 1
		.amdhsa_fp16_overflow 0
		.amdhsa_tg_split 0
		.amdhsa_exception_fp_ieee_invalid_op 0
		.amdhsa_exception_fp_denorm_src 0
		.amdhsa_exception_fp_ieee_div_zero 0
		.amdhsa_exception_fp_ieee_overflow 0
		.amdhsa_exception_fp_ieee_underflow 0
		.amdhsa_exception_fp_ieee_inexact 0
		.amdhsa_exception_int_div_zero 0
	.end_amdhsa_kernel
	.section	.text._ZN4vllm3moe17topkGatingSoftmaxIfLi8ELi256ELi8ELi32ELb1ELi1ELNS0_23SharedExpertScoringFuncE1EEEvPKT_PKbPfiPiS9_iiiiii,"axG",@progbits,_ZN4vllm3moe17topkGatingSoftmaxIfLi8ELi256ELi8ELi32ELb1ELi1ELNS0_23SharedExpertScoringFuncE1EEEvPKT_PKbPfiPiS9_iiiiii,comdat
.Lfunc_end83:
	.size	_ZN4vllm3moe17topkGatingSoftmaxIfLi8ELi256ELi8ELi32ELb1ELi1ELNS0_23SharedExpertScoringFuncE1EEEvPKT_PKbPfiPiS9_iiiiii, .Lfunc_end83-_ZN4vllm3moe17topkGatingSoftmaxIfLi8ELi256ELi8ELi32ELb1ELi1ELNS0_23SharedExpertScoringFuncE1EEEvPKT_PKbPfiPiS9_iiiiii
                                        ; -- End function
	.section	.AMDGPU.csdata,"",@progbits
; Kernel info:
; codeLenInByte = 2608
; NumSgprs: 29
; NumVgprs: 35
; NumAgprs: 0
; TotalNumVgprs: 35
; ScratchSize: 0
; MemoryBound: 0
; FloatMode: 240
; IeeeMode: 1
; LDSByteSize: 0 bytes/workgroup (compile time only)
; SGPRBlocks: 3
; VGPRBlocks: 4
; NumSGPRsForWavesPerEU: 29
; NumVGPRsForWavesPerEU: 35
; AccumOffset: 36
; Occupancy: 8
; WaveLimiterHint : 0
; COMPUTE_PGM_RSRC2:SCRATCH_EN: 0
; COMPUTE_PGM_RSRC2:USER_SGPR: 6
; COMPUTE_PGM_RSRC2:TRAP_HANDLER: 0
; COMPUTE_PGM_RSRC2:TGID_X_EN: 1
; COMPUTE_PGM_RSRC2:TGID_Y_EN: 0
; COMPUTE_PGM_RSRC2:TGID_Z_EN: 0
; COMPUTE_PGM_RSRC2:TIDIG_COMP_CNT: 1
; COMPUTE_PGM_RSRC3_GFX90A:ACCUM_OFFSET: 8
; COMPUTE_PGM_RSRC3_GFX90A:TG_SPLIT: 0
	.section	.text._ZN4vllm3moe17topkGatingSoftmaxIfLi8ELi256ELi8ELi32ELb0ELi1ELNS0_23SharedExpertScoringFuncE1EEEvPKT_PKbPfiPiS9_iiiiii,"axG",@progbits,_ZN4vllm3moe17topkGatingSoftmaxIfLi8ELi256ELi8ELi32ELb0ELi1ELNS0_23SharedExpertScoringFuncE1EEEvPKT_PKbPfiPiS9_iiiiii,comdat
	.protected	_ZN4vllm3moe17topkGatingSoftmaxIfLi8ELi256ELi8ELi32ELb0ELi1ELNS0_23SharedExpertScoringFuncE1EEEvPKT_PKbPfiPiS9_iiiiii ; -- Begin function _ZN4vllm3moe17topkGatingSoftmaxIfLi8ELi256ELi8ELi32ELb0ELi1ELNS0_23SharedExpertScoringFuncE1EEEvPKT_PKbPfiPiS9_iiiiii
	.globl	_ZN4vllm3moe17topkGatingSoftmaxIfLi8ELi256ELi8ELi32ELb0ELi1ELNS0_23SharedExpertScoringFuncE1EEEvPKT_PKbPfiPiS9_iiiiii
	.p2align	8
	.type	_ZN4vllm3moe17topkGatingSoftmaxIfLi8ELi256ELi8ELi32ELb0ELi1ELNS0_23SharedExpertScoringFuncE1EEEvPKT_PKbPfiPiS9_iiiiii,@function
_ZN4vllm3moe17topkGatingSoftmaxIfLi8ELi256ELi8ELi32ELb0ELi1ELNS0_23SharedExpertScoringFuncE1EEEvPKT_PKbPfiPiS9_iiiiii: ; @_ZN4vllm3moe17topkGatingSoftmaxIfLi8ELi256ELi8ELi32ELb0ELi1ELNS0_23SharedExpertScoringFuncE1EEEvPKT_PKbPfiPiS9_iiiiii
; %bb.0:
	s_load_dword s22, s[4:5], 0x18
	v_bfe_u32 v1, v0, 10, 10
	v_and_b32_e32 v0, 0x3ff, v0
	s_lshl_b32 s23, s6, 4
	v_lshlrev_b32_e32 v27, 1, v1
	v_lshrrev_b32_e32 v28, 5, v0
	v_add3_u32 v14, s23, v27, v28
	s_waitcnt lgkmcnt(0)
	v_cmp_gt_i32_e32 vcc, s22, v14
	s_and_saveexec_b64 s[0:1], vcc
	s_cbranch_execz .LBB84_31
; %bb.1:
	s_load_dwordx4 s[0:3], s[4:5], 0x0
	s_load_dwordx2 s[16:17], s[4:5], 0x10
	s_waitcnt lgkmcnt(0)
	s_cmp_eq_u64 s[2:3], 0
	s_cbranch_scc1 .LBB84_3
; %bb.2:
	v_ashrrev_i32_e32 v1, 31, v14
	v_mov_b32_e32 v3, s3
	v_add_co_u32_e32 v2, vcc, s2, v14
	v_addc_co_u32_e32 v3, vcc, v3, v1, vcc
	global_load_ubyte v1, v[2:3], off
	s_waitcnt vmcnt(0)
	v_and_b32_e32 v1, 1, v1
	v_cmp_eq_u32_e32 vcc, 1, v1
	s_xor_b64 s[2:3], vcc, -1
	s_orn2_b64 s[18:19], s[2:3], exec
	s_branch .LBB84_4
.LBB84_3:
	s_mov_b64 s[18:19], -1
.LBB84_4:
	s_load_dwordx2 s[20:21], s[4:5], 0x40
	s_load_dwordx4 s[8:11], s[4:5], 0x30
	v_mov_b32_e32 v1, s1
	v_and_b32_e32 v16, 31, v0
	v_lshlrev_b32_e32 v0, 5, v16
	s_waitcnt lgkmcnt(0)
	v_mul_lo_u32 v2, v14, s21
	v_ashrrev_i32_e32 v3, 31, v2
	v_lshlrev_b64 v[2:3], 2, v[2:3]
	v_add_co_u32_e32 v8, vcc, s0, v2
	v_addc_co_u32_e32 v9, vcc, v1, v3, vcc
	v_add_co_u32_e32 v10, vcc, v8, v0
	v_addc_co_u32_e32 v11, vcc, 0, v9, vcc
	global_load_dwordx4 v[0:3], v[10:11], off offset:16
	global_load_dwordx4 v[4:7], v[10:11], off
	v_lshlrev_b32_e32 v18, 3, v16
	v_mov_b32_e32 v15, 0
	v_cmp_eq_u32_e64 s[0:1], 0, v16
	s_and_saveexec_b64 s[2:3], s[0:1]
	s_cbranch_execz .LBB84_6
; %bb.5:
	global_load_dword v10, v[8:9], off offset:1024
	s_mov_b32 s6, 0xbfb8aa3b
	s_mov_b32 s7, 0x42ce8ed0
	;; [unrolled: 1-line block ×3, first 2 shown]
	v_mov_b32_e32 v11, 0x7f800000
	v_mul_lo_u32 v8, v14, s11
	v_add_u32_e32 v8, s8, v8
	v_mov_b32_e32 v17, s17
	s_waitcnt vmcnt(0)
	v_mul_f32_e32 v9, 0xbfb8aa3b, v10
	v_rndne_f32_e32 v12, v9
	v_fma_f32 v13, v10, s6, -v9
	v_sub_f32_e32 v9, v9, v12
	v_fmac_f32_e32 v13, 0xb2a5705f, v10
	v_add_f32_e32 v9, v9, v13
	v_cvt_i32_f32_e32 v12, v12
	v_exp_f32_e32 v13, v9
	v_cmp_nlt_f32_e32 vcc, s7, v10
	v_ashrrev_i32_e32 v9, 31, v8
	v_lshlrev_b64 v[8:9], 2, v[8:9]
	v_ldexp_f32 v12, v13, v12
	v_cndmask_b32_e32 v12, 0, v12, vcc
	v_cmp_ngt_f32_e32 vcc, s12, v10
	v_cndmask_b32_e32 v10, v11, v12, vcc
	v_add_f32_e32 v10, 1.0, v10
	v_div_scale_f32 v11, s[6:7], v10, v10, 1.0
	v_rcp_f32_e32 v12, v11
	v_div_scale_f32 v13, vcc, 1.0, v10, 1.0
	v_fma_f32 v19, -v11, v12, 1.0
	v_fmac_f32_e32 v12, v19, v12
	v_mul_f32_e32 v19, v13, v12
	v_fma_f32 v20, -v11, v19, v13
	v_fmac_f32_e32 v19, v20, v12
	v_fma_f32 v11, -v11, v19, v13
	v_div_fmas_f32 v11, v11, v12, v19
	v_add_co_u32_e32 v8, vcc, s16, v8
	v_div_fixup_f32 v10, v11, v10, 1.0
	v_addc_co_u32_e32 v9, vcc, v17, v9, vcc
	global_store_dword v[8:9], v10, off
.LBB84_6:
	s_or_b64 exec, exec, s[2:3]
	s_waitcnt vmcnt(0)
	v_cmp_lt_f32_e32 vcc, v4, v5
	v_or_b32_e32 v20, 1, v18
	v_cndmask_b32_e32 v9, v4, v5, vcc
	v_cndmask_b32_e32 v8, v18, v20, vcc
	v_cmp_lt_f32_e32 vcc, v9, v6
	v_or_b32_e32 v21, 2, v18
	v_cndmask_b32_e32 v9, v9, v6, vcc
	v_cndmask_b32_e32 v8, v8, v21, vcc
	;; [unrolled: 4-line block ×6, first 2 shown]
	v_or_b32_e32 v26, 7, v18
	v_cmp_lt_f32_e32 vcc, v9, v3
	v_cndmask_b32_e32 v8, v8, v26, vcc
	v_cndmask_b32_e32 v9, v9, v3, vcc
	s_nop 0
	v_mov_b32_dpp v10, v8 quad_perm:[1,0,3,2] row_mask:0xf bank_mask:0xf
	v_mov_b32_dpp v11, v9 quad_perm:[1,0,3,2] row_mask:0xf bank_mask:0xf
	v_cmp_eq_f32_e64 s[2:3], v9, v11
	v_cmp_lt_i32_e64 s[6:7], v10, v8
	v_cmp_lt_f32_e32 vcc, v9, v11
	s_and_b64 s[2:3], s[2:3], s[6:7]
	s_or_b64 vcc, vcc, s[2:3]
	v_cndmask_b32_e32 v9, v9, v11, vcc
	v_cndmask_b32_e32 v8, v8, v10, vcc
	s_nop 0
	v_mov_b32_dpp v11, v9 quad_perm:[2,3,0,1] row_mask:0xf bank_mask:0xf
	v_mov_b32_dpp v10, v8 quad_perm:[2,3,0,1] row_mask:0xf bank_mask:0xf
	v_cmp_eq_f32_e64 s[2:3], v9, v11
	v_cmp_lt_i32_e64 s[6:7], v10, v8
	v_cmp_lt_f32_e32 vcc, v9, v11
	s_and_b64 s[2:3], s[2:3], s[6:7]
	s_or_b64 vcc, vcc, s[2:3]
	v_cndmask_b32_e32 v9, v9, v11, vcc
	v_cndmask_b32_e32 v8, v8, v10, vcc
	s_nop 0
	v_mov_b32_dpp v11, v9 row_half_mirror row_mask:0xf bank_mask:0xf
	v_mov_b32_dpp v10, v8 row_half_mirror row_mask:0xf bank_mask:0xf
	v_cmp_eq_f32_e64 s[2:3], v9, v11
	v_cmp_lt_i32_e64 s[6:7], v10, v8
	v_cmp_lt_f32_e32 vcc, v9, v11
	s_and_b64 s[2:3], s[2:3], s[6:7]
	s_or_b64 vcc, vcc, s[2:3]
	v_cndmask_b32_e32 v9, v9, v11, vcc
	v_cndmask_b32_e32 v8, v8, v10, vcc
	s_nop 0
	v_mov_b32_dpp v11, v9 row_mirror row_mask:0xf bank_mask:0xf
	v_mov_b32_dpp v10, v8 row_mirror row_mask:0xf bank_mask:0xf
	v_cmp_eq_f32_e64 s[2:3], v9, v11
	v_cmp_lt_i32_e64 s[6:7], v10, v8
	v_cmp_lt_f32_e32 vcc, v9, v11
	s_and_b64 s[2:3], s[2:3], s[6:7]
	s_or_b64 vcc, vcc, s[2:3]
	v_cndmask_b32_e32 v9, v9, v11, vcc
	v_cndmask_b32_e32 v8, v8, v10, vcc
	s_nop 0
	v_mov_b32_dpp v11, v9 row_bcast:15 row_mask:0xa bank_mask:0xf
	v_mov_b32_dpp v10, v8 row_bcast:15 row_mask:0xa bank_mask:0xf
	v_cmp_eq_f32_e32 vcc, v9, v11
	v_cmp_lt_i32_e64 s[2:3], v10, v8
	s_and_b64 vcc, vcc, s[2:3]
	v_cmp_lt_f32_e64 s[2:3], v9, v11
	v_cndmask_b32_e32 v12, v9, v11, vcc
	s_or_b64 vcc, s[2:3], vcc
	v_cndmask_b32_e32 v8, v8, v10, vcc
	v_mbcnt_lo_u32_b32 v10, -1, 0
	v_cndmask_b32_e64 v9, v12, v11, s[2:3]
	v_mbcnt_hi_u32_b32 v10, -1, v10
	v_mov_b32_e32 v11, 0x7c
	v_lshl_or_b32 v17, v10, 2, v11
	ds_bpermute_b32 v29, v17, v8
	ds_bpermute_b32 v19, v17, v9
	s_cmp_gt_i32 s8, 0
	s_cselect_b64 s[6:7], -1, 0
	s_and_b64 vcc, exec, s[6:7]
	s_cbranch_vccz .LBB84_18
; %bb.7:
	s_load_dwordx4 s[12:15], s[4:5], 0x20
	v_mul_lo_u32 v12, v14, s11
	v_mul_lo_u32 v10, v14, s20
	;; [unrolled: 1-line block ×3, first 2 shown]
	v_mov_b32_e32 v15, 0
	s_and_saveexec_b64 s[4:5], s[0:1]
	s_cbranch_execz .LBB84_9
; %bb.8:
	s_waitcnt lgkmcnt(0)
	v_sub_f32_e32 v9, v19, v19
	v_mul_f32_e32 v11, 0x3fb8aa3b, v9
	s_mov_b32 s2, 0x3fb8aa3b
	v_rndne_f32_e32 v13, v11
	v_sub_f32_e32 v15, v11, v13
	v_fma_f32 v11, v9, s2, -v11
	v_fmac_f32_e32 v11, 0x32a5705f, v9
	v_add_f32_e32 v11, v15, v11
	v_exp_f32_e32 v11, v11
	v_cvt_i32_f32_e32 v13, v13
	v_cmp_le_i32_e32 vcc, s9, v29
	v_cmp_gt_i32_e64 s[2:3], s10, v29
	s_mov_b32 s20, 0xc2ce8ed0
	s_and_b64 s[2:3], vcc, s[2:3]
	v_ldexp_f32 v11, v11, v13
	v_cmp_ngt_f32_e32 vcc, s20, v9
	s_mov_b32 s20, 0x42b17218
	v_cndmask_b32_e32 v11, 0, v11, vcc
	v_mov_b32_e32 v13, 0x7f800000
	v_cmp_nlt_f32_e32 vcc, s20, v9
	v_cndmask_b32_e32 v15, v13, v11, vcc
	v_ashrrev_i32_e32 v13, 31, v12
	v_lshlrev_b64 v[30:31], 2, v[12:13]
	v_mov_b32_e32 v9, s17
	v_add_co_u32_e32 v30, vcc, s16, v30
	v_addc_co_u32_e32 v31, vcc, v9, v31, vcc
	v_subrev_u32_e32 v9, s9, v29
	v_mov_b32_e32 v11, 0x100
	s_and_b64 vcc, s[18:19], s[2:3]
	v_cndmask_b32_e32 v9, v11, v9, vcc
	v_ashrrev_i32_e32 v11, 31, v10
	global_store_dword v[30:31], v15, off
	v_lshlrev_b64 v[30:31], 2, v[10:11]
	v_mov_b32_e32 v11, s13
	v_add_co_u32_e32 v30, vcc, s12, v30
	v_addc_co_u32_e32 v31, vcc, v11, v31, vcc
	global_store_dword v[30:31], v9, off
	v_ashrrev_i32_e32 v9, 31, v8
	v_lshlrev_b64 v[30:31], 2, v[8:9]
	v_mov_b32_e32 v9, s15
	v_add_co_u32_e32 v30, vcc, s14, v30
	v_addc_co_u32_e32 v31, vcc, v9, v31, vcc
	global_store_dword v[30:31], v14, off
.LBB84_9:
	s_or_b64 exec, exec, s[4:5]
	s_waitcnt lgkmcnt(0)
	v_ashrrev_i32_e32 v9, 31, v29
	v_lshrrev_b32_e32 v11, 29, v9
	v_add_u32_e32 v13, v29, v11
	v_ashrrev_i32_e32 v11, 3, v13
	v_ashrrev_i32_e32 v13, 31, v13
	v_lshrrev_b32_e32 v13, 27, v13
	v_add_u32_e32 v13, v11, v13
	v_and_b32_e32 v13, 0xffffffe0, v13
	v_sub_u32_e32 v13, v11, v13
	v_cmp_eq_u32_e32 vcc, v16, v13
	s_and_saveexec_b64 s[2:3], vcc
	s_cbranch_execz .LBB84_11
; %bb.10:
	v_add_u32_sdwa v9, v29, v9 dst_sel:DWORD dst_unused:UNUSED_PAD src0_sel:DWORD src1_sel:BYTE_3
	v_lshlrev_b32_e32 v11, 3, v11
	v_ashrrev_i32_e32 v9, 8, v9
	v_sub_u32_e32 v11, v29, v11
	v_lshl_add_u32 v9, v9, 3, v11
	v_mov_b32_e32 v11, 0xff800000
	v_cmp_ne_u32_e32 vcc, 7, v9
	v_cndmask_b32_e32 v3, v11, v3, vcc
	v_cmp_ne_u32_e32 vcc, 6, v9
	v_cndmask_b32_e32 v2, v11, v2, vcc
	;; [unrolled: 2-line block ×8, first 2 shown]
.LBB84_11:
	s_or_b64 exec, exec, s[2:3]
	s_cmp_eq_u32 s8, 1
	s_cbranch_scc1 .LBB84_18
; %bb.12:
	s_add_i32 s23, s23, s22
	s_add_i32 s20, s8, -1
	v_add3_u32 v27, s23, v28, v27
	v_add_u32_e32 v8, 1, v8
	v_add_u32_e32 v10, 1, v10
	;; [unrolled: 1-line block ×3, first 2 shown]
	s_mov_b32 s21, 0x3fb8aa3b
	s_mov_b32 s23, 0xc2ce8ed0
	;; [unrolled: 1-line block ×3, first 2 shown]
	v_mov_b32_e32 v28, 0x7f800000
	v_mov_b32_e32 v29, 0x100
	;; [unrolled: 1-line block ×3, first 2 shown]
	s_branch .LBB84_14
.LBB84_13:                              ;   in Loop: Header=BB84_14 Depth=1
	s_or_b64 exec, exec, s[2:3]
	s_add_i32 s20, s20, -1
	v_add_u32_e32 v27, s22, v27
	v_add_u32_e32 v8, 1, v8
	;; [unrolled: 1-line block ×3, first 2 shown]
	s_cmp_eq_u32 s20, 0
	v_add_u32_e32 v12, 1, v12
	s_cbranch_scc1 .LBB84_18
.LBB84_14:                              ; =>This Inner Loop Header: Depth=1
	v_cmp_gt_f32_e32 vcc, v5, v4
	v_cndmask_b32_e32 v11, v4, v5, vcc
	v_cndmask_b32_e32 v9, v18, v20, vcc
	v_cmp_gt_f32_e32 vcc, v6, v11
	v_cndmask_b32_e32 v11, v11, v6, vcc
	v_cndmask_b32_e32 v9, v9, v21, vcc
	;; [unrolled: 3-line block ×7, first 2 shown]
	s_nop 0
	v_mov_b32_dpp v13, v9 quad_perm:[1,0,3,2] row_mask:0xf bank_mask:0xf
	v_mov_b32_dpp v31, v11 quad_perm:[1,0,3,2] row_mask:0xf bank_mask:0xf
	v_cmp_eq_f32_e64 s[2:3], v11, v31
	v_cmp_lt_i32_e64 s[4:5], v13, v9
	v_cmp_lt_f32_e32 vcc, v11, v31
	s_and_b64 s[2:3], s[2:3], s[4:5]
	s_or_b64 vcc, vcc, s[2:3]
	v_cndmask_b32_e32 v11, v11, v31, vcc
	v_cndmask_b32_e32 v9, v9, v13, vcc
	s_nop 0
	v_mov_b32_dpp v31, v11 quad_perm:[2,3,0,1] row_mask:0xf bank_mask:0xf
	v_mov_b32_dpp v13, v9 quad_perm:[2,3,0,1] row_mask:0xf bank_mask:0xf
	v_cmp_eq_f32_e64 s[2:3], v11, v31
	v_cmp_lt_i32_e64 s[4:5], v13, v9
	v_cmp_lt_f32_e32 vcc, v11, v31
	s_and_b64 s[2:3], s[2:3], s[4:5]
	s_or_b64 vcc, vcc, s[2:3]
	v_cndmask_b32_e32 v11, v11, v31, vcc
	v_cndmask_b32_e32 v9, v9, v13, vcc
	s_nop 0
	v_mov_b32_dpp v31, v11 row_half_mirror row_mask:0xf bank_mask:0xf
	v_mov_b32_dpp v13, v9 row_half_mirror row_mask:0xf bank_mask:0xf
	v_cmp_eq_f32_e64 s[2:3], v11, v31
	v_cmp_lt_i32_e64 s[4:5], v13, v9
	v_cmp_lt_f32_e32 vcc, v11, v31
	s_and_b64 s[2:3], s[2:3], s[4:5]
	s_or_b64 vcc, vcc, s[2:3]
	v_cndmask_b32_e32 v11, v11, v31, vcc
	v_cndmask_b32_e32 v9, v9, v13, vcc
	s_nop 0
	v_mov_b32_dpp v31, v11 row_mirror row_mask:0xf bank_mask:0xf
	v_mov_b32_dpp v13, v9 row_mirror row_mask:0xf bank_mask:0xf
	v_cmp_eq_f32_e64 s[2:3], v11, v31
	v_cmp_lt_i32_e64 s[4:5], v13, v9
	v_cmp_lt_f32_e32 vcc, v11, v31
	s_and_b64 s[2:3], s[2:3], s[4:5]
	s_or_b64 vcc, vcc, s[2:3]
	v_cndmask_b32_e32 v11, v11, v31, vcc
	v_cndmask_b32_e32 v9, v9, v13, vcc
	s_nop 0
	v_mov_b32_dpp v31, v11 row_bcast:15 row_mask:0xa bank_mask:0xf
	v_mov_b32_dpp v13, v9 row_bcast:15 row_mask:0xa bank_mask:0xf
	v_cmp_eq_f32_e32 vcc, v11, v31
	v_cmp_lt_i32_e64 s[2:3], v13, v9
	s_and_b64 vcc, vcc, s[2:3]
	v_cmp_lt_f32_e64 s[2:3], v11, v31
	v_cndmask_b32_e32 v32, v11, v31, vcc
	s_or_b64 vcc, s[2:3], vcc
	v_cndmask_b32_e64 v11, v32, v31, s[2:3]
	v_cndmask_b32_e32 v9, v9, v13, vcc
	ds_bpermute_b32 v31, v17, v9
	ds_bpermute_b32 v9, v17, v11
	s_and_saveexec_b64 s[4:5], s[0:1]
	s_cbranch_execz .LBB84_16
; %bb.15:                               ;   in Loop: Header=BB84_14 Depth=1
	s_waitcnt lgkmcnt(0)
	v_sub_f32_e32 v9, v9, v19
	v_mul_f32_e32 v11, 0x3fb8aa3b, v9
	v_fma_f32 v13, v9, s21, -v11
	v_rndne_f32_e32 v32, v11
	v_fmac_f32_e32 v13, 0x32a5705f, v9
	v_sub_f32_e32 v11, v11, v32
	v_add_f32_e32 v11, v11, v13
	v_exp_f32_e32 v11, v11
	v_cvt_i32_f32_e32 v13, v32
	v_cmp_le_i32_e32 vcc, s9, v31
	v_cmp_gt_i32_e64 s[2:3], s10, v31
	s_and_b64 s[2:3], vcc, s[2:3]
	v_ldexp_f32 v11, v11, v13
	v_cmp_ngt_f32_e32 vcc, s23, v9
	v_ashrrev_i32_e32 v13, 31, v12
	v_cndmask_b32_e32 v11, 0, v11, vcc
	v_cmp_nlt_f32_e32 vcc, s24, v9
	v_lshlrev_b64 v[32:33], 2, v[12:13]
	v_cndmask_b32_e32 v34, v28, v11, vcc
	v_mov_b32_e32 v9, s17
	v_add_co_u32_e32 v32, vcc, s16, v32
	v_addc_co_u32_e32 v33, vcc, v9, v33, vcc
	v_ashrrev_i32_e32 v11, 31, v10
	global_store_dword v[32:33], v34, off
	v_subrev_u32_e32 v9, s9, v31
	s_and_b64 vcc, s[18:19], s[2:3]
	v_lshlrev_b64 v[32:33], 2, v[10:11]
	v_cndmask_b32_e32 v9, v29, v9, vcc
	v_mov_b32_e32 v11, s13
	v_add_co_u32_e32 v32, vcc, s12, v32
	v_addc_co_u32_e32 v33, vcc, v11, v33, vcc
	global_store_dword v[32:33], v9, off
	v_ashrrev_i32_e32 v9, 31, v8
	v_lshlrev_b64 v[32:33], 2, v[8:9]
	v_mov_b32_e32 v9, s15
	v_add_co_u32_e32 v32, vcc, s14, v32
	v_addc_co_u32_e32 v33, vcc, v9, v33, vcc
	v_add_f32_e32 v15, v15, v34
	global_store_dword v[32:33], v27, off
.LBB84_16:                              ;   in Loop: Header=BB84_14 Depth=1
	s_or_b64 exec, exec, s[4:5]
	s_waitcnt lgkmcnt(0)
	v_ashrrev_i32_e32 v9, 31, v31
	v_lshrrev_b32_e32 v11, 29, v9
	v_add_u32_e32 v13, v31, v11
	v_ashrrev_i32_e32 v11, 3, v13
	v_ashrrev_i32_e32 v13, 31, v13
	v_lshrrev_b32_e32 v13, 27, v13
	v_add_u32_e32 v13, v11, v13
	v_and_b32_e32 v13, 0xffffffe0, v13
	v_sub_u32_e32 v13, v11, v13
	v_cmp_eq_u32_e32 vcc, v16, v13
	s_and_saveexec_b64 s[2:3], vcc
	s_cbranch_execz .LBB84_13
; %bb.17:                               ;   in Loop: Header=BB84_14 Depth=1
	v_add_u32_sdwa v9, v31, v9 dst_sel:DWORD dst_unused:UNUSED_PAD src0_sel:DWORD src1_sel:BYTE_3
	v_lshlrev_b32_e32 v11, 3, v11
	v_ashrrev_i32_e32 v9, 8, v9
	v_sub_u32_e32 v11, v31, v11
	v_lshl_add_u32 v9, v9, 3, v11
	v_cmp_ne_u32_e32 vcc, 7, v9
	v_cndmask_b32_e32 v3, v30, v3, vcc
	v_cmp_ne_u32_e32 vcc, 6, v9
	v_cndmask_b32_e32 v2, v30, v2, vcc
	;; [unrolled: 2-line block ×8, first 2 shown]
	s_branch .LBB84_13
.LBB84_18:
	s_waitcnt lgkmcnt(0)
	v_sub_f32_e32 v4, v4, v19
	s_mov_b32 s2, 0x3fb8aa3b
	v_mul_f32_e32 v8, 0x3fb8aa3b, v4
	v_fma_f32 v9, v4, s2, -v8
	v_rndne_f32_e32 v10, v8
	v_fmac_f32_e32 v9, 0x32a5705f, v4
	v_sub_f32_e32 v8, v8, v10
	v_add_f32_e32 v8, v8, v9
	v_exp_f32_e32 v8, v8
	v_cvt_i32_f32_e32 v9, v10
	v_sub_f32_e32 v5, v5, v19
	s_mov_b32 s3, 0xc2ce8ed0
	v_cmp_ngt_f32_e32 vcc, s3, v4
	v_ldexp_f32 v8, v8, v9
	v_mul_f32_e32 v9, 0x3fb8aa3b, v5
	v_fma_f32 v10, v5, s2, -v9
	v_rndne_f32_e32 v11, v9
	v_fmac_f32_e32 v10, 0x32a5705f, v5
	v_sub_f32_e32 v9, v9, v11
	v_add_f32_e32 v9, v9, v10
	v_exp_f32_e32 v9, v9
	v_cvt_i32_f32_e32 v10, v11
	s_mov_b32 s4, 0x42b17218
	v_cndmask_b32_e32 v8, 0, v8, vcc
	v_mov_b32_e32 v11, 0x7f800000
	v_cmp_nlt_f32_e32 vcc, s4, v4
	v_sub_f32_e32 v6, v6, v19
	v_cndmask_b32_e32 v4, v11, v8, vcc
	v_ldexp_f32 v8, v9, v10
	v_mul_f32_e32 v9, 0x3fb8aa3b, v6
	v_fma_f32 v10, v6, s2, -v9
	v_rndne_f32_e32 v12, v9
	v_fmac_f32_e32 v10, 0x32a5705f, v6
	v_sub_f32_e32 v9, v9, v12
	v_add_f32_e32 v9, v9, v10
	v_exp_f32_e32 v9, v9
	v_cvt_i32_f32_e32 v10, v12
	v_cmp_ngt_f32_e32 vcc, s3, v5
	v_cndmask_b32_e32 v8, 0, v8, vcc
	v_cmp_nlt_f32_e32 vcc, s4, v5
	v_sub_f32_e32 v7, v7, v19
	v_cndmask_b32_e32 v5, v11, v8, vcc
	v_mul_f32_e32 v8, 0x3fb8aa3b, v7
	v_add_f32_e32 v4, v4, v5
	v_ldexp_f32 v5, v9, v10
	v_fma_f32 v9, v7, s2, -v8
	v_rndne_f32_e32 v10, v8
	v_fmac_f32_e32 v9, 0x32a5705f, v7
	v_sub_f32_e32 v8, v8, v10
	v_add_f32_e32 v8, v8, v9
	v_exp_f32_e32 v8, v8
	v_cvt_i32_f32_e32 v9, v10
	v_cmp_ngt_f32_e32 vcc, s3, v6
	v_cndmask_b32_e32 v5, 0, v5, vcc
	v_cmp_nlt_f32_e32 vcc, s4, v6
	v_sub_f32_e32 v0, v0, v19
	v_cndmask_b32_e32 v5, v11, v5, vcc
	v_mul_f32_e32 v6, 0x3fb8aa3b, v0
	v_add_f32_e32 v4, v4, v5
	v_ldexp_f32 v5, v8, v9
	v_fma_f32 v8, v0, s2, -v6
	v_rndne_f32_e32 v9, v6
	v_fmac_f32_e32 v8, 0x32a5705f, v0
	v_sub_f32_e32 v6, v6, v9
	v_add_f32_e32 v6, v6, v8
	v_exp_f32_e32 v6, v6
	v_cvt_i32_f32_e32 v8, v9
	v_cmp_ngt_f32_e32 vcc, s3, v7
	v_cndmask_b32_e32 v5, 0, v5, vcc
	v_cmp_nlt_f32_e32 vcc, s4, v7
	v_cndmask_b32_e32 v5, v11, v5, vcc
	v_sub_f32_e32 v1, v1, v19
	v_add_f32_e32 v4, v4, v5
	v_ldexp_f32 v5, v6, v8
	v_mul_f32_e32 v6, 0x3fb8aa3b, v1
	v_fma_f32 v7, v1, s2, -v6
	v_rndne_f32_e32 v8, v6
	v_fmac_f32_e32 v7, 0x32a5705f, v1
	v_sub_f32_e32 v6, v6, v8
	v_add_f32_e32 v6, v6, v7
	v_exp_f32_e32 v6, v6
	v_cvt_i32_f32_e32 v7, v8
	v_cmp_ngt_f32_e32 vcc, s3, v0
	v_cndmask_b32_e32 v5, 0, v5, vcc
	v_cmp_nlt_f32_e32 vcc, s4, v0
	v_sub_f32_e32 v2, v2, v19
	v_cndmask_b32_e32 v0, v11, v5, vcc
	v_mul_f32_e32 v5, 0x3fb8aa3b, v2
	v_add_f32_e32 v0, v4, v0
	v_ldexp_f32 v4, v6, v7
	v_fma_f32 v6, v2, s2, -v5
	v_rndne_f32_e32 v7, v5
	v_fmac_f32_e32 v6, 0x32a5705f, v2
	v_sub_f32_e32 v5, v5, v7
	v_add_f32_e32 v5, v5, v6
	v_exp_f32_e32 v5, v5
	v_cvt_i32_f32_e32 v6, v7
	v_cmp_ngt_f32_e32 vcc, s3, v1
	v_cndmask_b32_e32 v4, 0, v4, vcc
	v_cmp_nlt_f32_e32 vcc, s4, v1
	v_sub_f32_e32 v3, v3, v19
	v_cndmask_b32_e32 v1, v11, v4, vcc
	v_mul_f32_e32 v4, 0x3fb8aa3b, v3
	v_add_f32_e32 v0, v0, v1
	v_ldexp_f32 v1, v5, v6
	v_fma_f32 v5, v3, s2, -v4
	v_rndne_f32_e32 v6, v4
	v_fmac_f32_e32 v5, 0x32a5705f, v3
	v_sub_f32_e32 v4, v4, v6
	v_add_f32_e32 v4, v4, v5
	v_exp_f32_e32 v4, v4
	v_cvt_i32_f32_e32 v5, v6
	v_cmp_ngt_f32_e32 vcc, s3, v2
	v_cndmask_b32_e32 v1, 0, v1, vcc
	v_cmp_nlt_f32_e32 vcc, s4, v2
	v_cndmask_b32_e32 v1, v11, v1, vcc
	v_add_f32_e32 v0, v0, v1
	v_ldexp_f32 v1, v4, v5
	v_cmp_ngt_f32_e32 vcc, s3, v3
	v_cndmask_b32_e32 v1, 0, v1, vcc
	v_cmp_nlt_f32_e32 vcc, s4, v3
	v_cndmask_b32_e32 v1, v11, v1, vcc
	v_add_f32_e32 v0, v0, v1
	s_nop 1
	v_mov_b32_dpp v1, v0 quad_perm:[1,0,3,2] row_mask:0xf bank_mask:0xf
	v_add_f32_e32 v0, v0, v1
	s_nop 1
	v_mov_b32_dpp v1, v0 quad_perm:[2,3,0,1] row_mask:0xf bank_mask:0xf
	v_add_f32_e32 v0, v0, v1
	s_nop 1
	v_mov_b32_dpp v1, v0 row_half_mirror row_mask:0xf bank_mask:0xf
	v_add_f32_e32 v0, v0, v1
	s_nop 1
	v_mov_b32_dpp v1, v0 row_mirror row_mask:0xf bank_mask:0xf
	v_add_f32_e32 v0, v0, v1
	s_nop 1
	v_mov_b32_dpp v1, v0 row_bcast:15 row_mask:0xa bank_mask:0xf
	v_add_f32_e32 v0, v0, v1
	ds_bpermute_b32 v0, v17, v0
	s_and_b64 exec, exec, s[0:1]
	s_cbranch_execz .LBB84_31
; %bb.19:
	s_waitcnt lgkmcnt(0)
	v_add_f32_e32 v0, v15, v0
	v_cmp_neq_f32_e32 vcc, 0, v0
	s_and_b64 exec, exec, vcc
	s_cbranch_execz .LBB84_31
; %bb.20:
	s_andn2_b64 vcc, exec, s[6:7]
	s_cbranch_vccnz .LBB84_31
; %bb.21:
	v_div_scale_f32 v1, s[0:1], v0, v0, 1.0
	v_rcp_f32_e32 v2, v1
	v_div_scale_f32 v3, vcc, 1.0, v0, 1.0
	s_cmp_gt_u32 s8, 3
	v_fma_f32 v4, -v1, v2, 1.0
	v_fmac_f32_e32 v2, v4, v2
	v_mul_f32_e32 v4, v3, v2
	v_fma_f32 v5, -v1, v4, v3
	v_fmac_f32_e32 v4, v5, v2
	v_fma_f32 v1, -v1, v4, v3
	v_div_fmas_f32 v1, v1, v2, v4
	v_mul_lo_u32 v2, v14, s11
	v_div_fixup_f32 v0, v1, v0, 1.0
	v_ashrrev_i32_e32 v3, 31, v2
	s_cbranch_scc0 .LBB84_25
; %bb.22:
	v_lshlrev_b64 v[4:5], 2, v[2:3]
	v_mov_b32_e32 v6, s17
	v_add_co_u32_e32 v4, vcc, s16, v4
	v_addc_co_u32_e32 v5, vcc, v5, v6, vcc
	s_and_b32 s4, s8, 0x7ffffffc
	v_add_co_u32_e32 v4, vcc, 8, v4
	v_mov_b32_e32 v1, v0
	v_addc_co_u32_e32 v5, vcc, 0, v5, vcc
	s_mov_b32 s0, s4
.LBB84_23:                              ; =>This Inner Loop Header: Depth=1
	global_load_dwordx4 v[6:9], v[4:5], off offset:-8
	s_add_i32 s0, s0, -4
	s_cmp_lg_u32 s0, 0
	s_waitcnt vmcnt(0)
	v_pk_mul_f32 v[6:7], v[0:1], v[6:7]
	v_pk_mul_f32 v[8:9], v[0:1], v[8:9]
	global_store_dwordx4 v[4:5], v[6:9], off offset:-8
	v_add_co_u32_e32 v4, vcc, 16, v4
	v_addc_co_u32_e32 v5, vcc, 0, v5, vcc
	s_cbranch_scc1 .LBB84_23
; %bb.24:
	s_cmp_lg_u32 s4, s8
	s_mov_b64 s[2:3], 0
	s_cselect_b64 s[0:1], -1, 0
	s_branch .LBB84_26
.LBB84_25:
	s_mov_b64 s[2:3], -1
	s_mov_b64 s[0:1], 0
                                        ; implicit-def: $sgpr4
.LBB84_26:
	s_and_b64 vcc, exec, s[2:3]
	s_cbranch_vccz .LBB84_28
; %bb.27:
	s_mov_b64 s[0:1], -1
	s_mov_b32 s4, 0
.LBB84_28:
	s_andn2_b64 vcc, exec, s[0:1]
	s_cbranch_vccnz .LBB84_31
; %bb.29:
	v_add_co_u32_e32 v2, vcc, s4, v2
	v_addc_co_u32_e32 v3, vcc, 0, v3, vcc
	v_lshlrev_b64 v[2:3], 2, v[2:3]
	v_mov_b32_e32 v1, s17
	v_add_co_u32_e32 v2, vcc, s16, v2
	s_sub_i32 s0, s8, s4
	v_addc_co_u32_e32 v3, vcc, v1, v3, vcc
.LBB84_30:                              ; =>This Inner Loop Header: Depth=1
	global_load_dword v1, v[2:3], off
	s_add_i32 s0, s0, -1
	s_cmp_lg_u32 s0, 0
	s_waitcnt vmcnt(0)
	v_mul_f32_e32 v1, v0, v1
	global_store_dword v[2:3], v1, off
	v_add_co_u32_e32 v2, vcc, 4, v2
	v_addc_co_u32_e32 v3, vcc, 0, v3, vcc
	s_cbranch_scc1 .LBB84_30
.LBB84_31:
	s_endpgm
	.section	.rodata,"a",@progbits
	.p2align	6, 0x0
	.amdhsa_kernel _ZN4vllm3moe17topkGatingSoftmaxIfLi8ELi256ELi8ELi32ELb0ELi1ELNS0_23SharedExpertScoringFuncE1EEEvPKT_PKbPfiPiS9_iiiiii
		.amdhsa_group_segment_fixed_size 0
		.amdhsa_private_segment_fixed_size 0
		.amdhsa_kernarg_size 72
		.amdhsa_user_sgpr_count 6
		.amdhsa_user_sgpr_private_segment_buffer 1
		.amdhsa_user_sgpr_dispatch_ptr 0
		.amdhsa_user_sgpr_queue_ptr 0
		.amdhsa_user_sgpr_kernarg_segment_ptr 1
		.amdhsa_user_sgpr_dispatch_id 0
		.amdhsa_user_sgpr_flat_scratch_init 0
		.amdhsa_user_sgpr_kernarg_preload_length 0
		.amdhsa_user_sgpr_kernarg_preload_offset 0
		.amdhsa_user_sgpr_private_segment_size 0
		.amdhsa_uses_dynamic_stack 0
		.amdhsa_system_sgpr_private_segment_wavefront_offset 0
		.amdhsa_system_sgpr_workgroup_id_x 1
		.amdhsa_system_sgpr_workgroup_id_y 0
		.amdhsa_system_sgpr_workgroup_id_z 0
		.amdhsa_system_sgpr_workgroup_info 0
		.amdhsa_system_vgpr_workitem_id 1
		.amdhsa_next_free_vgpr 35
		.amdhsa_next_free_sgpr 25
		.amdhsa_accum_offset 36
		.amdhsa_reserve_vcc 1
		.amdhsa_reserve_flat_scratch 0
		.amdhsa_float_round_mode_32 0
		.amdhsa_float_round_mode_16_64 0
		.amdhsa_float_denorm_mode_32 3
		.amdhsa_float_denorm_mode_16_64 3
		.amdhsa_dx10_clamp 1
		.amdhsa_ieee_mode 1
		.amdhsa_fp16_overflow 0
		.amdhsa_tg_split 0
		.amdhsa_exception_fp_ieee_invalid_op 0
		.amdhsa_exception_fp_denorm_src 0
		.amdhsa_exception_fp_ieee_div_zero 0
		.amdhsa_exception_fp_ieee_overflow 0
		.amdhsa_exception_fp_ieee_underflow 0
		.amdhsa_exception_fp_ieee_inexact 0
		.amdhsa_exception_int_div_zero 0
	.end_amdhsa_kernel
	.section	.text._ZN4vllm3moe17topkGatingSoftmaxIfLi8ELi256ELi8ELi32ELb0ELi1ELNS0_23SharedExpertScoringFuncE1EEEvPKT_PKbPfiPiS9_iiiiii,"axG",@progbits,_ZN4vllm3moe17topkGatingSoftmaxIfLi8ELi256ELi8ELi32ELb0ELi1ELNS0_23SharedExpertScoringFuncE1EEEvPKT_PKbPfiPiS9_iiiiii,comdat
.Lfunc_end84:
	.size	_ZN4vllm3moe17topkGatingSoftmaxIfLi8ELi256ELi8ELi32ELb0ELi1ELNS0_23SharedExpertScoringFuncE1EEEvPKT_PKbPfiPiS9_iiiiii, .Lfunc_end84-_ZN4vllm3moe17topkGatingSoftmaxIfLi8ELi256ELi8ELi32ELb0ELi1ELNS0_23SharedExpertScoringFuncE1EEEvPKT_PKbPfiPiS9_iiiiii
                                        ; -- End function
	.section	.AMDGPU.csdata,"",@progbits
; Kernel info:
; codeLenInByte = 3360
; NumSgprs: 29
; NumVgprs: 35
; NumAgprs: 0
; TotalNumVgprs: 35
; ScratchSize: 0
; MemoryBound: 0
; FloatMode: 240
; IeeeMode: 1
; LDSByteSize: 0 bytes/workgroup (compile time only)
; SGPRBlocks: 3
; VGPRBlocks: 4
; NumSGPRsForWavesPerEU: 29
; NumVGPRsForWavesPerEU: 35
; AccumOffset: 36
; Occupancy: 8
; WaveLimiterHint : 0
; COMPUTE_PGM_RSRC2:SCRATCH_EN: 0
; COMPUTE_PGM_RSRC2:USER_SGPR: 6
; COMPUTE_PGM_RSRC2:TRAP_HANDLER: 0
; COMPUTE_PGM_RSRC2:TGID_X_EN: 1
; COMPUTE_PGM_RSRC2:TGID_Y_EN: 0
; COMPUTE_PGM_RSRC2:TGID_Z_EN: 0
; COMPUTE_PGM_RSRC2:TIDIG_COMP_CNT: 1
; COMPUTE_PGM_RSRC3_GFX90A:ACCUM_OFFSET: 8
; COMPUTE_PGM_RSRC3_GFX90A:TG_SPLIT: 0
	.section	.text._ZN4vllm3moe17topkGatingSoftmaxIfLi8ELi256ELi8ELi32ELb1ELi2ELNS0_23SharedExpertScoringFuncE1EEEvPKT_PKbPfiPiS9_iiiiii,"axG",@progbits,_ZN4vllm3moe17topkGatingSoftmaxIfLi8ELi256ELi8ELi32ELb1ELi2ELNS0_23SharedExpertScoringFuncE1EEEvPKT_PKbPfiPiS9_iiiiii,comdat
	.protected	_ZN4vllm3moe17topkGatingSoftmaxIfLi8ELi256ELi8ELi32ELb1ELi2ELNS0_23SharedExpertScoringFuncE1EEEvPKT_PKbPfiPiS9_iiiiii ; -- Begin function _ZN4vllm3moe17topkGatingSoftmaxIfLi8ELi256ELi8ELi32ELb1ELi2ELNS0_23SharedExpertScoringFuncE1EEEvPKT_PKbPfiPiS9_iiiiii
	.globl	_ZN4vllm3moe17topkGatingSoftmaxIfLi8ELi256ELi8ELi32ELb1ELi2ELNS0_23SharedExpertScoringFuncE1EEEvPKT_PKbPfiPiS9_iiiiii
	.p2align	8
	.type	_ZN4vllm3moe17topkGatingSoftmaxIfLi8ELi256ELi8ELi32ELb1ELi2ELNS0_23SharedExpertScoringFuncE1EEEvPKT_PKbPfiPiS9_iiiiii,@function
_ZN4vllm3moe17topkGatingSoftmaxIfLi8ELi256ELi8ELi32ELb1ELi2ELNS0_23SharedExpertScoringFuncE1EEEvPKT_PKbPfiPiS9_iiiiii: ; @_ZN4vllm3moe17topkGatingSoftmaxIfLi8ELi256ELi8ELi32ELb1ELi2ELNS0_23SharedExpertScoringFuncE1EEEvPKT_PKbPfiPiS9_iiiiii
; %bb.0:
	s_load_dword s22, s[4:5], 0x18
	v_bfe_u32 v1, v0, 10, 10
	v_and_b32_e32 v0, 0x3ff, v0
	s_lshl_b32 s23, s6, 4
	v_lshlrev_b32_e32 v25, 1, v1
	v_lshrrev_b32_e32 v26, 5, v0
	v_add3_u32 v14, s23, v25, v26
	s_waitcnt lgkmcnt(0)
	v_cmp_gt_i32_e32 vcc, s22, v14
	s_and_saveexec_b64 s[0:1], vcc
	s_cbranch_execz .LBB85_29
; %bb.1:
	s_load_dwordx4 s[0:3], s[4:5], 0x0
	s_load_dwordx2 s[6:7], s[4:5], 0x10
	s_waitcnt lgkmcnt(0)
	s_cmp_eq_u64 s[2:3], 0
	s_cbranch_scc1 .LBB85_3
; %bb.2:
	v_ashrrev_i32_e32 v1, 31, v14
	v_mov_b32_e32 v3, s3
	v_add_co_u32_e32 v2, vcc, s2, v14
	v_addc_co_u32_e32 v3, vcc, v3, v1, vcc
	global_load_ubyte v1, v[2:3], off
	s_waitcnt vmcnt(0)
	v_and_b32_e32 v1, 1, v1
	v_cmp_eq_u32_e32 vcc, 1, v1
	s_xor_b64 s[2:3], vcc, -1
	s_orn2_b64 s[16:17], s[2:3], exec
	s_branch .LBB85_4
.LBB85_3:
	s_mov_b64 s[16:17], -1
.LBB85_4:
	s_load_dwordx2 s[20:21], s[4:5], 0x40
	s_load_dwordx4 s[8:11], s[4:5], 0x30
	v_mov_b32_e32 v1, s1
	v_and_b32_e32 v15, 31, v0
	v_lshlrev_b32_e32 v0, 5, v15
	s_waitcnt lgkmcnt(0)
	v_mul_lo_u32 v2, v14, s21
	v_ashrrev_i32_e32 v3, 31, v2
	v_lshlrev_b64 v[2:3], 2, v[2:3]
	v_add_co_u32_e32 v8, vcc, s0, v2
	v_addc_co_u32_e32 v9, vcc, v1, v3, vcc
	v_add_co_u32_e32 v10, vcc, v8, v0
	v_addc_co_u32_e32 v11, vcc, 0, v9, vcc
	global_load_dwordx4 v[0:3], v[10:11], off offset:16
	global_load_dwordx4 v[4:7], v[10:11], off
	v_lshlrev_b32_e32 v17, 3, v15
	v_mov_b32_e32 v16, 0
	v_cmp_gt_u32_e32 vcc, 2, v15
	s_and_saveexec_b64 s[0:1], vcc
	s_cbranch_execz .LBB85_6
; %bb.5:
	v_lshlrev_b32_e32 v10, 2, v15
	v_add_co_u32_e32 v8, vcc, v8, v10
	v_addc_co_u32_e32 v9, vcc, 0, v9, vcc
	global_load_dword v10, v[8:9], off offset:1024
	s_mov_b32 s2, 0xbfb8aa3b
	s_mov_b32 s3, 0x42ce8ed0
	;; [unrolled: 1-line block ×3, first 2 shown]
	v_mov_b32_e32 v11, 0x7f800000
	v_mul_lo_u32 v8, v14, s11
	v_add3_u32 v8, v8, s8, v15
	v_mov_b32_e32 v18, s7
	s_waitcnt vmcnt(0)
	v_mul_f32_e32 v9, 0xbfb8aa3b, v10
	v_fma_f32 v12, v10, s2, -v9
	v_rndne_f32_e32 v13, v9
	v_fmac_f32_e32 v12, 0xb2a5705f, v10
	v_sub_f32_e32 v9, v9, v13
	v_add_f32_e32 v9, v9, v12
	v_cvt_i32_f32_e32 v13, v13
	v_exp_f32_e32 v12, v9
	v_cmp_nlt_f32_e32 vcc, s3, v10
	v_ashrrev_i32_e32 v9, 31, v8
	v_lshlrev_b64 v[8:9], 2, v[8:9]
	v_ldexp_f32 v12, v12, v13
	v_cndmask_b32_e32 v12, 0, v12, vcc
	v_cmp_ngt_f32_e32 vcc, s12, v10
	v_cndmask_b32_e32 v10, v11, v12, vcc
	v_add_f32_e32 v10, 1.0, v10
	v_div_scale_f32 v11, s[2:3], v10, v10, 1.0
	v_rcp_f32_e32 v12, v11
	v_div_scale_f32 v13, vcc, 1.0, v10, 1.0
	v_fma_f32 v19, -v11, v12, 1.0
	v_fmac_f32_e32 v12, v19, v12
	v_mul_f32_e32 v19, v13, v12
	v_fma_f32 v20, -v11, v19, v13
	v_fmac_f32_e32 v19, v20, v12
	v_fma_f32 v11, -v11, v19, v13
	v_div_fmas_f32 v11, v11, v12, v19
	v_add_co_u32_e32 v8, vcc, s6, v8
	v_div_fixup_f32 v10, v11, v10, 1.0
	v_addc_co_u32_e32 v9, vcc, v18, v9, vcc
	global_store_dword v[8:9], v10, off
.LBB85_6:
	s_or_b64 exec, exec, s[0:1]
	s_waitcnt vmcnt(0)
	v_cmp_lt_f32_e32 vcc, v4, v5
	v_or_b32_e32 v18, 1, v17
	v_cndmask_b32_e32 v9, v4, v5, vcc
	v_cndmask_b32_e32 v8, v17, v18, vcc
	v_cmp_lt_f32_e32 vcc, v9, v6
	v_or_b32_e32 v19, 2, v17
	v_cndmask_b32_e32 v9, v9, v6, vcc
	v_cndmask_b32_e32 v8, v8, v19, vcc
	;; [unrolled: 4-line block ×6, first 2 shown]
	v_or_b32_e32 v24, 7, v17
	v_cmp_lt_f32_e32 vcc, v9, v3
	v_cndmask_b32_e32 v8, v8, v24, vcc
	v_cndmask_b32_e32 v9, v9, v3, vcc
	s_nop 0
	v_mov_b32_dpp v10, v8 quad_perm:[1,0,3,2] row_mask:0xf bank_mask:0xf
	v_mov_b32_dpp v11, v9 quad_perm:[1,0,3,2] row_mask:0xf bank_mask:0xf
	v_cmp_eq_f32_e64 s[0:1], v9, v11
	v_cmp_lt_i32_e64 s[2:3], v10, v8
	v_cmp_lt_f32_e32 vcc, v9, v11
	s_and_b64 s[0:1], s[0:1], s[2:3]
	s_or_b64 vcc, vcc, s[0:1]
	v_cndmask_b32_e32 v9, v9, v11, vcc
	v_cndmask_b32_e32 v8, v8, v10, vcc
	s_nop 0
	v_mov_b32_dpp v11, v9 quad_perm:[2,3,0,1] row_mask:0xf bank_mask:0xf
	v_mov_b32_dpp v10, v8 quad_perm:[2,3,0,1] row_mask:0xf bank_mask:0xf
	v_cmp_eq_f32_e64 s[0:1], v9, v11
	v_cmp_lt_i32_e64 s[2:3], v10, v8
	v_cmp_lt_f32_e32 vcc, v9, v11
	s_and_b64 s[0:1], s[0:1], s[2:3]
	s_or_b64 vcc, vcc, s[0:1]
	v_cndmask_b32_e32 v9, v9, v11, vcc
	v_cndmask_b32_e32 v8, v8, v10, vcc
	s_nop 0
	v_mov_b32_dpp v11, v9 row_half_mirror row_mask:0xf bank_mask:0xf
	v_mov_b32_dpp v10, v8 row_half_mirror row_mask:0xf bank_mask:0xf
	v_cmp_eq_f32_e64 s[0:1], v9, v11
	v_cmp_lt_i32_e64 s[2:3], v10, v8
	v_cmp_lt_f32_e32 vcc, v9, v11
	s_and_b64 s[0:1], s[0:1], s[2:3]
	s_or_b64 vcc, vcc, s[0:1]
	v_cndmask_b32_e32 v9, v9, v11, vcc
	v_cndmask_b32_e32 v8, v8, v10, vcc
	s_nop 0
	v_mov_b32_dpp v11, v9 row_mirror row_mask:0xf bank_mask:0xf
	v_mov_b32_dpp v10, v8 row_mirror row_mask:0xf bank_mask:0xf
	v_cmp_eq_f32_e64 s[0:1], v9, v11
	v_cmp_lt_i32_e64 s[2:3], v10, v8
	v_cmp_lt_f32_e32 vcc, v9, v11
	s_and_b64 s[0:1], s[0:1], s[2:3]
	s_or_b64 vcc, vcc, s[0:1]
	v_cndmask_b32_e32 v9, v9, v11, vcc
	v_cndmask_b32_e32 v8, v8, v10, vcc
	s_nop 0
	v_mov_b32_dpp v11, v9 row_bcast:15 row_mask:0xa bank_mask:0xf
	v_mov_b32_dpp v10, v8 row_bcast:15 row_mask:0xa bank_mask:0xf
	v_cmp_eq_f32_e32 vcc, v9, v11
	v_cmp_lt_i32_e64 s[0:1], v10, v8
	s_and_b64 vcc, vcc, s[0:1]
	v_cmp_lt_f32_e64 s[0:1], v9, v11
	v_cndmask_b32_e32 v12, v9, v11, vcc
	s_or_b64 vcc, s[0:1], vcc
	v_cndmask_b32_e32 v8, v8, v10, vcc
	v_mbcnt_lo_u32_b32 v10, -1, 0
	v_cndmask_b32_e64 v9, v12, v11, s[0:1]
	v_mbcnt_hi_u32_b32 v10, -1, v10
	v_mov_b32_e32 v11, 0x7c
	v_lshl_or_b32 v27, v10, 2, v11
	ds_bpermute_b32 v29, v27, v8
	ds_bpermute_b32 v28, v27, v9
	s_cmp_gt_i32 s8, 0
	s_cselect_b64 s[18:19], -1, 0
	s_cmp_lt_i32 s8, 1
	v_cmp_eq_u32_e32 vcc, 0, v15
	s_cbranch_scc1 .LBB85_18
; %bb.7:
	s_load_dwordx4 s[12:15], s[4:5], 0x20
	v_mul_lo_u32 v12, v14, s11
	v_mul_lo_u32 v10, v14, s20
	v_mul_lo_u32 v8, v14, s8
	v_mov_b32_e32 v16, 0
	s_and_saveexec_b64 s[4:5], vcc
	s_cbranch_execz .LBB85_9
; %bb.8:
	s_waitcnt lgkmcnt(0)
	v_sub_f32_e32 v9, v28, v28
	v_mul_f32_e32 v11, 0x3fb8aa3b, v9
	s_mov_b32 s0, 0x3fb8aa3b
	v_rndne_f32_e32 v13, v11
	v_sub_f32_e32 v16, v11, v13
	v_fma_f32 v11, v9, s0, -v11
	v_fmac_f32_e32 v11, 0x32a5705f, v9
	v_add_f32_e32 v11, v16, v11
	v_exp_f32_e32 v11, v11
	v_cvt_i32_f32_e32 v13, v13
	v_cmp_le_i32_e64 s[0:1], s9, v29
	v_cmp_gt_i32_e64 s[2:3], s10, v29
	s_and_b64 s[2:3], s[0:1], s[2:3]
	s_mov_b32 s0, 0xc2ce8ed0
	v_ldexp_f32 v11, v11, v13
	v_cmp_ngt_f32_e64 s[0:1], s0, v9
	v_cndmask_b32_e64 v11, 0, v11, s[0:1]
	s_mov_b32 s0, 0x42b17218
	v_mov_b32_e32 v13, 0x7f800000
	v_cmp_nlt_f32_e64 s[0:1], s0, v9
	v_cndmask_b32_e64 v16, v13, v11, s[0:1]
	v_ashrrev_i32_e32 v13, 31, v12
	v_lshlrev_b64 v[30:31], 2, v[12:13]
	v_mov_b32_e32 v9, s7
	v_add_co_u32_e64 v30, s[0:1], s6, v30
	v_addc_co_u32_e64 v31, s[0:1], v9, v31, s[0:1]
	v_subrev_u32_e32 v9, s9, v29
	v_mov_b32_e32 v11, 0x100
	s_and_b64 s[0:1], s[16:17], s[2:3]
	v_cndmask_b32_e64 v9, v11, v9, s[0:1]
	v_ashrrev_i32_e32 v11, 31, v10
	global_store_dword v[30:31], v16, off
	v_lshlrev_b64 v[30:31], 2, v[10:11]
	v_mov_b32_e32 v11, s13
	v_add_co_u32_e64 v30, s[0:1], s12, v30
	v_addc_co_u32_e64 v31, s[0:1], v11, v31, s[0:1]
	global_store_dword v[30:31], v9, off
	v_ashrrev_i32_e32 v9, 31, v8
	v_lshlrev_b64 v[30:31], 2, v[8:9]
	v_mov_b32_e32 v9, s15
	v_add_co_u32_e64 v30, s[0:1], s14, v30
	v_addc_co_u32_e64 v31, s[0:1], v9, v31, s[0:1]
	global_store_dword v[30:31], v14, off
.LBB85_9:
	s_or_b64 exec, exec, s[4:5]
	s_waitcnt lgkmcnt(0)
	v_ashrrev_i32_e32 v9, 31, v29
	v_lshrrev_b32_e32 v11, 29, v9
	v_add_u32_e32 v13, v29, v11
	v_ashrrev_i32_e32 v11, 3, v13
	v_ashrrev_i32_e32 v13, 31, v13
	v_lshrrev_b32_e32 v13, 27, v13
	v_add_u32_e32 v13, v11, v13
	v_and_b32_e32 v13, 0xffffffe0, v13
	v_sub_u32_e32 v13, v11, v13
	v_cmp_eq_u32_e64 s[0:1], v15, v13
	s_and_saveexec_b64 s[2:3], s[0:1]
	s_cbranch_execz .LBB85_11
; %bb.10:
	v_add_u32_sdwa v9, v29, v9 dst_sel:DWORD dst_unused:UNUSED_PAD src0_sel:DWORD src1_sel:BYTE_3
	v_lshlrev_b32_e32 v11, 3, v11
	v_ashrrev_i32_e32 v9, 8, v9
	v_sub_u32_e32 v11, v29, v11
	v_lshl_add_u32 v9, v9, 3, v11
	v_mov_b32_e32 v11, 0xff800000
	v_cmp_ne_u32_e64 s[0:1], 7, v9
	v_cndmask_b32_e64 v3, v11, v3, s[0:1]
	v_cmp_ne_u32_e64 s[0:1], 6, v9
	v_cndmask_b32_e64 v2, v11, v2, s[0:1]
	;; [unrolled: 2-line block ×8, first 2 shown]
.LBB85_11:
	s_or_b64 exec, exec, s[2:3]
	s_cmp_eq_u32 s8, 1
	s_cbranch_scc1 .LBB85_18
; %bb.12:
	s_add_i32 s23, s23, s22
	s_add_i32 s20, s8, -1
	v_add3_u32 v25, s23, v26, v25
	v_add_u32_e32 v8, 1, v8
	v_add_u32_e32 v10, 1, v10
	;; [unrolled: 1-line block ×3, first 2 shown]
	s_mov_b32 s21, 0x3fb8aa3b
	s_mov_b32 s23, 0xc2ce8ed0
	;; [unrolled: 1-line block ×3, first 2 shown]
	v_mov_b32_e32 v26, 0x7f800000
	v_mov_b32_e32 v29, 0x100
	;; [unrolled: 1-line block ×3, first 2 shown]
	s_branch .LBB85_14
.LBB85_13:                              ;   in Loop: Header=BB85_14 Depth=1
	s_or_b64 exec, exec, s[2:3]
	s_add_i32 s20, s20, -1
	v_add_u32_e32 v25, s22, v25
	v_add_u32_e32 v8, 1, v8
	;; [unrolled: 1-line block ×3, first 2 shown]
	s_cmp_eq_u32 s20, 0
	v_add_u32_e32 v12, 1, v12
	s_cbranch_scc1 .LBB85_18
.LBB85_14:                              ; =>This Inner Loop Header: Depth=1
	v_cmp_gt_f32_e64 s[0:1], v5, v4
	v_cndmask_b32_e64 v11, v4, v5, s[0:1]
	v_cndmask_b32_e64 v9, v17, v18, s[0:1]
	v_cmp_gt_f32_e64 s[0:1], v6, v11
	v_cndmask_b32_e64 v11, v11, v6, s[0:1]
	v_cndmask_b32_e64 v9, v9, v19, s[0:1]
	;; [unrolled: 3-line block ×7, first 2 shown]
	s_nop 0
	v_mov_b32_dpp v13, v9 quad_perm:[1,0,3,2] row_mask:0xf bank_mask:0xf
	v_mov_b32_dpp v31, v11 quad_perm:[1,0,3,2] row_mask:0xf bank_mask:0xf
	v_cmp_eq_f32_e64 s[2:3], v11, v31
	v_cmp_lt_i32_e64 s[4:5], v13, v9
	v_cmp_lt_f32_e64 s[0:1], v11, v31
	s_and_b64 s[2:3], s[2:3], s[4:5]
	s_or_b64 s[0:1], s[0:1], s[2:3]
	v_cndmask_b32_e64 v11, v11, v31, s[0:1]
	v_cndmask_b32_e64 v9, v9, v13, s[0:1]
	s_nop 0
	v_mov_b32_dpp v31, v11 quad_perm:[2,3,0,1] row_mask:0xf bank_mask:0xf
	v_mov_b32_dpp v13, v9 quad_perm:[2,3,0,1] row_mask:0xf bank_mask:0xf
	v_cmp_eq_f32_e64 s[2:3], v11, v31
	v_cmp_lt_i32_e64 s[4:5], v13, v9
	v_cmp_lt_f32_e64 s[0:1], v11, v31
	s_and_b64 s[2:3], s[2:3], s[4:5]
	s_or_b64 s[0:1], s[0:1], s[2:3]
	v_cndmask_b32_e64 v11, v11, v31, s[0:1]
	v_cndmask_b32_e64 v9, v9, v13, s[0:1]
	s_nop 0
	v_mov_b32_dpp v31, v11 row_half_mirror row_mask:0xf bank_mask:0xf
	v_mov_b32_dpp v13, v9 row_half_mirror row_mask:0xf bank_mask:0xf
	v_cmp_eq_f32_e64 s[2:3], v11, v31
	v_cmp_lt_i32_e64 s[4:5], v13, v9
	v_cmp_lt_f32_e64 s[0:1], v11, v31
	s_and_b64 s[2:3], s[2:3], s[4:5]
	s_or_b64 s[0:1], s[0:1], s[2:3]
	v_cndmask_b32_e64 v11, v11, v31, s[0:1]
	v_cndmask_b32_e64 v9, v9, v13, s[0:1]
	s_nop 0
	v_mov_b32_dpp v31, v11 row_mirror row_mask:0xf bank_mask:0xf
	v_mov_b32_dpp v13, v9 row_mirror row_mask:0xf bank_mask:0xf
	v_cmp_eq_f32_e64 s[2:3], v11, v31
	v_cmp_lt_i32_e64 s[4:5], v13, v9
	v_cmp_lt_f32_e64 s[0:1], v11, v31
	s_and_b64 s[2:3], s[2:3], s[4:5]
	s_or_b64 s[0:1], s[0:1], s[2:3]
	v_cndmask_b32_e64 v11, v11, v31, s[0:1]
	v_cndmask_b32_e64 v9, v9, v13, s[0:1]
	s_nop 0
	v_mov_b32_dpp v31, v11 row_bcast:15 row_mask:0xa bank_mask:0xf
	v_mov_b32_dpp v13, v9 row_bcast:15 row_mask:0xa bank_mask:0xf
	v_cmp_eq_f32_e64 s[0:1], v11, v31
	v_cmp_lt_i32_e64 s[2:3], v13, v9
	s_and_b64 s[0:1], s[0:1], s[2:3]
	v_cmp_lt_f32_e64 s[2:3], v11, v31
	v_cndmask_b32_e64 v32, v11, v31, s[0:1]
	s_or_b64 s[0:1], s[2:3], s[0:1]
	v_cndmask_b32_e64 v11, v32, v31, s[2:3]
	v_cndmask_b32_e64 v9, v9, v13, s[0:1]
	ds_bpermute_b32 v31, v27, v9
	ds_bpermute_b32 v9, v27, v11
	s_and_saveexec_b64 s[4:5], vcc
	s_cbranch_execz .LBB85_16
; %bb.15:                               ;   in Loop: Header=BB85_14 Depth=1
	s_waitcnt lgkmcnt(0)
	v_sub_f32_e32 v9, v9, v28
	v_mul_f32_e32 v11, 0x3fb8aa3b, v9
	v_fma_f32 v13, v9, s21, -v11
	v_rndne_f32_e32 v32, v11
	v_fmac_f32_e32 v13, 0x32a5705f, v9
	v_sub_f32_e32 v11, v11, v32
	v_add_f32_e32 v11, v11, v13
	v_exp_f32_e32 v11, v11
	v_cvt_i32_f32_e32 v13, v32
	v_cmp_le_i32_e64 s[0:1], s9, v31
	v_cmp_gt_i32_e64 s[2:3], s10, v31
	s_and_b64 s[2:3], s[0:1], s[2:3]
	v_ldexp_f32 v11, v11, v13
	v_cmp_ngt_f32_e64 s[0:1], s23, v9
	v_ashrrev_i32_e32 v13, 31, v12
	v_cndmask_b32_e64 v11, 0, v11, s[0:1]
	v_cmp_nlt_f32_e64 s[0:1], s24, v9
	v_lshlrev_b64 v[32:33], 2, v[12:13]
	v_cndmask_b32_e64 v34, v26, v11, s[0:1]
	v_mov_b32_e32 v9, s7
	v_add_co_u32_e64 v32, s[0:1], s6, v32
	v_addc_co_u32_e64 v33, s[0:1], v9, v33, s[0:1]
	v_ashrrev_i32_e32 v11, 31, v10
	global_store_dword v[32:33], v34, off
	v_subrev_u32_e32 v9, s9, v31
	s_and_b64 s[0:1], s[16:17], s[2:3]
	v_lshlrev_b64 v[32:33], 2, v[10:11]
	v_cndmask_b32_e64 v9, v29, v9, s[0:1]
	v_mov_b32_e32 v11, s13
	v_add_co_u32_e64 v32, s[0:1], s12, v32
	v_addc_co_u32_e64 v33, s[0:1], v11, v33, s[0:1]
	global_store_dword v[32:33], v9, off
	v_ashrrev_i32_e32 v9, 31, v8
	v_lshlrev_b64 v[32:33], 2, v[8:9]
	v_mov_b32_e32 v9, s15
	v_add_co_u32_e64 v32, s[0:1], s14, v32
	v_addc_co_u32_e64 v33, s[0:1], v9, v33, s[0:1]
	v_add_f32_e32 v16, v16, v34
	global_store_dword v[32:33], v25, off
.LBB85_16:                              ;   in Loop: Header=BB85_14 Depth=1
	s_or_b64 exec, exec, s[4:5]
	s_waitcnt lgkmcnt(0)
	v_ashrrev_i32_e32 v9, 31, v31
	v_lshrrev_b32_e32 v11, 29, v9
	v_add_u32_e32 v13, v31, v11
	v_ashrrev_i32_e32 v11, 3, v13
	v_ashrrev_i32_e32 v13, 31, v13
	v_lshrrev_b32_e32 v13, 27, v13
	v_add_u32_e32 v13, v11, v13
	v_and_b32_e32 v13, 0xffffffe0, v13
	v_sub_u32_e32 v13, v11, v13
	v_cmp_eq_u32_e64 s[0:1], v15, v13
	s_and_saveexec_b64 s[2:3], s[0:1]
	s_cbranch_execz .LBB85_13
; %bb.17:                               ;   in Loop: Header=BB85_14 Depth=1
	v_add_u32_sdwa v9, v31, v9 dst_sel:DWORD dst_unused:UNUSED_PAD src0_sel:DWORD src1_sel:BYTE_3
	v_lshlrev_b32_e32 v11, 3, v11
	v_ashrrev_i32_e32 v9, 8, v9
	v_sub_u32_e32 v11, v31, v11
	v_lshl_add_u32 v9, v9, 3, v11
	v_cmp_ne_u32_e64 s[0:1], 7, v9
	v_cndmask_b32_e64 v3, v30, v3, s[0:1]
	v_cmp_ne_u32_e64 s[0:1], 6, v9
	v_cndmask_b32_e64 v2, v30, v2, s[0:1]
	;; [unrolled: 2-line block ×8, first 2 shown]
	s_branch .LBB85_13
.LBB85_18:
	v_cmp_eq_u32_e32 vcc, 0, v15
	v_cmp_neq_f32_e64 s[0:1], 0, v16
	s_and_b64 s[0:1], vcc, s[0:1]
	s_and_b64 exec, exec, s[0:1]
	s_cbranch_execz .LBB85_29
; %bb.19:
	s_andn2_b64 vcc, exec, s[18:19]
	s_cbranch_vccnz .LBB85_29
; %bb.20:
	v_div_scale_f32 v0, s[0:1], v16, v16, 1.0
	v_rcp_f32_e32 v1, v0
	v_div_scale_f32 v2, vcc, 1.0, v16, 1.0
	s_cmp_gt_u32 s8, 3
	v_fma_f32 v3, -v0, v1, 1.0
	v_fmac_f32_e32 v1, v3, v1
	v_mul_f32_e32 v3, v2, v1
	v_fma_f32 v4, -v0, v3, v2
	v_fmac_f32_e32 v3, v4, v1
	v_fma_f32 v0, -v0, v3, v2
	v_div_fmas_f32 v0, v0, v1, v3
	v_mul_lo_u32 v2, v14, s11
	v_div_fixup_f32 v0, v0, v16, 1.0
	v_ashrrev_i32_e32 v3, 31, v2
	s_cbranch_scc0 .LBB85_24
; %bb.21:
	v_lshlrev_b64 v[4:5], 2, v[2:3]
	v_mov_b32_e32 v6, s7
	v_add_co_u32_e32 v4, vcc, s6, v4
	v_addc_co_u32_e32 v5, vcc, v5, v6, vcc
	s_and_b32 s4, s8, 0x7ffffffc
	v_add_co_u32_e32 v4, vcc, 8, v4
	v_mov_b32_e32 v1, v0
	v_addc_co_u32_e32 v5, vcc, 0, v5, vcc
	s_mov_b32 s0, s4
.LBB85_22:                              ; =>This Inner Loop Header: Depth=1
	global_load_dwordx4 v[6:9], v[4:5], off offset:-8
	s_add_i32 s0, s0, -4
	s_cmp_lg_u32 s0, 0
	s_waitcnt vmcnt(0)
	v_pk_mul_f32 v[6:7], v[0:1], v[6:7]
	v_pk_mul_f32 v[8:9], v[0:1], v[8:9]
	global_store_dwordx4 v[4:5], v[6:9], off offset:-8
	v_add_co_u32_e32 v4, vcc, 16, v4
	v_addc_co_u32_e32 v5, vcc, 0, v5, vcc
	s_cbranch_scc1 .LBB85_22
; %bb.23:
	s_cmp_lg_u32 s4, s8
	s_cselect_b64 s[0:1], -1, 0
	s_branch .LBB85_26
.LBB85_24:
	s_mov_b64 s[0:1], 0
                                        ; implicit-def: $sgpr4
	s_cbranch_execz .LBB85_26
; %bb.25:
	s_mov_b64 s[0:1], -1
	s_mov_b32 s4, 0
.LBB85_26:
	s_andn2_b64 vcc, exec, s[0:1]
	s_cbranch_vccnz .LBB85_29
; %bb.27:
	v_add_co_u32_e32 v2, vcc, s4, v2
	v_addc_co_u32_e32 v3, vcc, 0, v3, vcc
	v_lshlrev_b64 v[2:3], 2, v[2:3]
	v_mov_b32_e32 v1, s7
	v_add_co_u32_e32 v2, vcc, s6, v2
	s_sub_i32 s0, s8, s4
	v_addc_co_u32_e32 v3, vcc, v1, v3, vcc
.LBB85_28:                              ; =>This Inner Loop Header: Depth=1
	global_load_dword v1, v[2:3], off
	s_add_i32 s0, s0, -1
	s_cmp_lg_u32 s0, 0
	s_waitcnt vmcnt(0)
	v_mul_f32_e32 v1, v0, v1
	global_store_dword v[2:3], v1, off
	v_add_co_u32_e32 v2, vcc, 4, v2
	v_addc_co_u32_e32 v3, vcc, 0, v3, vcc
	s_cbranch_scc1 .LBB85_28
.LBB85_29:
	s_endpgm
	.section	.rodata,"a",@progbits
	.p2align	6, 0x0
	.amdhsa_kernel _ZN4vllm3moe17topkGatingSoftmaxIfLi8ELi256ELi8ELi32ELb1ELi2ELNS0_23SharedExpertScoringFuncE1EEEvPKT_PKbPfiPiS9_iiiiii
		.amdhsa_group_segment_fixed_size 0
		.amdhsa_private_segment_fixed_size 0
		.amdhsa_kernarg_size 72
		.amdhsa_user_sgpr_count 6
		.amdhsa_user_sgpr_private_segment_buffer 1
		.amdhsa_user_sgpr_dispatch_ptr 0
		.amdhsa_user_sgpr_queue_ptr 0
		.amdhsa_user_sgpr_kernarg_segment_ptr 1
		.amdhsa_user_sgpr_dispatch_id 0
		.amdhsa_user_sgpr_flat_scratch_init 0
		.amdhsa_user_sgpr_kernarg_preload_length 0
		.amdhsa_user_sgpr_kernarg_preload_offset 0
		.amdhsa_user_sgpr_private_segment_size 0
		.amdhsa_uses_dynamic_stack 0
		.amdhsa_system_sgpr_private_segment_wavefront_offset 0
		.amdhsa_system_sgpr_workgroup_id_x 1
		.amdhsa_system_sgpr_workgroup_id_y 0
		.amdhsa_system_sgpr_workgroup_id_z 0
		.amdhsa_system_sgpr_workgroup_info 0
		.amdhsa_system_vgpr_workitem_id 1
		.amdhsa_next_free_vgpr 35
		.amdhsa_next_free_sgpr 25
		.amdhsa_accum_offset 36
		.amdhsa_reserve_vcc 1
		.amdhsa_reserve_flat_scratch 0
		.amdhsa_float_round_mode_32 0
		.amdhsa_float_round_mode_16_64 0
		.amdhsa_float_denorm_mode_32 3
		.amdhsa_float_denorm_mode_16_64 3
		.amdhsa_dx10_clamp 1
		.amdhsa_ieee_mode 1
		.amdhsa_fp16_overflow 0
		.amdhsa_tg_split 0
		.amdhsa_exception_fp_ieee_invalid_op 0
		.amdhsa_exception_fp_denorm_src 0
		.amdhsa_exception_fp_ieee_div_zero 0
		.amdhsa_exception_fp_ieee_overflow 0
		.amdhsa_exception_fp_ieee_underflow 0
		.amdhsa_exception_fp_ieee_inexact 0
		.amdhsa_exception_int_div_zero 0
	.end_amdhsa_kernel
	.section	.text._ZN4vllm3moe17topkGatingSoftmaxIfLi8ELi256ELi8ELi32ELb1ELi2ELNS0_23SharedExpertScoringFuncE1EEEvPKT_PKbPfiPiS9_iiiiii,"axG",@progbits,_ZN4vllm3moe17topkGatingSoftmaxIfLi8ELi256ELi8ELi32ELb1ELi2ELNS0_23SharedExpertScoringFuncE1EEEvPKT_PKbPfiPiS9_iiiiii,comdat
.Lfunc_end85:
	.size	_ZN4vllm3moe17topkGatingSoftmaxIfLi8ELi256ELi8ELi32ELb1ELi2ELNS0_23SharedExpertScoringFuncE1EEEvPKT_PKbPfiPiS9_iiiiii, .Lfunc_end85-_ZN4vllm3moe17topkGatingSoftmaxIfLi8ELi256ELi8ELi32ELb1ELi2ELNS0_23SharedExpertScoringFuncE1EEEvPKT_PKbPfiPiS9_iiiiii
                                        ; -- End function
	.section	.AMDGPU.csdata,"",@progbits
; Kernel info:
; codeLenInByte = 3008
; NumSgprs: 29
; NumVgprs: 35
; NumAgprs: 0
; TotalNumVgprs: 35
; ScratchSize: 0
; MemoryBound: 0
; FloatMode: 240
; IeeeMode: 1
; LDSByteSize: 0 bytes/workgroup (compile time only)
; SGPRBlocks: 3
; VGPRBlocks: 4
; NumSGPRsForWavesPerEU: 29
; NumVGPRsForWavesPerEU: 35
; AccumOffset: 36
; Occupancy: 8
; WaveLimiterHint : 0
; COMPUTE_PGM_RSRC2:SCRATCH_EN: 0
; COMPUTE_PGM_RSRC2:USER_SGPR: 6
; COMPUTE_PGM_RSRC2:TRAP_HANDLER: 0
; COMPUTE_PGM_RSRC2:TGID_X_EN: 1
; COMPUTE_PGM_RSRC2:TGID_Y_EN: 0
; COMPUTE_PGM_RSRC2:TGID_Z_EN: 0
; COMPUTE_PGM_RSRC2:TIDIG_COMP_CNT: 1
; COMPUTE_PGM_RSRC3_GFX90A:ACCUM_OFFSET: 8
; COMPUTE_PGM_RSRC3_GFX90A:TG_SPLIT: 0
	.section	.text._ZN4vllm3moe17topkGatingSoftmaxIfLi8ELi256ELi8ELi32ELb0ELi2ELNS0_23SharedExpertScoringFuncE1EEEvPKT_PKbPfiPiS9_iiiiii,"axG",@progbits,_ZN4vllm3moe17topkGatingSoftmaxIfLi8ELi256ELi8ELi32ELb0ELi2ELNS0_23SharedExpertScoringFuncE1EEEvPKT_PKbPfiPiS9_iiiiii,comdat
	.protected	_ZN4vllm3moe17topkGatingSoftmaxIfLi8ELi256ELi8ELi32ELb0ELi2ELNS0_23SharedExpertScoringFuncE1EEEvPKT_PKbPfiPiS9_iiiiii ; -- Begin function _ZN4vllm3moe17topkGatingSoftmaxIfLi8ELi256ELi8ELi32ELb0ELi2ELNS0_23SharedExpertScoringFuncE1EEEvPKT_PKbPfiPiS9_iiiiii
	.globl	_ZN4vllm3moe17topkGatingSoftmaxIfLi8ELi256ELi8ELi32ELb0ELi2ELNS0_23SharedExpertScoringFuncE1EEEvPKT_PKbPfiPiS9_iiiiii
	.p2align	8
	.type	_ZN4vllm3moe17topkGatingSoftmaxIfLi8ELi256ELi8ELi32ELb0ELi2ELNS0_23SharedExpertScoringFuncE1EEEvPKT_PKbPfiPiS9_iiiiii,@function
_ZN4vllm3moe17topkGatingSoftmaxIfLi8ELi256ELi8ELi32ELb0ELi2ELNS0_23SharedExpertScoringFuncE1EEEvPKT_PKbPfiPiS9_iiiiii: ; @_ZN4vllm3moe17topkGatingSoftmaxIfLi8ELi256ELi8ELi32ELb0ELi2ELNS0_23SharedExpertScoringFuncE1EEEvPKT_PKbPfiPiS9_iiiiii
; %bb.0:
	s_load_dword s22, s[4:5], 0x18
	v_bfe_u32 v1, v0, 10, 10
	v_and_b32_e32 v0, 0x3ff, v0
	s_lshl_b32 s23, s6, 4
	v_lshlrev_b32_e32 v27, 1, v1
	v_lshrrev_b32_e32 v28, 5, v0
	v_add3_u32 v14, s23, v27, v28
	s_waitcnt lgkmcnt(0)
	v_cmp_gt_i32_e32 vcc, s22, v14
	s_and_saveexec_b64 s[0:1], vcc
	s_cbranch_execz .LBB86_31
; %bb.1:
	s_load_dwordx4 s[0:3], s[4:5], 0x0
	s_load_dwordx2 s[6:7], s[4:5], 0x10
	s_waitcnt lgkmcnt(0)
	s_cmp_eq_u64 s[2:3], 0
	s_cbranch_scc1 .LBB86_3
; %bb.2:
	v_ashrrev_i32_e32 v1, 31, v14
	v_mov_b32_e32 v3, s3
	v_add_co_u32_e32 v2, vcc, s2, v14
	v_addc_co_u32_e32 v3, vcc, v3, v1, vcc
	global_load_ubyte v1, v[2:3], off
	s_waitcnt vmcnt(0)
	v_and_b32_e32 v1, 1, v1
	v_cmp_eq_u32_e32 vcc, 1, v1
	s_xor_b64 s[2:3], vcc, -1
	s_orn2_b64 s[16:17], s[2:3], exec
	s_branch .LBB86_4
.LBB86_3:
	s_mov_b64 s[16:17], -1
.LBB86_4:
	s_load_dwordx2 s[20:21], s[4:5], 0x40
	s_load_dwordx4 s[8:11], s[4:5], 0x30
	v_mov_b32_e32 v1, s1
	v_and_b32_e32 v15, 31, v0
	v_lshlrev_b32_e32 v0, 5, v15
	s_waitcnt lgkmcnt(0)
	v_mul_lo_u32 v2, v14, s21
	v_ashrrev_i32_e32 v3, 31, v2
	v_lshlrev_b64 v[2:3], 2, v[2:3]
	v_add_co_u32_e32 v8, vcc, s0, v2
	v_addc_co_u32_e32 v9, vcc, v1, v3, vcc
	v_add_co_u32_e32 v10, vcc, v8, v0
	v_addc_co_u32_e32 v11, vcc, 0, v9, vcc
	global_load_dwordx4 v[0:3], v[10:11], off offset:16
	global_load_dwordx4 v[4:7], v[10:11], off
	v_lshlrev_b32_e32 v17, 3, v15
	v_mov_b32_e32 v16, 0
	v_cmp_gt_u32_e32 vcc, 2, v15
	s_and_saveexec_b64 s[0:1], vcc
	s_cbranch_execz .LBB86_6
; %bb.5:
	v_lshlrev_b32_e32 v10, 2, v15
	v_add_co_u32_e32 v8, vcc, v8, v10
	v_addc_co_u32_e32 v9, vcc, 0, v9, vcc
	global_load_dword v10, v[8:9], off offset:1024
	s_mov_b32 s2, 0xbfb8aa3b
	s_mov_b32 s3, 0x42ce8ed0
	;; [unrolled: 1-line block ×3, first 2 shown]
	v_mov_b32_e32 v11, 0x7f800000
	v_mul_lo_u32 v8, v14, s11
	v_add3_u32 v8, v8, s8, v15
	v_mov_b32_e32 v18, s7
	s_waitcnt vmcnt(0)
	v_mul_f32_e32 v9, 0xbfb8aa3b, v10
	v_fma_f32 v12, v10, s2, -v9
	v_rndne_f32_e32 v13, v9
	v_fmac_f32_e32 v12, 0xb2a5705f, v10
	v_sub_f32_e32 v9, v9, v13
	v_add_f32_e32 v9, v9, v12
	v_cvt_i32_f32_e32 v13, v13
	v_exp_f32_e32 v12, v9
	v_cmp_nlt_f32_e32 vcc, s3, v10
	v_ashrrev_i32_e32 v9, 31, v8
	v_lshlrev_b64 v[8:9], 2, v[8:9]
	v_ldexp_f32 v12, v12, v13
	v_cndmask_b32_e32 v12, 0, v12, vcc
	v_cmp_ngt_f32_e32 vcc, s12, v10
	v_cndmask_b32_e32 v10, v11, v12, vcc
	v_add_f32_e32 v10, 1.0, v10
	v_div_scale_f32 v11, s[2:3], v10, v10, 1.0
	v_rcp_f32_e32 v12, v11
	v_div_scale_f32 v13, vcc, 1.0, v10, 1.0
	v_fma_f32 v19, -v11, v12, 1.0
	v_fmac_f32_e32 v12, v19, v12
	v_mul_f32_e32 v19, v13, v12
	v_fma_f32 v20, -v11, v19, v13
	v_fmac_f32_e32 v19, v20, v12
	v_fma_f32 v11, -v11, v19, v13
	v_div_fmas_f32 v11, v11, v12, v19
	v_add_co_u32_e32 v8, vcc, s6, v8
	v_div_fixup_f32 v10, v11, v10, 1.0
	v_addc_co_u32_e32 v9, vcc, v18, v9, vcc
	global_store_dword v[8:9], v10, off
.LBB86_6:
	s_or_b64 exec, exec, s[0:1]
	s_waitcnt vmcnt(0)
	v_cmp_lt_f32_e32 vcc, v4, v5
	v_or_b32_e32 v20, 1, v17
	v_cndmask_b32_e32 v9, v4, v5, vcc
	v_cndmask_b32_e32 v8, v17, v20, vcc
	v_cmp_lt_f32_e32 vcc, v9, v6
	v_or_b32_e32 v21, 2, v17
	v_cndmask_b32_e32 v9, v9, v6, vcc
	v_cndmask_b32_e32 v8, v8, v21, vcc
	;; [unrolled: 4-line block ×6, first 2 shown]
	v_or_b32_e32 v26, 7, v17
	v_cmp_lt_f32_e32 vcc, v9, v3
	v_cndmask_b32_e32 v8, v8, v26, vcc
	v_cndmask_b32_e32 v9, v9, v3, vcc
	s_nop 0
	v_mov_b32_dpp v10, v8 quad_perm:[1,0,3,2] row_mask:0xf bank_mask:0xf
	v_mov_b32_dpp v11, v9 quad_perm:[1,0,3,2] row_mask:0xf bank_mask:0xf
	v_cmp_eq_f32_e64 s[0:1], v9, v11
	v_cmp_lt_i32_e64 s[2:3], v10, v8
	v_cmp_lt_f32_e32 vcc, v9, v11
	s_and_b64 s[0:1], s[0:1], s[2:3]
	s_or_b64 vcc, vcc, s[0:1]
	v_cndmask_b32_e32 v9, v9, v11, vcc
	v_cndmask_b32_e32 v8, v8, v10, vcc
	s_nop 0
	v_mov_b32_dpp v11, v9 quad_perm:[2,3,0,1] row_mask:0xf bank_mask:0xf
	v_mov_b32_dpp v10, v8 quad_perm:[2,3,0,1] row_mask:0xf bank_mask:0xf
	v_cmp_eq_f32_e64 s[0:1], v9, v11
	v_cmp_lt_i32_e64 s[2:3], v10, v8
	v_cmp_lt_f32_e32 vcc, v9, v11
	s_and_b64 s[0:1], s[0:1], s[2:3]
	s_or_b64 vcc, vcc, s[0:1]
	v_cndmask_b32_e32 v9, v9, v11, vcc
	v_cndmask_b32_e32 v8, v8, v10, vcc
	s_nop 0
	v_mov_b32_dpp v11, v9 row_half_mirror row_mask:0xf bank_mask:0xf
	v_mov_b32_dpp v10, v8 row_half_mirror row_mask:0xf bank_mask:0xf
	v_cmp_eq_f32_e64 s[0:1], v9, v11
	v_cmp_lt_i32_e64 s[2:3], v10, v8
	v_cmp_lt_f32_e32 vcc, v9, v11
	s_and_b64 s[0:1], s[0:1], s[2:3]
	s_or_b64 vcc, vcc, s[0:1]
	v_cndmask_b32_e32 v9, v9, v11, vcc
	v_cndmask_b32_e32 v8, v8, v10, vcc
	s_nop 0
	v_mov_b32_dpp v11, v9 row_mirror row_mask:0xf bank_mask:0xf
	v_mov_b32_dpp v10, v8 row_mirror row_mask:0xf bank_mask:0xf
	v_cmp_eq_f32_e64 s[0:1], v9, v11
	v_cmp_lt_i32_e64 s[2:3], v10, v8
	v_cmp_lt_f32_e32 vcc, v9, v11
	s_and_b64 s[0:1], s[0:1], s[2:3]
	s_or_b64 vcc, vcc, s[0:1]
	v_cndmask_b32_e32 v9, v9, v11, vcc
	v_cndmask_b32_e32 v8, v8, v10, vcc
	s_nop 0
	v_mov_b32_dpp v11, v9 row_bcast:15 row_mask:0xa bank_mask:0xf
	v_mov_b32_dpp v10, v8 row_bcast:15 row_mask:0xa bank_mask:0xf
	v_cmp_eq_f32_e32 vcc, v9, v11
	v_cmp_lt_i32_e64 s[0:1], v10, v8
	s_and_b64 vcc, vcc, s[0:1]
	v_cmp_lt_f32_e64 s[0:1], v9, v11
	v_cndmask_b32_e32 v12, v9, v11, vcc
	s_or_b64 vcc, s[0:1], vcc
	v_cndmask_b32_e32 v8, v8, v10, vcc
	v_mbcnt_lo_u32_b32 v10, -1, 0
	v_cndmask_b32_e64 v9, v12, v11, s[0:1]
	v_mbcnt_hi_u32_b32 v10, -1, v10
	v_mov_b32_e32 v11, 0x7c
	v_lshl_or_b32 v18, v10, 2, v11
	ds_bpermute_b32 v29, v18, v8
	ds_bpermute_b32 v19, v18, v9
	s_cmp_gt_i32 s8, 0
	s_cselect_b64 s[18:19], -1, 0
	s_cmp_lt_i32 s8, 1
	v_cmp_eq_u32_e32 vcc, 0, v15
	s_cbranch_scc1 .LBB86_18
; %bb.7:
	s_load_dwordx4 s[12:15], s[4:5], 0x20
	v_mul_lo_u32 v12, v14, s11
	v_mul_lo_u32 v10, v14, s20
	;; [unrolled: 1-line block ×3, first 2 shown]
	v_mov_b32_e32 v16, 0
	s_and_saveexec_b64 s[4:5], vcc
	s_cbranch_execz .LBB86_9
; %bb.8:
	s_waitcnt lgkmcnt(0)
	v_sub_f32_e32 v9, v19, v19
	v_mul_f32_e32 v11, 0x3fb8aa3b, v9
	s_mov_b32 s0, 0x3fb8aa3b
	v_rndne_f32_e32 v13, v11
	v_sub_f32_e32 v16, v11, v13
	v_fma_f32 v11, v9, s0, -v11
	v_fmac_f32_e32 v11, 0x32a5705f, v9
	v_add_f32_e32 v11, v16, v11
	v_exp_f32_e32 v11, v11
	v_cvt_i32_f32_e32 v13, v13
	v_cmp_le_i32_e64 s[0:1], s9, v29
	v_cmp_gt_i32_e64 s[2:3], s10, v29
	s_and_b64 s[2:3], s[0:1], s[2:3]
	s_mov_b32 s0, 0xc2ce8ed0
	v_ldexp_f32 v11, v11, v13
	v_cmp_ngt_f32_e64 s[0:1], s0, v9
	v_cndmask_b32_e64 v11, 0, v11, s[0:1]
	s_mov_b32 s0, 0x42b17218
	v_mov_b32_e32 v13, 0x7f800000
	v_cmp_nlt_f32_e64 s[0:1], s0, v9
	v_cndmask_b32_e64 v16, v13, v11, s[0:1]
	v_ashrrev_i32_e32 v13, 31, v12
	v_lshlrev_b64 v[30:31], 2, v[12:13]
	v_mov_b32_e32 v9, s7
	v_add_co_u32_e64 v30, s[0:1], s6, v30
	v_addc_co_u32_e64 v31, s[0:1], v9, v31, s[0:1]
	v_subrev_u32_e32 v9, s9, v29
	v_mov_b32_e32 v11, 0x100
	s_and_b64 s[0:1], s[16:17], s[2:3]
	v_cndmask_b32_e64 v9, v11, v9, s[0:1]
	v_ashrrev_i32_e32 v11, 31, v10
	global_store_dword v[30:31], v16, off
	v_lshlrev_b64 v[30:31], 2, v[10:11]
	v_mov_b32_e32 v11, s13
	v_add_co_u32_e64 v30, s[0:1], s12, v30
	v_addc_co_u32_e64 v31, s[0:1], v11, v31, s[0:1]
	global_store_dword v[30:31], v9, off
	v_ashrrev_i32_e32 v9, 31, v8
	v_lshlrev_b64 v[30:31], 2, v[8:9]
	v_mov_b32_e32 v9, s15
	v_add_co_u32_e64 v30, s[0:1], s14, v30
	v_addc_co_u32_e64 v31, s[0:1], v9, v31, s[0:1]
	global_store_dword v[30:31], v14, off
.LBB86_9:
	s_or_b64 exec, exec, s[4:5]
	s_waitcnt lgkmcnt(0)
	v_ashrrev_i32_e32 v9, 31, v29
	v_lshrrev_b32_e32 v11, 29, v9
	v_add_u32_e32 v13, v29, v11
	v_ashrrev_i32_e32 v11, 3, v13
	v_ashrrev_i32_e32 v13, 31, v13
	v_lshrrev_b32_e32 v13, 27, v13
	v_add_u32_e32 v13, v11, v13
	v_and_b32_e32 v13, 0xffffffe0, v13
	v_sub_u32_e32 v13, v11, v13
	v_cmp_eq_u32_e64 s[0:1], v15, v13
	s_and_saveexec_b64 s[2:3], s[0:1]
	s_cbranch_execz .LBB86_11
; %bb.10:
	v_add_u32_sdwa v9, v29, v9 dst_sel:DWORD dst_unused:UNUSED_PAD src0_sel:DWORD src1_sel:BYTE_3
	v_lshlrev_b32_e32 v11, 3, v11
	v_ashrrev_i32_e32 v9, 8, v9
	v_sub_u32_e32 v11, v29, v11
	v_lshl_add_u32 v9, v9, 3, v11
	v_mov_b32_e32 v11, 0xff800000
	v_cmp_ne_u32_e64 s[0:1], 7, v9
	v_cndmask_b32_e64 v3, v11, v3, s[0:1]
	v_cmp_ne_u32_e64 s[0:1], 6, v9
	v_cndmask_b32_e64 v2, v11, v2, s[0:1]
	;; [unrolled: 2-line block ×8, first 2 shown]
.LBB86_11:
	s_or_b64 exec, exec, s[2:3]
	s_cmp_eq_u32 s8, 1
	s_cbranch_scc1 .LBB86_18
; %bb.12:
	s_add_i32 s23, s23, s22
	s_add_i32 s20, s8, -1
	v_add3_u32 v27, s23, v28, v27
	v_add_u32_e32 v8, 1, v8
	v_add_u32_e32 v10, 1, v10
	;; [unrolled: 1-line block ×3, first 2 shown]
	s_mov_b32 s21, 0x3fb8aa3b
	s_mov_b32 s23, 0xc2ce8ed0
	;; [unrolled: 1-line block ×3, first 2 shown]
	v_mov_b32_e32 v28, 0x7f800000
	v_mov_b32_e32 v29, 0x100
	;; [unrolled: 1-line block ×3, first 2 shown]
	s_branch .LBB86_14
.LBB86_13:                              ;   in Loop: Header=BB86_14 Depth=1
	s_or_b64 exec, exec, s[2:3]
	s_add_i32 s20, s20, -1
	v_add_u32_e32 v27, s22, v27
	v_add_u32_e32 v8, 1, v8
	;; [unrolled: 1-line block ×3, first 2 shown]
	s_cmp_eq_u32 s20, 0
	v_add_u32_e32 v12, 1, v12
	s_cbranch_scc1 .LBB86_18
.LBB86_14:                              ; =>This Inner Loop Header: Depth=1
	v_cmp_gt_f32_e64 s[0:1], v5, v4
	v_cndmask_b32_e64 v11, v4, v5, s[0:1]
	v_cndmask_b32_e64 v9, v17, v20, s[0:1]
	v_cmp_gt_f32_e64 s[0:1], v6, v11
	v_cndmask_b32_e64 v11, v11, v6, s[0:1]
	v_cndmask_b32_e64 v9, v9, v21, s[0:1]
	;; [unrolled: 3-line block ×7, first 2 shown]
	s_nop 0
	v_mov_b32_dpp v13, v9 quad_perm:[1,0,3,2] row_mask:0xf bank_mask:0xf
	v_mov_b32_dpp v31, v11 quad_perm:[1,0,3,2] row_mask:0xf bank_mask:0xf
	v_cmp_eq_f32_e64 s[2:3], v11, v31
	v_cmp_lt_i32_e64 s[4:5], v13, v9
	v_cmp_lt_f32_e64 s[0:1], v11, v31
	s_and_b64 s[2:3], s[2:3], s[4:5]
	s_or_b64 s[0:1], s[0:1], s[2:3]
	v_cndmask_b32_e64 v11, v11, v31, s[0:1]
	v_cndmask_b32_e64 v9, v9, v13, s[0:1]
	s_nop 0
	v_mov_b32_dpp v31, v11 quad_perm:[2,3,0,1] row_mask:0xf bank_mask:0xf
	v_mov_b32_dpp v13, v9 quad_perm:[2,3,0,1] row_mask:0xf bank_mask:0xf
	v_cmp_eq_f32_e64 s[2:3], v11, v31
	v_cmp_lt_i32_e64 s[4:5], v13, v9
	v_cmp_lt_f32_e64 s[0:1], v11, v31
	s_and_b64 s[2:3], s[2:3], s[4:5]
	s_or_b64 s[0:1], s[0:1], s[2:3]
	v_cndmask_b32_e64 v11, v11, v31, s[0:1]
	v_cndmask_b32_e64 v9, v9, v13, s[0:1]
	s_nop 0
	v_mov_b32_dpp v31, v11 row_half_mirror row_mask:0xf bank_mask:0xf
	v_mov_b32_dpp v13, v9 row_half_mirror row_mask:0xf bank_mask:0xf
	v_cmp_eq_f32_e64 s[2:3], v11, v31
	v_cmp_lt_i32_e64 s[4:5], v13, v9
	v_cmp_lt_f32_e64 s[0:1], v11, v31
	s_and_b64 s[2:3], s[2:3], s[4:5]
	s_or_b64 s[0:1], s[0:1], s[2:3]
	v_cndmask_b32_e64 v11, v11, v31, s[0:1]
	v_cndmask_b32_e64 v9, v9, v13, s[0:1]
	s_nop 0
	v_mov_b32_dpp v31, v11 row_mirror row_mask:0xf bank_mask:0xf
	v_mov_b32_dpp v13, v9 row_mirror row_mask:0xf bank_mask:0xf
	v_cmp_eq_f32_e64 s[2:3], v11, v31
	v_cmp_lt_i32_e64 s[4:5], v13, v9
	v_cmp_lt_f32_e64 s[0:1], v11, v31
	s_and_b64 s[2:3], s[2:3], s[4:5]
	s_or_b64 s[0:1], s[0:1], s[2:3]
	v_cndmask_b32_e64 v11, v11, v31, s[0:1]
	v_cndmask_b32_e64 v9, v9, v13, s[0:1]
	s_nop 0
	v_mov_b32_dpp v31, v11 row_bcast:15 row_mask:0xa bank_mask:0xf
	v_mov_b32_dpp v13, v9 row_bcast:15 row_mask:0xa bank_mask:0xf
	v_cmp_eq_f32_e64 s[0:1], v11, v31
	v_cmp_lt_i32_e64 s[2:3], v13, v9
	s_and_b64 s[0:1], s[0:1], s[2:3]
	v_cmp_lt_f32_e64 s[2:3], v11, v31
	v_cndmask_b32_e64 v32, v11, v31, s[0:1]
	s_or_b64 s[0:1], s[2:3], s[0:1]
	v_cndmask_b32_e64 v11, v32, v31, s[2:3]
	v_cndmask_b32_e64 v9, v9, v13, s[0:1]
	ds_bpermute_b32 v31, v18, v9
	ds_bpermute_b32 v9, v18, v11
	s_and_saveexec_b64 s[4:5], vcc
	s_cbranch_execz .LBB86_16
; %bb.15:                               ;   in Loop: Header=BB86_14 Depth=1
	s_waitcnt lgkmcnt(0)
	v_sub_f32_e32 v9, v9, v19
	v_mul_f32_e32 v11, 0x3fb8aa3b, v9
	v_fma_f32 v13, v9, s21, -v11
	v_rndne_f32_e32 v32, v11
	v_fmac_f32_e32 v13, 0x32a5705f, v9
	v_sub_f32_e32 v11, v11, v32
	v_add_f32_e32 v11, v11, v13
	v_exp_f32_e32 v11, v11
	v_cvt_i32_f32_e32 v13, v32
	v_cmp_le_i32_e64 s[0:1], s9, v31
	v_cmp_gt_i32_e64 s[2:3], s10, v31
	s_and_b64 s[2:3], s[0:1], s[2:3]
	v_ldexp_f32 v11, v11, v13
	v_cmp_ngt_f32_e64 s[0:1], s23, v9
	v_ashrrev_i32_e32 v13, 31, v12
	v_cndmask_b32_e64 v11, 0, v11, s[0:1]
	v_cmp_nlt_f32_e64 s[0:1], s24, v9
	v_lshlrev_b64 v[32:33], 2, v[12:13]
	v_cndmask_b32_e64 v34, v28, v11, s[0:1]
	v_mov_b32_e32 v9, s7
	v_add_co_u32_e64 v32, s[0:1], s6, v32
	v_addc_co_u32_e64 v33, s[0:1], v9, v33, s[0:1]
	v_ashrrev_i32_e32 v11, 31, v10
	global_store_dword v[32:33], v34, off
	v_subrev_u32_e32 v9, s9, v31
	s_and_b64 s[0:1], s[16:17], s[2:3]
	v_lshlrev_b64 v[32:33], 2, v[10:11]
	v_cndmask_b32_e64 v9, v29, v9, s[0:1]
	v_mov_b32_e32 v11, s13
	v_add_co_u32_e64 v32, s[0:1], s12, v32
	v_addc_co_u32_e64 v33, s[0:1], v11, v33, s[0:1]
	global_store_dword v[32:33], v9, off
	v_ashrrev_i32_e32 v9, 31, v8
	v_lshlrev_b64 v[32:33], 2, v[8:9]
	v_mov_b32_e32 v9, s15
	v_add_co_u32_e64 v32, s[0:1], s14, v32
	v_addc_co_u32_e64 v33, s[0:1], v9, v33, s[0:1]
	v_add_f32_e32 v16, v16, v34
	global_store_dword v[32:33], v27, off
.LBB86_16:                              ;   in Loop: Header=BB86_14 Depth=1
	s_or_b64 exec, exec, s[4:5]
	s_waitcnt lgkmcnt(0)
	v_ashrrev_i32_e32 v9, 31, v31
	v_lshrrev_b32_e32 v11, 29, v9
	v_add_u32_e32 v13, v31, v11
	v_ashrrev_i32_e32 v11, 3, v13
	v_ashrrev_i32_e32 v13, 31, v13
	v_lshrrev_b32_e32 v13, 27, v13
	v_add_u32_e32 v13, v11, v13
	v_and_b32_e32 v13, 0xffffffe0, v13
	v_sub_u32_e32 v13, v11, v13
	v_cmp_eq_u32_e64 s[0:1], v15, v13
	s_and_saveexec_b64 s[2:3], s[0:1]
	s_cbranch_execz .LBB86_13
; %bb.17:                               ;   in Loop: Header=BB86_14 Depth=1
	v_add_u32_sdwa v9, v31, v9 dst_sel:DWORD dst_unused:UNUSED_PAD src0_sel:DWORD src1_sel:BYTE_3
	v_lshlrev_b32_e32 v11, 3, v11
	v_ashrrev_i32_e32 v9, 8, v9
	v_sub_u32_e32 v11, v31, v11
	v_lshl_add_u32 v9, v9, 3, v11
	v_cmp_ne_u32_e64 s[0:1], 7, v9
	v_cndmask_b32_e64 v3, v30, v3, s[0:1]
	v_cmp_ne_u32_e64 s[0:1], 6, v9
	v_cndmask_b32_e64 v2, v30, v2, s[0:1]
	;; [unrolled: 2-line block ×8, first 2 shown]
	s_branch .LBB86_13
.LBB86_18:
	s_waitcnt lgkmcnt(0)
	v_sub_f32_e32 v4, v4, v19
	s_mov_b32 s0, 0x3fb8aa3b
	v_mul_f32_e32 v8, 0x3fb8aa3b, v4
	v_fma_f32 v9, v4, s0, -v8
	v_rndne_f32_e32 v10, v8
	v_fmac_f32_e32 v9, 0x32a5705f, v4
	v_sub_f32_e32 v8, v8, v10
	v_add_f32_e32 v8, v8, v9
	v_exp_f32_e32 v8, v8
	v_cvt_i32_f32_e32 v9, v10
	v_sub_f32_e32 v5, v5, v19
	s_mov_b32 s1, 0xc2ce8ed0
	v_cmp_ngt_f32_e32 vcc, s1, v4
	v_ldexp_f32 v8, v8, v9
	v_mul_f32_e32 v9, 0x3fb8aa3b, v5
	v_fma_f32 v10, v5, s0, -v9
	v_rndne_f32_e32 v11, v9
	v_fmac_f32_e32 v10, 0x32a5705f, v5
	v_sub_f32_e32 v9, v9, v11
	v_add_f32_e32 v9, v9, v10
	v_exp_f32_e32 v9, v9
	v_cvt_i32_f32_e32 v10, v11
	s_mov_b32 s2, 0x42b17218
	v_cndmask_b32_e32 v8, 0, v8, vcc
	v_mov_b32_e32 v11, 0x7f800000
	v_cmp_nlt_f32_e32 vcc, s2, v4
	v_sub_f32_e32 v6, v6, v19
	v_cndmask_b32_e32 v4, v11, v8, vcc
	v_ldexp_f32 v8, v9, v10
	v_mul_f32_e32 v9, 0x3fb8aa3b, v6
	v_fma_f32 v10, v6, s0, -v9
	v_rndne_f32_e32 v12, v9
	v_fmac_f32_e32 v10, 0x32a5705f, v6
	v_sub_f32_e32 v9, v9, v12
	v_add_f32_e32 v9, v9, v10
	v_exp_f32_e32 v9, v9
	v_cvt_i32_f32_e32 v10, v12
	v_cmp_ngt_f32_e32 vcc, s1, v5
	v_cndmask_b32_e32 v8, 0, v8, vcc
	v_cmp_nlt_f32_e32 vcc, s2, v5
	v_sub_f32_e32 v7, v7, v19
	v_cndmask_b32_e32 v5, v11, v8, vcc
	v_mul_f32_e32 v8, 0x3fb8aa3b, v7
	v_add_f32_e32 v4, v4, v5
	v_ldexp_f32 v5, v9, v10
	v_fma_f32 v9, v7, s0, -v8
	v_rndne_f32_e32 v10, v8
	v_fmac_f32_e32 v9, 0x32a5705f, v7
	v_sub_f32_e32 v8, v8, v10
	v_add_f32_e32 v8, v8, v9
	v_exp_f32_e32 v8, v8
	v_cvt_i32_f32_e32 v9, v10
	v_cmp_ngt_f32_e32 vcc, s1, v6
	v_cndmask_b32_e32 v5, 0, v5, vcc
	v_cmp_nlt_f32_e32 vcc, s2, v6
	v_sub_f32_e32 v0, v0, v19
	v_cndmask_b32_e32 v5, v11, v5, vcc
	v_mul_f32_e32 v6, 0x3fb8aa3b, v0
	v_add_f32_e32 v4, v4, v5
	v_ldexp_f32 v5, v8, v9
	v_fma_f32 v8, v0, s0, -v6
	v_rndne_f32_e32 v9, v6
	v_fmac_f32_e32 v8, 0x32a5705f, v0
	v_sub_f32_e32 v6, v6, v9
	v_add_f32_e32 v6, v6, v8
	v_exp_f32_e32 v6, v6
	v_cvt_i32_f32_e32 v8, v9
	v_cmp_ngt_f32_e32 vcc, s1, v7
	v_cndmask_b32_e32 v5, 0, v5, vcc
	v_cmp_nlt_f32_e32 vcc, s2, v7
	v_cndmask_b32_e32 v5, v11, v5, vcc
	v_sub_f32_e32 v1, v1, v19
	v_add_f32_e32 v4, v4, v5
	v_ldexp_f32 v5, v6, v8
	v_mul_f32_e32 v6, 0x3fb8aa3b, v1
	v_fma_f32 v7, v1, s0, -v6
	v_rndne_f32_e32 v8, v6
	v_fmac_f32_e32 v7, 0x32a5705f, v1
	v_sub_f32_e32 v6, v6, v8
	v_add_f32_e32 v6, v6, v7
	v_exp_f32_e32 v6, v6
	v_cvt_i32_f32_e32 v7, v8
	v_cmp_ngt_f32_e32 vcc, s1, v0
	v_cndmask_b32_e32 v5, 0, v5, vcc
	v_cmp_nlt_f32_e32 vcc, s2, v0
	v_sub_f32_e32 v2, v2, v19
	v_cndmask_b32_e32 v0, v11, v5, vcc
	v_mul_f32_e32 v5, 0x3fb8aa3b, v2
	v_add_f32_e32 v0, v4, v0
	v_ldexp_f32 v4, v6, v7
	v_fma_f32 v6, v2, s0, -v5
	v_rndne_f32_e32 v7, v5
	v_fmac_f32_e32 v6, 0x32a5705f, v2
	v_sub_f32_e32 v5, v5, v7
	v_add_f32_e32 v5, v5, v6
	v_exp_f32_e32 v5, v5
	v_cvt_i32_f32_e32 v6, v7
	v_cmp_ngt_f32_e32 vcc, s1, v1
	v_cndmask_b32_e32 v4, 0, v4, vcc
	v_cmp_nlt_f32_e32 vcc, s2, v1
	v_sub_f32_e32 v3, v3, v19
	v_cndmask_b32_e32 v1, v11, v4, vcc
	v_mul_f32_e32 v4, 0x3fb8aa3b, v3
	v_add_f32_e32 v0, v0, v1
	v_ldexp_f32 v1, v5, v6
	v_fma_f32 v5, v3, s0, -v4
	v_rndne_f32_e32 v6, v4
	v_fmac_f32_e32 v5, 0x32a5705f, v3
	v_sub_f32_e32 v4, v4, v6
	v_add_f32_e32 v4, v4, v5
	v_exp_f32_e32 v4, v4
	v_cvt_i32_f32_e32 v5, v6
	v_cmp_ngt_f32_e32 vcc, s1, v2
	v_cndmask_b32_e32 v1, 0, v1, vcc
	v_cmp_nlt_f32_e32 vcc, s2, v2
	v_cndmask_b32_e32 v1, v11, v1, vcc
	v_add_f32_e32 v0, v0, v1
	v_ldexp_f32 v1, v4, v5
	v_cmp_ngt_f32_e32 vcc, s1, v3
	v_cndmask_b32_e32 v1, 0, v1, vcc
	v_cmp_nlt_f32_e32 vcc, s2, v3
	v_cndmask_b32_e32 v1, v11, v1, vcc
	v_add_f32_e32 v0, v0, v1
	v_cmp_eq_u32_e32 vcc, 0, v15
	s_nop 0
	v_mov_b32_dpp v1, v0 quad_perm:[1,0,3,2] row_mask:0xf bank_mask:0xf
	v_add_f32_e32 v0, v0, v1
	s_nop 1
	v_mov_b32_dpp v1, v0 quad_perm:[2,3,0,1] row_mask:0xf bank_mask:0xf
	v_add_f32_e32 v0, v0, v1
	s_nop 1
	v_mov_b32_dpp v1, v0 row_half_mirror row_mask:0xf bank_mask:0xf
	v_add_f32_e32 v0, v0, v1
	s_nop 1
	v_mov_b32_dpp v1, v0 row_mirror row_mask:0xf bank_mask:0xf
	v_add_f32_e32 v0, v0, v1
	s_nop 1
	v_mov_b32_dpp v1, v0 row_bcast:15 row_mask:0xa bank_mask:0xf
	v_add_f32_e32 v0, v0, v1
	ds_bpermute_b32 v0, v18, v0
	s_and_b64 exec, exec, vcc
	s_cbranch_execz .LBB86_31
; %bb.19:
	s_waitcnt lgkmcnt(0)
	v_add_f32_e32 v0, v16, v0
	v_cmp_neq_f32_e32 vcc, 0, v0
	s_and_b64 exec, exec, vcc
	s_cbranch_execz .LBB86_31
; %bb.20:
	s_andn2_b64 vcc, exec, s[18:19]
	s_cbranch_vccnz .LBB86_31
; %bb.21:
	v_div_scale_f32 v1, s[0:1], v0, v0, 1.0
	v_rcp_f32_e32 v2, v1
	v_div_scale_f32 v3, vcc, 1.0, v0, 1.0
	s_cmp_gt_u32 s8, 3
	v_fma_f32 v4, -v1, v2, 1.0
	v_fmac_f32_e32 v2, v4, v2
	v_mul_f32_e32 v4, v3, v2
	v_fma_f32 v5, -v1, v4, v3
	v_fmac_f32_e32 v4, v5, v2
	v_fma_f32 v1, -v1, v4, v3
	v_div_fmas_f32 v1, v1, v2, v4
	v_mul_lo_u32 v2, v14, s11
	v_div_fixup_f32 v0, v1, v0, 1.0
	v_ashrrev_i32_e32 v3, 31, v2
	s_cbranch_scc0 .LBB86_25
; %bb.22:
	v_lshlrev_b64 v[4:5], 2, v[2:3]
	v_mov_b32_e32 v6, s7
	v_add_co_u32_e32 v4, vcc, s6, v4
	v_addc_co_u32_e32 v5, vcc, v5, v6, vcc
	s_and_b32 s4, s8, 0x7ffffffc
	v_add_co_u32_e32 v4, vcc, 8, v4
	v_mov_b32_e32 v1, v0
	v_addc_co_u32_e32 v5, vcc, 0, v5, vcc
	s_mov_b32 s0, s4
.LBB86_23:                              ; =>This Inner Loop Header: Depth=1
	global_load_dwordx4 v[6:9], v[4:5], off offset:-8
	s_add_i32 s0, s0, -4
	s_cmp_lg_u32 s0, 0
	s_waitcnt vmcnt(0)
	v_pk_mul_f32 v[6:7], v[0:1], v[6:7]
	v_pk_mul_f32 v[8:9], v[0:1], v[8:9]
	global_store_dwordx4 v[4:5], v[6:9], off offset:-8
	v_add_co_u32_e32 v4, vcc, 16, v4
	v_addc_co_u32_e32 v5, vcc, 0, v5, vcc
	s_cbranch_scc1 .LBB86_23
; %bb.24:
	s_cmp_lg_u32 s4, s8
	s_mov_b64 s[2:3], 0
	s_cselect_b64 s[0:1], -1, 0
	s_branch .LBB86_26
.LBB86_25:
	s_mov_b64 s[2:3], -1
	s_mov_b64 s[0:1], 0
                                        ; implicit-def: $sgpr4
.LBB86_26:
	s_and_b64 vcc, exec, s[2:3]
	s_cbranch_vccz .LBB86_28
; %bb.27:
	s_mov_b64 s[0:1], -1
	s_mov_b32 s4, 0
.LBB86_28:
	s_andn2_b64 vcc, exec, s[0:1]
	s_cbranch_vccnz .LBB86_31
; %bb.29:
	v_add_co_u32_e32 v2, vcc, s4, v2
	v_addc_co_u32_e32 v3, vcc, 0, v3, vcc
	v_lshlrev_b64 v[2:3], 2, v[2:3]
	v_mov_b32_e32 v1, s7
	v_add_co_u32_e32 v2, vcc, s6, v2
	s_sub_i32 s0, s8, s4
	v_addc_co_u32_e32 v3, vcc, v1, v3, vcc
.LBB86_30:                              ; =>This Inner Loop Header: Depth=1
	global_load_dword v1, v[2:3], off
	s_add_i32 s0, s0, -1
	s_cmp_lg_u32 s0, 0
	s_waitcnt vmcnt(0)
	v_mul_f32_e32 v1, v0, v1
	global_store_dword v[2:3], v1, off
	v_add_co_u32_e32 v2, vcc, 4, v2
	v_addc_co_u32_e32 v3, vcc, 0, v3, vcc
	s_cbranch_scc1 .LBB86_30
.LBB86_31:
	s_endpgm
	.section	.rodata,"a",@progbits
	.p2align	6, 0x0
	.amdhsa_kernel _ZN4vllm3moe17topkGatingSoftmaxIfLi8ELi256ELi8ELi32ELb0ELi2ELNS0_23SharedExpertScoringFuncE1EEEvPKT_PKbPfiPiS9_iiiiii
		.amdhsa_group_segment_fixed_size 0
		.amdhsa_private_segment_fixed_size 0
		.amdhsa_kernarg_size 72
		.amdhsa_user_sgpr_count 6
		.amdhsa_user_sgpr_private_segment_buffer 1
		.amdhsa_user_sgpr_dispatch_ptr 0
		.amdhsa_user_sgpr_queue_ptr 0
		.amdhsa_user_sgpr_kernarg_segment_ptr 1
		.amdhsa_user_sgpr_dispatch_id 0
		.amdhsa_user_sgpr_flat_scratch_init 0
		.amdhsa_user_sgpr_kernarg_preload_length 0
		.amdhsa_user_sgpr_kernarg_preload_offset 0
		.amdhsa_user_sgpr_private_segment_size 0
		.amdhsa_uses_dynamic_stack 0
		.amdhsa_system_sgpr_private_segment_wavefront_offset 0
		.amdhsa_system_sgpr_workgroup_id_x 1
		.amdhsa_system_sgpr_workgroup_id_y 0
		.amdhsa_system_sgpr_workgroup_id_z 0
		.amdhsa_system_sgpr_workgroup_info 0
		.amdhsa_system_vgpr_workitem_id 1
		.amdhsa_next_free_vgpr 35
		.amdhsa_next_free_sgpr 25
		.amdhsa_accum_offset 36
		.amdhsa_reserve_vcc 1
		.amdhsa_reserve_flat_scratch 0
		.amdhsa_float_round_mode_32 0
		.amdhsa_float_round_mode_16_64 0
		.amdhsa_float_denorm_mode_32 3
		.amdhsa_float_denorm_mode_16_64 3
		.amdhsa_dx10_clamp 1
		.amdhsa_ieee_mode 1
		.amdhsa_fp16_overflow 0
		.amdhsa_tg_split 0
		.amdhsa_exception_fp_ieee_invalid_op 0
		.amdhsa_exception_fp_denorm_src 0
		.amdhsa_exception_fp_ieee_div_zero 0
		.amdhsa_exception_fp_ieee_overflow 0
		.amdhsa_exception_fp_ieee_underflow 0
		.amdhsa_exception_fp_ieee_inexact 0
		.amdhsa_exception_int_div_zero 0
	.end_amdhsa_kernel
	.section	.text._ZN4vllm3moe17topkGatingSoftmaxIfLi8ELi256ELi8ELi32ELb0ELi2ELNS0_23SharedExpertScoringFuncE1EEEvPKT_PKbPfiPiS9_iiiiii,"axG",@progbits,_ZN4vllm3moe17topkGatingSoftmaxIfLi8ELi256ELi8ELi32ELb0ELi2ELNS0_23SharedExpertScoringFuncE1EEEvPKT_PKbPfiPiS9_iiiiii,comdat
.Lfunc_end86:
	.size	_ZN4vllm3moe17topkGatingSoftmaxIfLi8ELi256ELi8ELi32ELb0ELi2ELNS0_23SharedExpertScoringFuncE1EEEvPKT_PKbPfiPiS9_iiiiii, .Lfunc_end86-_ZN4vllm3moe17topkGatingSoftmaxIfLi8ELi256ELi8ELi32ELb0ELi2ELNS0_23SharedExpertScoringFuncE1EEEvPKT_PKbPfiPiS9_iiiiii
                                        ; -- End function
	.section	.AMDGPU.csdata,"",@progbits
; Kernel info:
; codeLenInByte = 3756
; NumSgprs: 29
; NumVgprs: 35
; NumAgprs: 0
; TotalNumVgprs: 35
; ScratchSize: 0
; MemoryBound: 0
; FloatMode: 240
; IeeeMode: 1
; LDSByteSize: 0 bytes/workgroup (compile time only)
; SGPRBlocks: 3
; VGPRBlocks: 4
; NumSGPRsForWavesPerEU: 29
; NumVGPRsForWavesPerEU: 35
; AccumOffset: 36
; Occupancy: 8
; WaveLimiterHint : 0
; COMPUTE_PGM_RSRC2:SCRATCH_EN: 0
; COMPUTE_PGM_RSRC2:USER_SGPR: 6
; COMPUTE_PGM_RSRC2:TRAP_HANDLER: 0
; COMPUTE_PGM_RSRC2:TGID_X_EN: 1
; COMPUTE_PGM_RSRC2:TGID_Y_EN: 0
; COMPUTE_PGM_RSRC2:TGID_Z_EN: 0
; COMPUTE_PGM_RSRC2:TIDIG_COMP_CNT: 1
; COMPUTE_PGM_RSRC3_GFX90A:ACCUM_OFFSET: 8
; COMPUTE_PGM_RSRC3_GFX90A:TG_SPLIT: 0
	.section	.text._ZN4vllm3moe17topkGatingSoftmaxIfLi8ELi256ELi8ELi32ELb1ELi4ELNS0_23SharedExpertScoringFuncE1EEEvPKT_PKbPfiPiS9_iiiiii,"axG",@progbits,_ZN4vllm3moe17topkGatingSoftmaxIfLi8ELi256ELi8ELi32ELb1ELi4ELNS0_23SharedExpertScoringFuncE1EEEvPKT_PKbPfiPiS9_iiiiii,comdat
	.protected	_ZN4vllm3moe17topkGatingSoftmaxIfLi8ELi256ELi8ELi32ELb1ELi4ELNS0_23SharedExpertScoringFuncE1EEEvPKT_PKbPfiPiS9_iiiiii ; -- Begin function _ZN4vllm3moe17topkGatingSoftmaxIfLi8ELi256ELi8ELi32ELb1ELi4ELNS0_23SharedExpertScoringFuncE1EEEvPKT_PKbPfiPiS9_iiiiii
	.globl	_ZN4vllm3moe17topkGatingSoftmaxIfLi8ELi256ELi8ELi32ELb1ELi4ELNS0_23SharedExpertScoringFuncE1EEEvPKT_PKbPfiPiS9_iiiiii
	.p2align	8
	.type	_ZN4vllm3moe17topkGatingSoftmaxIfLi8ELi256ELi8ELi32ELb1ELi4ELNS0_23SharedExpertScoringFuncE1EEEvPKT_PKbPfiPiS9_iiiiii,@function
_ZN4vllm3moe17topkGatingSoftmaxIfLi8ELi256ELi8ELi32ELb1ELi4ELNS0_23SharedExpertScoringFuncE1EEEvPKT_PKbPfiPiS9_iiiiii: ; @_ZN4vllm3moe17topkGatingSoftmaxIfLi8ELi256ELi8ELi32ELb1ELi4ELNS0_23SharedExpertScoringFuncE1EEEvPKT_PKbPfiPiS9_iiiiii
; %bb.0:
	s_load_dword s22, s[4:5], 0x18
	v_bfe_u32 v1, v0, 10, 10
	v_and_b32_e32 v0, 0x3ff, v0
	s_lshl_b32 s23, s6, 4
	v_lshlrev_b32_e32 v25, 1, v1
	v_lshrrev_b32_e32 v26, 5, v0
	v_add3_u32 v14, s23, v25, v26
	s_waitcnt lgkmcnt(0)
	v_cmp_gt_i32_e32 vcc, s22, v14
	s_and_saveexec_b64 s[0:1], vcc
	s_cbranch_execz .LBB87_29
; %bb.1:
	s_load_dwordx4 s[0:3], s[4:5], 0x0
	s_load_dwordx2 s[6:7], s[4:5], 0x10
	s_waitcnt lgkmcnt(0)
	s_cmp_eq_u64 s[2:3], 0
	s_cbranch_scc1 .LBB87_3
; %bb.2:
	v_ashrrev_i32_e32 v1, 31, v14
	v_mov_b32_e32 v3, s3
	v_add_co_u32_e32 v2, vcc, s2, v14
	v_addc_co_u32_e32 v3, vcc, v3, v1, vcc
	global_load_ubyte v1, v[2:3], off
	s_waitcnt vmcnt(0)
	v_and_b32_e32 v1, 1, v1
	v_cmp_eq_u32_e32 vcc, 1, v1
	s_xor_b64 s[2:3], vcc, -1
	s_orn2_b64 s[16:17], s[2:3], exec
	s_branch .LBB87_4
.LBB87_3:
	s_mov_b64 s[16:17], -1
.LBB87_4:
	s_load_dwordx2 s[20:21], s[4:5], 0x40
	s_load_dwordx4 s[8:11], s[4:5], 0x30
	v_mov_b32_e32 v1, s1
	v_and_b32_e32 v15, 31, v0
	v_lshlrev_b32_e32 v0, 5, v15
	s_waitcnt lgkmcnt(0)
	v_mul_lo_u32 v2, v14, s21
	v_ashrrev_i32_e32 v3, 31, v2
	v_lshlrev_b64 v[2:3], 2, v[2:3]
	v_add_co_u32_e32 v8, vcc, s0, v2
	v_addc_co_u32_e32 v9, vcc, v1, v3, vcc
	v_add_co_u32_e32 v10, vcc, v8, v0
	v_addc_co_u32_e32 v11, vcc, 0, v9, vcc
	global_load_dwordx4 v[0:3], v[10:11], off offset:16
	global_load_dwordx4 v[4:7], v[10:11], off
	v_lshlrev_b32_e32 v17, 3, v15
	v_mov_b32_e32 v16, 0
	v_cmp_gt_u32_e32 vcc, 4, v15
	s_and_saveexec_b64 s[0:1], vcc
	s_cbranch_execz .LBB87_6
; %bb.5:
	v_lshlrev_b32_e32 v10, 2, v15
	v_add_co_u32_e32 v8, vcc, v8, v10
	v_addc_co_u32_e32 v9, vcc, 0, v9, vcc
	global_load_dword v10, v[8:9], off offset:1024
	s_mov_b32 s2, 0xbfb8aa3b
	s_mov_b32 s3, 0x42ce8ed0
	;; [unrolled: 1-line block ×3, first 2 shown]
	v_mov_b32_e32 v11, 0x7f800000
	v_mul_lo_u32 v8, v14, s11
	v_add3_u32 v8, v8, s8, v15
	v_mov_b32_e32 v18, s7
	s_waitcnt vmcnt(0)
	v_mul_f32_e32 v9, 0xbfb8aa3b, v10
	v_fma_f32 v12, v10, s2, -v9
	v_rndne_f32_e32 v13, v9
	v_fmac_f32_e32 v12, 0xb2a5705f, v10
	v_sub_f32_e32 v9, v9, v13
	v_add_f32_e32 v9, v9, v12
	v_cvt_i32_f32_e32 v13, v13
	v_exp_f32_e32 v12, v9
	v_cmp_nlt_f32_e32 vcc, s3, v10
	v_ashrrev_i32_e32 v9, 31, v8
	v_lshlrev_b64 v[8:9], 2, v[8:9]
	v_ldexp_f32 v12, v12, v13
	v_cndmask_b32_e32 v12, 0, v12, vcc
	v_cmp_ngt_f32_e32 vcc, s12, v10
	v_cndmask_b32_e32 v10, v11, v12, vcc
	v_add_f32_e32 v10, 1.0, v10
	v_div_scale_f32 v11, s[2:3], v10, v10, 1.0
	v_rcp_f32_e32 v12, v11
	v_div_scale_f32 v13, vcc, 1.0, v10, 1.0
	v_fma_f32 v19, -v11, v12, 1.0
	v_fmac_f32_e32 v12, v19, v12
	v_mul_f32_e32 v19, v13, v12
	v_fma_f32 v20, -v11, v19, v13
	v_fmac_f32_e32 v19, v20, v12
	v_fma_f32 v11, -v11, v19, v13
	v_div_fmas_f32 v11, v11, v12, v19
	v_add_co_u32_e32 v8, vcc, s6, v8
	v_div_fixup_f32 v10, v11, v10, 1.0
	v_addc_co_u32_e32 v9, vcc, v18, v9, vcc
	global_store_dword v[8:9], v10, off
.LBB87_6:
	s_or_b64 exec, exec, s[0:1]
	s_waitcnt vmcnt(0)
	v_cmp_lt_f32_e32 vcc, v4, v5
	v_or_b32_e32 v18, 1, v17
	v_cndmask_b32_e32 v9, v4, v5, vcc
	v_cndmask_b32_e32 v8, v17, v18, vcc
	v_cmp_lt_f32_e32 vcc, v9, v6
	v_or_b32_e32 v19, 2, v17
	v_cndmask_b32_e32 v9, v9, v6, vcc
	v_cndmask_b32_e32 v8, v8, v19, vcc
	;; [unrolled: 4-line block ×6, first 2 shown]
	v_or_b32_e32 v24, 7, v17
	v_cmp_lt_f32_e32 vcc, v9, v3
	v_cndmask_b32_e32 v8, v8, v24, vcc
	v_cndmask_b32_e32 v9, v9, v3, vcc
	s_nop 0
	v_mov_b32_dpp v10, v8 quad_perm:[1,0,3,2] row_mask:0xf bank_mask:0xf
	v_mov_b32_dpp v11, v9 quad_perm:[1,0,3,2] row_mask:0xf bank_mask:0xf
	v_cmp_eq_f32_e64 s[0:1], v9, v11
	v_cmp_lt_i32_e64 s[2:3], v10, v8
	v_cmp_lt_f32_e32 vcc, v9, v11
	s_and_b64 s[0:1], s[0:1], s[2:3]
	s_or_b64 vcc, vcc, s[0:1]
	v_cndmask_b32_e32 v9, v9, v11, vcc
	v_cndmask_b32_e32 v8, v8, v10, vcc
	s_nop 0
	v_mov_b32_dpp v11, v9 quad_perm:[2,3,0,1] row_mask:0xf bank_mask:0xf
	v_mov_b32_dpp v10, v8 quad_perm:[2,3,0,1] row_mask:0xf bank_mask:0xf
	v_cmp_eq_f32_e64 s[0:1], v9, v11
	v_cmp_lt_i32_e64 s[2:3], v10, v8
	v_cmp_lt_f32_e32 vcc, v9, v11
	s_and_b64 s[0:1], s[0:1], s[2:3]
	s_or_b64 vcc, vcc, s[0:1]
	v_cndmask_b32_e32 v9, v9, v11, vcc
	v_cndmask_b32_e32 v8, v8, v10, vcc
	s_nop 0
	v_mov_b32_dpp v11, v9 row_half_mirror row_mask:0xf bank_mask:0xf
	v_mov_b32_dpp v10, v8 row_half_mirror row_mask:0xf bank_mask:0xf
	v_cmp_eq_f32_e64 s[0:1], v9, v11
	v_cmp_lt_i32_e64 s[2:3], v10, v8
	v_cmp_lt_f32_e32 vcc, v9, v11
	s_and_b64 s[0:1], s[0:1], s[2:3]
	s_or_b64 vcc, vcc, s[0:1]
	v_cndmask_b32_e32 v9, v9, v11, vcc
	v_cndmask_b32_e32 v8, v8, v10, vcc
	s_nop 0
	v_mov_b32_dpp v11, v9 row_mirror row_mask:0xf bank_mask:0xf
	v_mov_b32_dpp v10, v8 row_mirror row_mask:0xf bank_mask:0xf
	v_cmp_eq_f32_e64 s[0:1], v9, v11
	v_cmp_lt_i32_e64 s[2:3], v10, v8
	v_cmp_lt_f32_e32 vcc, v9, v11
	s_and_b64 s[0:1], s[0:1], s[2:3]
	s_or_b64 vcc, vcc, s[0:1]
	v_cndmask_b32_e32 v9, v9, v11, vcc
	v_cndmask_b32_e32 v8, v8, v10, vcc
	s_nop 0
	v_mov_b32_dpp v11, v9 row_bcast:15 row_mask:0xa bank_mask:0xf
	v_mov_b32_dpp v10, v8 row_bcast:15 row_mask:0xa bank_mask:0xf
	v_cmp_eq_f32_e32 vcc, v9, v11
	v_cmp_lt_i32_e64 s[0:1], v10, v8
	s_and_b64 vcc, vcc, s[0:1]
	v_cmp_lt_f32_e64 s[0:1], v9, v11
	v_cndmask_b32_e32 v12, v9, v11, vcc
	s_or_b64 vcc, s[0:1], vcc
	v_cndmask_b32_e32 v8, v8, v10, vcc
	v_mbcnt_lo_u32_b32 v10, -1, 0
	v_cndmask_b32_e64 v9, v12, v11, s[0:1]
	v_mbcnt_hi_u32_b32 v10, -1, v10
	v_mov_b32_e32 v11, 0x7c
	v_lshl_or_b32 v27, v10, 2, v11
	ds_bpermute_b32 v29, v27, v8
	ds_bpermute_b32 v28, v27, v9
	s_cmp_gt_i32 s8, 0
	s_cselect_b64 s[18:19], -1, 0
	s_cmp_lt_i32 s8, 1
	v_cmp_eq_u32_e32 vcc, 0, v15
	s_cbranch_scc1 .LBB87_18
; %bb.7:
	s_load_dwordx4 s[12:15], s[4:5], 0x20
	v_mul_lo_u32 v12, v14, s11
	v_mul_lo_u32 v10, v14, s20
	;; [unrolled: 1-line block ×3, first 2 shown]
	v_mov_b32_e32 v16, 0
	s_and_saveexec_b64 s[4:5], vcc
	s_cbranch_execz .LBB87_9
; %bb.8:
	s_waitcnt lgkmcnt(0)
	v_sub_f32_e32 v9, v28, v28
	v_mul_f32_e32 v11, 0x3fb8aa3b, v9
	s_mov_b32 s0, 0x3fb8aa3b
	v_rndne_f32_e32 v13, v11
	v_sub_f32_e32 v16, v11, v13
	v_fma_f32 v11, v9, s0, -v11
	v_fmac_f32_e32 v11, 0x32a5705f, v9
	v_add_f32_e32 v11, v16, v11
	v_exp_f32_e32 v11, v11
	v_cvt_i32_f32_e32 v13, v13
	v_cmp_le_i32_e64 s[0:1], s9, v29
	v_cmp_gt_i32_e64 s[2:3], s10, v29
	s_and_b64 s[2:3], s[0:1], s[2:3]
	s_mov_b32 s0, 0xc2ce8ed0
	v_ldexp_f32 v11, v11, v13
	v_cmp_ngt_f32_e64 s[0:1], s0, v9
	v_cndmask_b32_e64 v11, 0, v11, s[0:1]
	s_mov_b32 s0, 0x42b17218
	v_mov_b32_e32 v13, 0x7f800000
	v_cmp_nlt_f32_e64 s[0:1], s0, v9
	v_cndmask_b32_e64 v16, v13, v11, s[0:1]
	v_ashrrev_i32_e32 v13, 31, v12
	v_lshlrev_b64 v[30:31], 2, v[12:13]
	v_mov_b32_e32 v9, s7
	v_add_co_u32_e64 v30, s[0:1], s6, v30
	v_addc_co_u32_e64 v31, s[0:1], v9, v31, s[0:1]
	v_subrev_u32_e32 v9, s9, v29
	v_mov_b32_e32 v11, 0x100
	s_and_b64 s[0:1], s[16:17], s[2:3]
	v_cndmask_b32_e64 v9, v11, v9, s[0:1]
	v_ashrrev_i32_e32 v11, 31, v10
	global_store_dword v[30:31], v16, off
	v_lshlrev_b64 v[30:31], 2, v[10:11]
	v_mov_b32_e32 v11, s13
	v_add_co_u32_e64 v30, s[0:1], s12, v30
	v_addc_co_u32_e64 v31, s[0:1], v11, v31, s[0:1]
	global_store_dword v[30:31], v9, off
	v_ashrrev_i32_e32 v9, 31, v8
	v_lshlrev_b64 v[30:31], 2, v[8:9]
	v_mov_b32_e32 v9, s15
	v_add_co_u32_e64 v30, s[0:1], s14, v30
	v_addc_co_u32_e64 v31, s[0:1], v9, v31, s[0:1]
	global_store_dword v[30:31], v14, off
.LBB87_9:
	s_or_b64 exec, exec, s[4:5]
	s_waitcnt lgkmcnt(0)
	v_ashrrev_i32_e32 v9, 31, v29
	v_lshrrev_b32_e32 v11, 29, v9
	v_add_u32_e32 v13, v29, v11
	v_ashrrev_i32_e32 v11, 3, v13
	v_ashrrev_i32_e32 v13, 31, v13
	v_lshrrev_b32_e32 v13, 27, v13
	v_add_u32_e32 v13, v11, v13
	v_and_b32_e32 v13, 0xffffffe0, v13
	v_sub_u32_e32 v13, v11, v13
	v_cmp_eq_u32_e64 s[0:1], v15, v13
	s_and_saveexec_b64 s[2:3], s[0:1]
	s_cbranch_execz .LBB87_11
; %bb.10:
	v_add_u32_sdwa v9, v29, v9 dst_sel:DWORD dst_unused:UNUSED_PAD src0_sel:DWORD src1_sel:BYTE_3
	v_lshlrev_b32_e32 v11, 3, v11
	v_ashrrev_i32_e32 v9, 8, v9
	v_sub_u32_e32 v11, v29, v11
	v_lshl_add_u32 v9, v9, 3, v11
	v_mov_b32_e32 v11, 0xff800000
	v_cmp_ne_u32_e64 s[0:1], 7, v9
	v_cndmask_b32_e64 v3, v11, v3, s[0:1]
	v_cmp_ne_u32_e64 s[0:1], 6, v9
	v_cndmask_b32_e64 v2, v11, v2, s[0:1]
	;; [unrolled: 2-line block ×8, first 2 shown]
.LBB87_11:
	s_or_b64 exec, exec, s[2:3]
	s_cmp_eq_u32 s8, 1
	s_cbranch_scc1 .LBB87_18
; %bb.12:
	s_add_i32 s23, s23, s22
	s_add_i32 s20, s8, -1
	v_add3_u32 v25, s23, v26, v25
	v_add_u32_e32 v8, 1, v8
	v_add_u32_e32 v10, 1, v10
	;; [unrolled: 1-line block ×3, first 2 shown]
	s_mov_b32 s21, 0x3fb8aa3b
	s_mov_b32 s23, 0xc2ce8ed0
	;; [unrolled: 1-line block ×3, first 2 shown]
	v_mov_b32_e32 v26, 0x7f800000
	v_mov_b32_e32 v29, 0x100
	;; [unrolled: 1-line block ×3, first 2 shown]
	s_branch .LBB87_14
.LBB87_13:                              ;   in Loop: Header=BB87_14 Depth=1
	s_or_b64 exec, exec, s[2:3]
	s_add_i32 s20, s20, -1
	v_add_u32_e32 v25, s22, v25
	v_add_u32_e32 v8, 1, v8
	;; [unrolled: 1-line block ×3, first 2 shown]
	s_cmp_eq_u32 s20, 0
	v_add_u32_e32 v12, 1, v12
	s_cbranch_scc1 .LBB87_18
.LBB87_14:                              ; =>This Inner Loop Header: Depth=1
	v_cmp_gt_f32_e64 s[0:1], v5, v4
	v_cndmask_b32_e64 v11, v4, v5, s[0:1]
	v_cndmask_b32_e64 v9, v17, v18, s[0:1]
	v_cmp_gt_f32_e64 s[0:1], v6, v11
	v_cndmask_b32_e64 v11, v11, v6, s[0:1]
	v_cndmask_b32_e64 v9, v9, v19, s[0:1]
	v_cmp_gt_f32_e64 s[0:1], v7, v11
	v_cndmask_b32_e64 v11, v11, v7, s[0:1]
	v_cndmask_b32_e64 v9, v9, v20, s[0:1]
	v_cmp_gt_f32_e64 s[0:1], v0, v11
	v_cndmask_b32_e64 v11, v11, v0, s[0:1]
	v_cndmask_b32_e64 v9, v9, v21, s[0:1]
	v_cmp_gt_f32_e64 s[0:1], v1, v11
	v_cndmask_b32_e64 v11, v11, v1, s[0:1]
	v_cndmask_b32_e64 v9, v9, v22, s[0:1]
	v_cmp_gt_f32_e64 s[0:1], v2, v11
	v_cndmask_b32_e64 v11, v11, v2, s[0:1]
	v_cndmask_b32_e64 v9, v9, v23, s[0:1]
	v_cmp_gt_f32_e64 s[0:1], v3, v11
	v_cndmask_b32_e64 v9, v9, v24, s[0:1]
	v_cndmask_b32_e64 v11, v11, v3, s[0:1]
	s_nop 0
	v_mov_b32_dpp v13, v9 quad_perm:[1,0,3,2] row_mask:0xf bank_mask:0xf
	v_mov_b32_dpp v31, v11 quad_perm:[1,0,3,2] row_mask:0xf bank_mask:0xf
	v_cmp_eq_f32_e64 s[2:3], v11, v31
	v_cmp_lt_i32_e64 s[4:5], v13, v9
	v_cmp_lt_f32_e64 s[0:1], v11, v31
	s_and_b64 s[2:3], s[2:3], s[4:5]
	s_or_b64 s[0:1], s[0:1], s[2:3]
	v_cndmask_b32_e64 v11, v11, v31, s[0:1]
	v_cndmask_b32_e64 v9, v9, v13, s[0:1]
	s_nop 0
	v_mov_b32_dpp v31, v11 quad_perm:[2,3,0,1] row_mask:0xf bank_mask:0xf
	v_mov_b32_dpp v13, v9 quad_perm:[2,3,0,1] row_mask:0xf bank_mask:0xf
	v_cmp_eq_f32_e64 s[2:3], v11, v31
	v_cmp_lt_i32_e64 s[4:5], v13, v9
	v_cmp_lt_f32_e64 s[0:1], v11, v31
	s_and_b64 s[2:3], s[2:3], s[4:5]
	s_or_b64 s[0:1], s[0:1], s[2:3]
	v_cndmask_b32_e64 v11, v11, v31, s[0:1]
	v_cndmask_b32_e64 v9, v9, v13, s[0:1]
	s_nop 0
	v_mov_b32_dpp v31, v11 row_half_mirror row_mask:0xf bank_mask:0xf
	v_mov_b32_dpp v13, v9 row_half_mirror row_mask:0xf bank_mask:0xf
	v_cmp_eq_f32_e64 s[2:3], v11, v31
	v_cmp_lt_i32_e64 s[4:5], v13, v9
	v_cmp_lt_f32_e64 s[0:1], v11, v31
	s_and_b64 s[2:3], s[2:3], s[4:5]
	s_or_b64 s[0:1], s[0:1], s[2:3]
	v_cndmask_b32_e64 v11, v11, v31, s[0:1]
	v_cndmask_b32_e64 v9, v9, v13, s[0:1]
	s_nop 0
	v_mov_b32_dpp v31, v11 row_mirror row_mask:0xf bank_mask:0xf
	v_mov_b32_dpp v13, v9 row_mirror row_mask:0xf bank_mask:0xf
	v_cmp_eq_f32_e64 s[2:3], v11, v31
	v_cmp_lt_i32_e64 s[4:5], v13, v9
	v_cmp_lt_f32_e64 s[0:1], v11, v31
	s_and_b64 s[2:3], s[2:3], s[4:5]
	s_or_b64 s[0:1], s[0:1], s[2:3]
	v_cndmask_b32_e64 v11, v11, v31, s[0:1]
	v_cndmask_b32_e64 v9, v9, v13, s[0:1]
	s_nop 0
	v_mov_b32_dpp v31, v11 row_bcast:15 row_mask:0xa bank_mask:0xf
	v_mov_b32_dpp v13, v9 row_bcast:15 row_mask:0xa bank_mask:0xf
	v_cmp_eq_f32_e64 s[0:1], v11, v31
	v_cmp_lt_i32_e64 s[2:3], v13, v9
	s_and_b64 s[0:1], s[0:1], s[2:3]
	v_cmp_lt_f32_e64 s[2:3], v11, v31
	v_cndmask_b32_e64 v32, v11, v31, s[0:1]
	s_or_b64 s[0:1], s[2:3], s[0:1]
	v_cndmask_b32_e64 v11, v32, v31, s[2:3]
	v_cndmask_b32_e64 v9, v9, v13, s[0:1]
	ds_bpermute_b32 v31, v27, v9
	ds_bpermute_b32 v9, v27, v11
	s_and_saveexec_b64 s[4:5], vcc
	s_cbranch_execz .LBB87_16
; %bb.15:                               ;   in Loop: Header=BB87_14 Depth=1
	s_waitcnt lgkmcnt(0)
	v_sub_f32_e32 v9, v9, v28
	v_mul_f32_e32 v11, 0x3fb8aa3b, v9
	v_fma_f32 v13, v9, s21, -v11
	v_rndne_f32_e32 v32, v11
	v_fmac_f32_e32 v13, 0x32a5705f, v9
	v_sub_f32_e32 v11, v11, v32
	v_add_f32_e32 v11, v11, v13
	v_exp_f32_e32 v11, v11
	v_cvt_i32_f32_e32 v13, v32
	v_cmp_le_i32_e64 s[0:1], s9, v31
	v_cmp_gt_i32_e64 s[2:3], s10, v31
	s_and_b64 s[2:3], s[0:1], s[2:3]
	v_ldexp_f32 v11, v11, v13
	v_cmp_ngt_f32_e64 s[0:1], s23, v9
	v_ashrrev_i32_e32 v13, 31, v12
	v_cndmask_b32_e64 v11, 0, v11, s[0:1]
	v_cmp_nlt_f32_e64 s[0:1], s24, v9
	v_lshlrev_b64 v[32:33], 2, v[12:13]
	v_cndmask_b32_e64 v34, v26, v11, s[0:1]
	v_mov_b32_e32 v9, s7
	v_add_co_u32_e64 v32, s[0:1], s6, v32
	v_addc_co_u32_e64 v33, s[0:1], v9, v33, s[0:1]
	v_ashrrev_i32_e32 v11, 31, v10
	global_store_dword v[32:33], v34, off
	v_subrev_u32_e32 v9, s9, v31
	s_and_b64 s[0:1], s[16:17], s[2:3]
	v_lshlrev_b64 v[32:33], 2, v[10:11]
	v_cndmask_b32_e64 v9, v29, v9, s[0:1]
	v_mov_b32_e32 v11, s13
	v_add_co_u32_e64 v32, s[0:1], s12, v32
	v_addc_co_u32_e64 v33, s[0:1], v11, v33, s[0:1]
	global_store_dword v[32:33], v9, off
	v_ashrrev_i32_e32 v9, 31, v8
	v_lshlrev_b64 v[32:33], 2, v[8:9]
	v_mov_b32_e32 v9, s15
	v_add_co_u32_e64 v32, s[0:1], s14, v32
	v_addc_co_u32_e64 v33, s[0:1], v9, v33, s[0:1]
	v_add_f32_e32 v16, v16, v34
	global_store_dword v[32:33], v25, off
.LBB87_16:                              ;   in Loop: Header=BB87_14 Depth=1
	s_or_b64 exec, exec, s[4:5]
	s_waitcnt lgkmcnt(0)
	v_ashrrev_i32_e32 v9, 31, v31
	v_lshrrev_b32_e32 v11, 29, v9
	v_add_u32_e32 v13, v31, v11
	v_ashrrev_i32_e32 v11, 3, v13
	v_ashrrev_i32_e32 v13, 31, v13
	v_lshrrev_b32_e32 v13, 27, v13
	v_add_u32_e32 v13, v11, v13
	v_and_b32_e32 v13, 0xffffffe0, v13
	v_sub_u32_e32 v13, v11, v13
	v_cmp_eq_u32_e64 s[0:1], v15, v13
	s_and_saveexec_b64 s[2:3], s[0:1]
	s_cbranch_execz .LBB87_13
; %bb.17:                               ;   in Loop: Header=BB87_14 Depth=1
	v_add_u32_sdwa v9, v31, v9 dst_sel:DWORD dst_unused:UNUSED_PAD src0_sel:DWORD src1_sel:BYTE_3
	v_lshlrev_b32_e32 v11, 3, v11
	v_ashrrev_i32_e32 v9, 8, v9
	v_sub_u32_e32 v11, v31, v11
	v_lshl_add_u32 v9, v9, 3, v11
	v_cmp_ne_u32_e64 s[0:1], 7, v9
	v_cndmask_b32_e64 v3, v30, v3, s[0:1]
	v_cmp_ne_u32_e64 s[0:1], 6, v9
	v_cndmask_b32_e64 v2, v30, v2, s[0:1]
	;; [unrolled: 2-line block ×8, first 2 shown]
	s_branch .LBB87_13
.LBB87_18:
	v_cmp_eq_u32_e32 vcc, 0, v15
	v_cmp_neq_f32_e64 s[0:1], 0, v16
	s_and_b64 s[0:1], vcc, s[0:1]
	s_and_b64 exec, exec, s[0:1]
	s_cbranch_execz .LBB87_29
; %bb.19:
	s_andn2_b64 vcc, exec, s[18:19]
	s_cbranch_vccnz .LBB87_29
; %bb.20:
	v_div_scale_f32 v0, s[0:1], v16, v16, 1.0
	v_rcp_f32_e32 v1, v0
	v_div_scale_f32 v2, vcc, 1.0, v16, 1.0
	s_cmp_gt_u32 s8, 3
	v_fma_f32 v3, -v0, v1, 1.0
	v_fmac_f32_e32 v1, v3, v1
	v_mul_f32_e32 v3, v2, v1
	v_fma_f32 v4, -v0, v3, v2
	v_fmac_f32_e32 v3, v4, v1
	v_fma_f32 v0, -v0, v3, v2
	v_div_fmas_f32 v0, v0, v1, v3
	v_mul_lo_u32 v2, v14, s11
	v_div_fixup_f32 v0, v0, v16, 1.0
	v_ashrrev_i32_e32 v3, 31, v2
	s_cbranch_scc0 .LBB87_24
; %bb.21:
	v_lshlrev_b64 v[4:5], 2, v[2:3]
	v_mov_b32_e32 v6, s7
	v_add_co_u32_e32 v4, vcc, s6, v4
	v_addc_co_u32_e32 v5, vcc, v5, v6, vcc
	s_and_b32 s4, s8, 0x7ffffffc
	v_add_co_u32_e32 v4, vcc, 8, v4
	v_mov_b32_e32 v1, v0
	v_addc_co_u32_e32 v5, vcc, 0, v5, vcc
	s_mov_b32 s0, s4
.LBB87_22:                              ; =>This Inner Loop Header: Depth=1
	global_load_dwordx4 v[6:9], v[4:5], off offset:-8
	s_add_i32 s0, s0, -4
	s_cmp_lg_u32 s0, 0
	s_waitcnt vmcnt(0)
	v_pk_mul_f32 v[6:7], v[0:1], v[6:7]
	v_pk_mul_f32 v[8:9], v[0:1], v[8:9]
	global_store_dwordx4 v[4:5], v[6:9], off offset:-8
	v_add_co_u32_e32 v4, vcc, 16, v4
	v_addc_co_u32_e32 v5, vcc, 0, v5, vcc
	s_cbranch_scc1 .LBB87_22
; %bb.23:
	s_cmp_lg_u32 s4, s8
	s_cselect_b64 s[0:1], -1, 0
	s_branch .LBB87_26
.LBB87_24:
	s_mov_b64 s[0:1], 0
                                        ; implicit-def: $sgpr4
	s_cbranch_execz .LBB87_26
; %bb.25:
	s_mov_b64 s[0:1], -1
	s_mov_b32 s4, 0
.LBB87_26:
	s_andn2_b64 vcc, exec, s[0:1]
	s_cbranch_vccnz .LBB87_29
; %bb.27:
	v_add_co_u32_e32 v2, vcc, s4, v2
	v_addc_co_u32_e32 v3, vcc, 0, v3, vcc
	v_lshlrev_b64 v[2:3], 2, v[2:3]
	v_mov_b32_e32 v1, s7
	v_add_co_u32_e32 v2, vcc, s6, v2
	s_sub_i32 s0, s8, s4
	v_addc_co_u32_e32 v3, vcc, v1, v3, vcc
.LBB87_28:                              ; =>This Inner Loop Header: Depth=1
	global_load_dword v1, v[2:3], off
	s_add_i32 s0, s0, -1
	s_cmp_lg_u32 s0, 0
	s_waitcnt vmcnt(0)
	v_mul_f32_e32 v1, v0, v1
	global_store_dword v[2:3], v1, off
	v_add_co_u32_e32 v2, vcc, 4, v2
	v_addc_co_u32_e32 v3, vcc, 0, v3, vcc
	s_cbranch_scc1 .LBB87_28
.LBB87_29:
	s_endpgm
	.section	.rodata,"a",@progbits
	.p2align	6, 0x0
	.amdhsa_kernel _ZN4vllm3moe17topkGatingSoftmaxIfLi8ELi256ELi8ELi32ELb1ELi4ELNS0_23SharedExpertScoringFuncE1EEEvPKT_PKbPfiPiS9_iiiiii
		.amdhsa_group_segment_fixed_size 0
		.amdhsa_private_segment_fixed_size 0
		.amdhsa_kernarg_size 72
		.amdhsa_user_sgpr_count 6
		.amdhsa_user_sgpr_private_segment_buffer 1
		.amdhsa_user_sgpr_dispatch_ptr 0
		.amdhsa_user_sgpr_queue_ptr 0
		.amdhsa_user_sgpr_kernarg_segment_ptr 1
		.amdhsa_user_sgpr_dispatch_id 0
		.amdhsa_user_sgpr_flat_scratch_init 0
		.amdhsa_user_sgpr_kernarg_preload_length 0
		.amdhsa_user_sgpr_kernarg_preload_offset 0
		.amdhsa_user_sgpr_private_segment_size 0
		.amdhsa_uses_dynamic_stack 0
		.amdhsa_system_sgpr_private_segment_wavefront_offset 0
		.amdhsa_system_sgpr_workgroup_id_x 1
		.amdhsa_system_sgpr_workgroup_id_y 0
		.amdhsa_system_sgpr_workgroup_id_z 0
		.amdhsa_system_sgpr_workgroup_info 0
		.amdhsa_system_vgpr_workitem_id 1
		.amdhsa_next_free_vgpr 35
		.amdhsa_next_free_sgpr 25
		.amdhsa_accum_offset 36
		.amdhsa_reserve_vcc 1
		.amdhsa_reserve_flat_scratch 0
		.amdhsa_float_round_mode_32 0
		.amdhsa_float_round_mode_16_64 0
		.amdhsa_float_denorm_mode_32 3
		.amdhsa_float_denorm_mode_16_64 3
		.amdhsa_dx10_clamp 1
		.amdhsa_ieee_mode 1
		.amdhsa_fp16_overflow 0
		.amdhsa_tg_split 0
		.amdhsa_exception_fp_ieee_invalid_op 0
		.amdhsa_exception_fp_denorm_src 0
		.amdhsa_exception_fp_ieee_div_zero 0
		.amdhsa_exception_fp_ieee_overflow 0
		.amdhsa_exception_fp_ieee_underflow 0
		.amdhsa_exception_fp_ieee_inexact 0
		.amdhsa_exception_int_div_zero 0
	.end_amdhsa_kernel
	.section	.text._ZN4vllm3moe17topkGatingSoftmaxIfLi8ELi256ELi8ELi32ELb1ELi4ELNS0_23SharedExpertScoringFuncE1EEEvPKT_PKbPfiPiS9_iiiiii,"axG",@progbits,_ZN4vllm3moe17topkGatingSoftmaxIfLi8ELi256ELi8ELi32ELb1ELi4ELNS0_23SharedExpertScoringFuncE1EEEvPKT_PKbPfiPiS9_iiiiii,comdat
.Lfunc_end87:
	.size	_ZN4vllm3moe17topkGatingSoftmaxIfLi8ELi256ELi8ELi32ELb1ELi4ELNS0_23SharedExpertScoringFuncE1EEEvPKT_PKbPfiPiS9_iiiiii, .Lfunc_end87-_ZN4vllm3moe17topkGatingSoftmaxIfLi8ELi256ELi8ELi32ELb1ELi4ELNS0_23SharedExpertScoringFuncE1EEEvPKT_PKbPfiPiS9_iiiiii
                                        ; -- End function
	.section	.AMDGPU.csdata,"",@progbits
; Kernel info:
; codeLenInByte = 3008
; NumSgprs: 29
; NumVgprs: 35
; NumAgprs: 0
; TotalNumVgprs: 35
; ScratchSize: 0
; MemoryBound: 0
; FloatMode: 240
; IeeeMode: 1
; LDSByteSize: 0 bytes/workgroup (compile time only)
; SGPRBlocks: 3
; VGPRBlocks: 4
; NumSGPRsForWavesPerEU: 29
; NumVGPRsForWavesPerEU: 35
; AccumOffset: 36
; Occupancy: 8
; WaveLimiterHint : 0
; COMPUTE_PGM_RSRC2:SCRATCH_EN: 0
; COMPUTE_PGM_RSRC2:USER_SGPR: 6
; COMPUTE_PGM_RSRC2:TRAP_HANDLER: 0
; COMPUTE_PGM_RSRC2:TGID_X_EN: 1
; COMPUTE_PGM_RSRC2:TGID_Y_EN: 0
; COMPUTE_PGM_RSRC2:TGID_Z_EN: 0
; COMPUTE_PGM_RSRC2:TIDIG_COMP_CNT: 1
; COMPUTE_PGM_RSRC3_GFX90A:ACCUM_OFFSET: 8
; COMPUTE_PGM_RSRC3_GFX90A:TG_SPLIT: 0
	.section	.text._ZN4vllm3moe17topkGatingSoftmaxIfLi8ELi256ELi8ELi32ELb0ELi4ELNS0_23SharedExpertScoringFuncE1EEEvPKT_PKbPfiPiS9_iiiiii,"axG",@progbits,_ZN4vllm3moe17topkGatingSoftmaxIfLi8ELi256ELi8ELi32ELb0ELi4ELNS0_23SharedExpertScoringFuncE1EEEvPKT_PKbPfiPiS9_iiiiii,comdat
	.protected	_ZN4vllm3moe17topkGatingSoftmaxIfLi8ELi256ELi8ELi32ELb0ELi4ELNS0_23SharedExpertScoringFuncE1EEEvPKT_PKbPfiPiS9_iiiiii ; -- Begin function _ZN4vllm3moe17topkGatingSoftmaxIfLi8ELi256ELi8ELi32ELb0ELi4ELNS0_23SharedExpertScoringFuncE1EEEvPKT_PKbPfiPiS9_iiiiii
	.globl	_ZN4vllm3moe17topkGatingSoftmaxIfLi8ELi256ELi8ELi32ELb0ELi4ELNS0_23SharedExpertScoringFuncE1EEEvPKT_PKbPfiPiS9_iiiiii
	.p2align	8
	.type	_ZN4vllm3moe17topkGatingSoftmaxIfLi8ELi256ELi8ELi32ELb0ELi4ELNS0_23SharedExpertScoringFuncE1EEEvPKT_PKbPfiPiS9_iiiiii,@function
_ZN4vllm3moe17topkGatingSoftmaxIfLi8ELi256ELi8ELi32ELb0ELi4ELNS0_23SharedExpertScoringFuncE1EEEvPKT_PKbPfiPiS9_iiiiii: ; @_ZN4vllm3moe17topkGatingSoftmaxIfLi8ELi256ELi8ELi32ELb0ELi4ELNS0_23SharedExpertScoringFuncE1EEEvPKT_PKbPfiPiS9_iiiiii
; %bb.0:
	s_load_dword s22, s[4:5], 0x18
	v_bfe_u32 v1, v0, 10, 10
	v_and_b32_e32 v0, 0x3ff, v0
	s_lshl_b32 s23, s6, 4
	v_lshlrev_b32_e32 v27, 1, v1
	v_lshrrev_b32_e32 v28, 5, v0
	v_add3_u32 v14, s23, v27, v28
	s_waitcnt lgkmcnt(0)
	v_cmp_gt_i32_e32 vcc, s22, v14
	s_and_saveexec_b64 s[0:1], vcc
	s_cbranch_execz .LBB88_31
; %bb.1:
	s_load_dwordx4 s[0:3], s[4:5], 0x0
	s_load_dwordx2 s[6:7], s[4:5], 0x10
	s_waitcnt lgkmcnt(0)
	s_cmp_eq_u64 s[2:3], 0
	s_cbranch_scc1 .LBB88_3
; %bb.2:
	v_ashrrev_i32_e32 v1, 31, v14
	v_mov_b32_e32 v3, s3
	v_add_co_u32_e32 v2, vcc, s2, v14
	v_addc_co_u32_e32 v3, vcc, v3, v1, vcc
	global_load_ubyte v1, v[2:3], off
	s_waitcnt vmcnt(0)
	v_and_b32_e32 v1, 1, v1
	v_cmp_eq_u32_e32 vcc, 1, v1
	s_xor_b64 s[2:3], vcc, -1
	s_orn2_b64 s[16:17], s[2:3], exec
	s_branch .LBB88_4
.LBB88_3:
	s_mov_b64 s[16:17], -1
.LBB88_4:
	s_load_dwordx2 s[20:21], s[4:5], 0x40
	s_load_dwordx4 s[8:11], s[4:5], 0x30
	v_mov_b32_e32 v1, s1
	v_and_b32_e32 v15, 31, v0
	v_lshlrev_b32_e32 v0, 5, v15
	s_waitcnt lgkmcnt(0)
	v_mul_lo_u32 v2, v14, s21
	v_ashrrev_i32_e32 v3, 31, v2
	v_lshlrev_b64 v[2:3], 2, v[2:3]
	v_add_co_u32_e32 v8, vcc, s0, v2
	v_addc_co_u32_e32 v9, vcc, v1, v3, vcc
	v_add_co_u32_e32 v10, vcc, v8, v0
	v_addc_co_u32_e32 v11, vcc, 0, v9, vcc
	global_load_dwordx4 v[0:3], v[10:11], off offset:16
	global_load_dwordx4 v[4:7], v[10:11], off
	v_lshlrev_b32_e32 v17, 3, v15
	v_mov_b32_e32 v16, 0
	v_cmp_gt_u32_e32 vcc, 4, v15
	s_and_saveexec_b64 s[0:1], vcc
	s_cbranch_execz .LBB88_6
; %bb.5:
	v_lshlrev_b32_e32 v10, 2, v15
	v_add_co_u32_e32 v8, vcc, v8, v10
	v_addc_co_u32_e32 v9, vcc, 0, v9, vcc
	global_load_dword v10, v[8:9], off offset:1024
	s_mov_b32 s2, 0xbfb8aa3b
	s_mov_b32 s3, 0x42ce8ed0
	;; [unrolled: 1-line block ×3, first 2 shown]
	v_mov_b32_e32 v11, 0x7f800000
	v_mul_lo_u32 v8, v14, s11
	v_add3_u32 v8, v8, s8, v15
	v_mov_b32_e32 v18, s7
	s_waitcnt vmcnt(0)
	v_mul_f32_e32 v9, 0xbfb8aa3b, v10
	v_fma_f32 v12, v10, s2, -v9
	v_rndne_f32_e32 v13, v9
	v_fmac_f32_e32 v12, 0xb2a5705f, v10
	v_sub_f32_e32 v9, v9, v13
	v_add_f32_e32 v9, v9, v12
	v_cvt_i32_f32_e32 v13, v13
	v_exp_f32_e32 v12, v9
	v_cmp_nlt_f32_e32 vcc, s3, v10
	v_ashrrev_i32_e32 v9, 31, v8
	v_lshlrev_b64 v[8:9], 2, v[8:9]
	v_ldexp_f32 v12, v12, v13
	v_cndmask_b32_e32 v12, 0, v12, vcc
	v_cmp_ngt_f32_e32 vcc, s12, v10
	v_cndmask_b32_e32 v10, v11, v12, vcc
	v_add_f32_e32 v10, 1.0, v10
	v_div_scale_f32 v11, s[2:3], v10, v10, 1.0
	v_rcp_f32_e32 v12, v11
	v_div_scale_f32 v13, vcc, 1.0, v10, 1.0
	v_fma_f32 v19, -v11, v12, 1.0
	v_fmac_f32_e32 v12, v19, v12
	v_mul_f32_e32 v19, v13, v12
	v_fma_f32 v20, -v11, v19, v13
	v_fmac_f32_e32 v19, v20, v12
	v_fma_f32 v11, -v11, v19, v13
	v_div_fmas_f32 v11, v11, v12, v19
	v_add_co_u32_e32 v8, vcc, s6, v8
	v_div_fixup_f32 v10, v11, v10, 1.0
	v_addc_co_u32_e32 v9, vcc, v18, v9, vcc
	global_store_dword v[8:9], v10, off
.LBB88_6:
	s_or_b64 exec, exec, s[0:1]
	s_waitcnt vmcnt(0)
	v_cmp_lt_f32_e32 vcc, v4, v5
	v_or_b32_e32 v20, 1, v17
	v_cndmask_b32_e32 v9, v4, v5, vcc
	v_cndmask_b32_e32 v8, v17, v20, vcc
	v_cmp_lt_f32_e32 vcc, v9, v6
	v_or_b32_e32 v21, 2, v17
	v_cndmask_b32_e32 v9, v9, v6, vcc
	v_cndmask_b32_e32 v8, v8, v21, vcc
	;; [unrolled: 4-line block ×6, first 2 shown]
	v_or_b32_e32 v26, 7, v17
	v_cmp_lt_f32_e32 vcc, v9, v3
	v_cndmask_b32_e32 v8, v8, v26, vcc
	v_cndmask_b32_e32 v9, v9, v3, vcc
	s_nop 0
	v_mov_b32_dpp v10, v8 quad_perm:[1,0,3,2] row_mask:0xf bank_mask:0xf
	v_mov_b32_dpp v11, v9 quad_perm:[1,0,3,2] row_mask:0xf bank_mask:0xf
	v_cmp_eq_f32_e64 s[0:1], v9, v11
	v_cmp_lt_i32_e64 s[2:3], v10, v8
	v_cmp_lt_f32_e32 vcc, v9, v11
	s_and_b64 s[0:1], s[0:1], s[2:3]
	s_or_b64 vcc, vcc, s[0:1]
	v_cndmask_b32_e32 v9, v9, v11, vcc
	v_cndmask_b32_e32 v8, v8, v10, vcc
	s_nop 0
	v_mov_b32_dpp v11, v9 quad_perm:[2,3,0,1] row_mask:0xf bank_mask:0xf
	v_mov_b32_dpp v10, v8 quad_perm:[2,3,0,1] row_mask:0xf bank_mask:0xf
	v_cmp_eq_f32_e64 s[0:1], v9, v11
	v_cmp_lt_i32_e64 s[2:3], v10, v8
	v_cmp_lt_f32_e32 vcc, v9, v11
	s_and_b64 s[0:1], s[0:1], s[2:3]
	s_or_b64 vcc, vcc, s[0:1]
	v_cndmask_b32_e32 v9, v9, v11, vcc
	v_cndmask_b32_e32 v8, v8, v10, vcc
	s_nop 0
	v_mov_b32_dpp v11, v9 row_half_mirror row_mask:0xf bank_mask:0xf
	v_mov_b32_dpp v10, v8 row_half_mirror row_mask:0xf bank_mask:0xf
	v_cmp_eq_f32_e64 s[0:1], v9, v11
	v_cmp_lt_i32_e64 s[2:3], v10, v8
	v_cmp_lt_f32_e32 vcc, v9, v11
	s_and_b64 s[0:1], s[0:1], s[2:3]
	s_or_b64 vcc, vcc, s[0:1]
	v_cndmask_b32_e32 v9, v9, v11, vcc
	v_cndmask_b32_e32 v8, v8, v10, vcc
	s_nop 0
	v_mov_b32_dpp v11, v9 row_mirror row_mask:0xf bank_mask:0xf
	v_mov_b32_dpp v10, v8 row_mirror row_mask:0xf bank_mask:0xf
	v_cmp_eq_f32_e64 s[0:1], v9, v11
	v_cmp_lt_i32_e64 s[2:3], v10, v8
	v_cmp_lt_f32_e32 vcc, v9, v11
	s_and_b64 s[0:1], s[0:1], s[2:3]
	s_or_b64 vcc, vcc, s[0:1]
	v_cndmask_b32_e32 v9, v9, v11, vcc
	v_cndmask_b32_e32 v8, v8, v10, vcc
	s_nop 0
	v_mov_b32_dpp v11, v9 row_bcast:15 row_mask:0xa bank_mask:0xf
	v_mov_b32_dpp v10, v8 row_bcast:15 row_mask:0xa bank_mask:0xf
	v_cmp_eq_f32_e32 vcc, v9, v11
	v_cmp_lt_i32_e64 s[0:1], v10, v8
	s_and_b64 vcc, vcc, s[0:1]
	v_cmp_lt_f32_e64 s[0:1], v9, v11
	v_cndmask_b32_e32 v12, v9, v11, vcc
	s_or_b64 vcc, s[0:1], vcc
	v_cndmask_b32_e32 v8, v8, v10, vcc
	v_mbcnt_lo_u32_b32 v10, -1, 0
	v_cndmask_b32_e64 v9, v12, v11, s[0:1]
	v_mbcnt_hi_u32_b32 v10, -1, v10
	v_mov_b32_e32 v11, 0x7c
	v_lshl_or_b32 v18, v10, 2, v11
	ds_bpermute_b32 v29, v18, v8
	ds_bpermute_b32 v19, v18, v9
	s_cmp_gt_i32 s8, 0
	s_cselect_b64 s[18:19], -1, 0
	s_cmp_lt_i32 s8, 1
	v_cmp_eq_u32_e32 vcc, 0, v15
	s_cbranch_scc1 .LBB88_18
; %bb.7:
	s_load_dwordx4 s[12:15], s[4:5], 0x20
	v_mul_lo_u32 v12, v14, s11
	v_mul_lo_u32 v10, v14, s20
	;; [unrolled: 1-line block ×3, first 2 shown]
	v_mov_b32_e32 v16, 0
	s_and_saveexec_b64 s[4:5], vcc
	s_cbranch_execz .LBB88_9
; %bb.8:
	s_waitcnt lgkmcnt(0)
	v_sub_f32_e32 v9, v19, v19
	v_mul_f32_e32 v11, 0x3fb8aa3b, v9
	s_mov_b32 s0, 0x3fb8aa3b
	v_rndne_f32_e32 v13, v11
	v_sub_f32_e32 v16, v11, v13
	v_fma_f32 v11, v9, s0, -v11
	v_fmac_f32_e32 v11, 0x32a5705f, v9
	v_add_f32_e32 v11, v16, v11
	v_exp_f32_e32 v11, v11
	v_cvt_i32_f32_e32 v13, v13
	v_cmp_le_i32_e64 s[0:1], s9, v29
	v_cmp_gt_i32_e64 s[2:3], s10, v29
	s_and_b64 s[2:3], s[0:1], s[2:3]
	s_mov_b32 s0, 0xc2ce8ed0
	v_ldexp_f32 v11, v11, v13
	v_cmp_ngt_f32_e64 s[0:1], s0, v9
	v_cndmask_b32_e64 v11, 0, v11, s[0:1]
	s_mov_b32 s0, 0x42b17218
	v_mov_b32_e32 v13, 0x7f800000
	v_cmp_nlt_f32_e64 s[0:1], s0, v9
	v_cndmask_b32_e64 v16, v13, v11, s[0:1]
	v_ashrrev_i32_e32 v13, 31, v12
	v_lshlrev_b64 v[30:31], 2, v[12:13]
	v_mov_b32_e32 v9, s7
	v_add_co_u32_e64 v30, s[0:1], s6, v30
	v_addc_co_u32_e64 v31, s[0:1], v9, v31, s[0:1]
	v_subrev_u32_e32 v9, s9, v29
	v_mov_b32_e32 v11, 0x100
	s_and_b64 s[0:1], s[16:17], s[2:3]
	v_cndmask_b32_e64 v9, v11, v9, s[0:1]
	v_ashrrev_i32_e32 v11, 31, v10
	global_store_dword v[30:31], v16, off
	v_lshlrev_b64 v[30:31], 2, v[10:11]
	v_mov_b32_e32 v11, s13
	v_add_co_u32_e64 v30, s[0:1], s12, v30
	v_addc_co_u32_e64 v31, s[0:1], v11, v31, s[0:1]
	global_store_dword v[30:31], v9, off
	v_ashrrev_i32_e32 v9, 31, v8
	v_lshlrev_b64 v[30:31], 2, v[8:9]
	v_mov_b32_e32 v9, s15
	v_add_co_u32_e64 v30, s[0:1], s14, v30
	v_addc_co_u32_e64 v31, s[0:1], v9, v31, s[0:1]
	global_store_dword v[30:31], v14, off
.LBB88_9:
	s_or_b64 exec, exec, s[4:5]
	s_waitcnt lgkmcnt(0)
	v_ashrrev_i32_e32 v9, 31, v29
	v_lshrrev_b32_e32 v11, 29, v9
	v_add_u32_e32 v13, v29, v11
	v_ashrrev_i32_e32 v11, 3, v13
	v_ashrrev_i32_e32 v13, 31, v13
	v_lshrrev_b32_e32 v13, 27, v13
	v_add_u32_e32 v13, v11, v13
	v_and_b32_e32 v13, 0xffffffe0, v13
	v_sub_u32_e32 v13, v11, v13
	v_cmp_eq_u32_e64 s[0:1], v15, v13
	s_and_saveexec_b64 s[2:3], s[0:1]
	s_cbranch_execz .LBB88_11
; %bb.10:
	v_add_u32_sdwa v9, v29, v9 dst_sel:DWORD dst_unused:UNUSED_PAD src0_sel:DWORD src1_sel:BYTE_3
	v_lshlrev_b32_e32 v11, 3, v11
	v_ashrrev_i32_e32 v9, 8, v9
	v_sub_u32_e32 v11, v29, v11
	v_lshl_add_u32 v9, v9, 3, v11
	v_mov_b32_e32 v11, 0xff800000
	v_cmp_ne_u32_e64 s[0:1], 7, v9
	v_cndmask_b32_e64 v3, v11, v3, s[0:1]
	v_cmp_ne_u32_e64 s[0:1], 6, v9
	v_cndmask_b32_e64 v2, v11, v2, s[0:1]
	v_cmp_ne_u32_e64 s[0:1], 5, v9
	v_cndmask_b32_e64 v1, v11, v1, s[0:1]
	v_cmp_ne_u32_e64 s[0:1], 4, v9
	v_cndmask_b32_e64 v0, v11, v0, s[0:1]
	v_cmp_ne_u32_e64 s[0:1], 3, v9
	v_cndmask_b32_e64 v7, v11, v7, s[0:1]
	v_cmp_ne_u32_e64 s[0:1], 2, v9
	v_cndmask_b32_e64 v6, v11, v6, s[0:1]
	v_cmp_ne_u32_e64 s[0:1], 1, v9
	v_cndmask_b32_e64 v5, v11, v5, s[0:1]
	v_cmp_ne_u32_e64 s[0:1], 0, v9
	v_cndmask_b32_e64 v4, v11, v4, s[0:1]
.LBB88_11:
	s_or_b64 exec, exec, s[2:3]
	s_cmp_eq_u32 s8, 1
	s_cbranch_scc1 .LBB88_18
; %bb.12:
	s_add_i32 s23, s23, s22
	s_add_i32 s20, s8, -1
	v_add3_u32 v27, s23, v28, v27
	v_add_u32_e32 v8, 1, v8
	v_add_u32_e32 v10, 1, v10
	;; [unrolled: 1-line block ×3, first 2 shown]
	s_mov_b32 s21, 0x3fb8aa3b
	s_mov_b32 s23, 0xc2ce8ed0
	;; [unrolled: 1-line block ×3, first 2 shown]
	v_mov_b32_e32 v28, 0x7f800000
	v_mov_b32_e32 v29, 0x100
	;; [unrolled: 1-line block ×3, first 2 shown]
	s_branch .LBB88_14
.LBB88_13:                              ;   in Loop: Header=BB88_14 Depth=1
	s_or_b64 exec, exec, s[2:3]
	s_add_i32 s20, s20, -1
	v_add_u32_e32 v27, s22, v27
	v_add_u32_e32 v8, 1, v8
	;; [unrolled: 1-line block ×3, first 2 shown]
	s_cmp_eq_u32 s20, 0
	v_add_u32_e32 v12, 1, v12
	s_cbranch_scc1 .LBB88_18
.LBB88_14:                              ; =>This Inner Loop Header: Depth=1
	v_cmp_gt_f32_e64 s[0:1], v5, v4
	v_cndmask_b32_e64 v11, v4, v5, s[0:1]
	v_cndmask_b32_e64 v9, v17, v20, s[0:1]
	v_cmp_gt_f32_e64 s[0:1], v6, v11
	v_cndmask_b32_e64 v11, v11, v6, s[0:1]
	v_cndmask_b32_e64 v9, v9, v21, s[0:1]
	;; [unrolled: 3-line block ×7, first 2 shown]
	s_nop 0
	v_mov_b32_dpp v13, v9 quad_perm:[1,0,3,2] row_mask:0xf bank_mask:0xf
	v_mov_b32_dpp v31, v11 quad_perm:[1,0,3,2] row_mask:0xf bank_mask:0xf
	v_cmp_eq_f32_e64 s[2:3], v11, v31
	v_cmp_lt_i32_e64 s[4:5], v13, v9
	v_cmp_lt_f32_e64 s[0:1], v11, v31
	s_and_b64 s[2:3], s[2:3], s[4:5]
	s_or_b64 s[0:1], s[0:1], s[2:3]
	v_cndmask_b32_e64 v11, v11, v31, s[0:1]
	v_cndmask_b32_e64 v9, v9, v13, s[0:1]
	s_nop 0
	v_mov_b32_dpp v31, v11 quad_perm:[2,3,0,1] row_mask:0xf bank_mask:0xf
	v_mov_b32_dpp v13, v9 quad_perm:[2,3,0,1] row_mask:0xf bank_mask:0xf
	v_cmp_eq_f32_e64 s[2:3], v11, v31
	v_cmp_lt_i32_e64 s[4:5], v13, v9
	v_cmp_lt_f32_e64 s[0:1], v11, v31
	s_and_b64 s[2:3], s[2:3], s[4:5]
	s_or_b64 s[0:1], s[0:1], s[2:3]
	v_cndmask_b32_e64 v11, v11, v31, s[0:1]
	v_cndmask_b32_e64 v9, v9, v13, s[0:1]
	s_nop 0
	v_mov_b32_dpp v31, v11 row_half_mirror row_mask:0xf bank_mask:0xf
	v_mov_b32_dpp v13, v9 row_half_mirror row_mask:0xf bank_mask:0xf
	v_cmp_eq_f32_e64 s[2:3], v11, v31
	v_cmp_lt_i32_e64 s[4:5], v13, v9
	v_cmp_lt_f32_e64 s[0:1], v11, v31
	s_and_b64 s[2:3], s[2:3], s[4:5]
	s_or_b64 s[0:1], s[0:1], s[2:3]
	v_cndmask_b32_e64 v11, v11, v31, s[0:1]
	v_cndmask_b32_e64 v9, v9, v13, s[0:1]
	s_nop 0
	v_mov_b32_dpp v31, v11 row_mirror row_mask:0xf bank_mask:0xf
	v_mov_b32_dpp v13, v9 row_mirror row_mask:0xf bank_mask:0xf
	v_cmp_eq_f32_e64 s[2:3], v11, v31
	v_cmp_lt_i32_e64 s[4:5], v13, v9
	v_cmp_lt_f32_e64 s[0:1], v11, v31
	s_and_b64 s[2:3], s[2:3], s[4:5]
	s_or_b64 s[0:1], s[0:1], s[2:3]
	v_cndmask_b32_e64 v11, v11, v31, s[0:1]
	v_cndmask_b32_e64 v9, v9, v13, s[0:1]
	s_nop 0
	v_mov_b32_dpp v31, v11 row_bcast:15 row_mask:0xa bank_mask:0xf
	v_mov_b32_dpp v13, v9 row_bcast:15 row_mask:0xa bank_mask:0xf
	v_cmp_eq_f32_e64 s[0:1], v11, v31
	v_cmp_lt_i32_e64 s[2:3], v13, v9
	s_and_b64 s[0:1], s[0:1], s[2:3]
	v_cmp_lt_f32_e64 s[2:3], v11, v31
	v_cndmask_b32_e64 v32, v11, v31, s[0:1]
	s_or_b64 s[0:1], s[2:3], s[0:1]
	v_cndmask_b32_e64 v11, v32, v31, s[2:3]
	v_cndmask_b32_e64 v9, v9, v13, s[0:1]
	ds_bpermute_b32 v31, v18, v9
	ds_bpermute_b32 v9, v18, v11
	s_and_saveexec_b64 s[4:5], vcc
	s_cbranch_execz .LBB88_16
; %bb.15:                               ;   in Loop: Header=BB88_14 Depth=1
	s_waitcnt lgkmcnt(0)
	v_sub_f32_e32 v9, v9, v19
	v_mul_f32_e32 v11, 0x3fb8aa3b, v9
	v_fma_f32 v13, v9, s21, -v11
	v_rndne_f32_e32 v32, v11
	v_fmac_f32_e32 v13, 0x32a5705f, v9
	v_sub_f32_e32 v11, v11, v32
	v_add_f32_e32 v11, v11, v13
	v_exp_f32_e32 v11, v11
	v_cvt_i32_f32_e32 v13, v32
	v_cmp_le_i32_e64 s[0:1], s9, v31
	v_cmp_gt_i32_e64 s[2:3], s10, v31
	s_and_b64 s[2:3], s[0:1], s[2:3]
	v_ldexp_f32 v11, v11, v13
	v_cmp_ngt_f32_e64 s[0:1], s23, v9
	v_ashrrev_i32_e32 v13, 31, v12
	v_cndmask_b32_e64 v11, 0, v11, s[0:1]
	v_cmp_nlt_f32_e64 s[0:1], s24, v9
	v_lshlrev_b64 v[32:33], 2, v[12:13]
	v_cndmask_b32_e64 v34, v28, v11, s[0:1]
	v_mov_b32_e32 v9, s7
	v_add_co_u32_e64 v32, s[0:1], s6, v32
	v_addc_co_u32_e64 v33, s[0:1], v9, v33, s[0:1]
	v_ashrrev_i32_e32 v11, 31, v10
	global_store_dword v[32:33], v34, off
	v_subrev_u32_e32 v9, s9, v31
	s_and_b64 s[0:1], s[16:17], s[2:3]
	v_lshlrev_b64 v[32:33], 2, v[10:11]
	v_cndmask_b32_e64 v9, v29, v9, s[0:1]
	v_mov_b32_e32 v11, s13
	v_add_co_u32_e64 v32, s[0:1], s12, v32
	v_addc_co_u32_e64 v33, s[0:1], v11, v33, s[0:1]
	global_store_dword v[32:33], v9, off
	v_ashrrev_i32_e32 v9, 31, v8
	v_lshlrev_b64 v[32:33], 2, v[8:9]
	v_mov_b32_e32 v9, s15
	v_add_co_u32_e64 v32, s[0:1], s14, v32
	v_addc_co_u32_e64 v33, s[0:1], v9, v33, s[0:1]
	v_add_f32_e32 v16, v16, v34
	global_store_dword v[32:33], v27, off
.LBB88_16:                              ;   in Loop: Header=BB88_14 Depth=1
	s_or_b64 exec, exec, s[4:5]
	s_waitcnt lgkmcnt(0)
	v_ashrrev_i32_e32 v9, 31, v31
	v_lshrrev_b32_e32 v11, 29, v9
	v_add_u32_e32 v13, v31, v11
	v_ashrrev_i32_e32 v11, 3, v13
	v_ashrrev_i32_e32 v13, 31, v13
	v_lshrrev_b32_e32 v13, 27, v13
	v_add_u32_e32 v13, v11, v13
	v_and_b32_e32 v13, 0xffffffe0, v13
	v_sub_u32_e32 v13, v11, v13
	v_cmp_eq_u32_e64 s[0:1], v15, v13
	s_and_saveexec_b64 s[2:3], s[0:1]
	s_cbranch_execz .LBB88_13
; %bb.17:                               ;   in Loop: Header=BB88_14 Depth=1
	v_add_u32_sdwa v9, v31, v9 dst_sel:DWORD dst_unused:UNUSED_PAD src0_sel:DWORD src1_sel:BYTE_3
	v_lshlrev_b32_e32 v11, 3, v11
	v_ashrrev_i32_e32 v9, 8, v9
	v_sub_u32_e32 v11, v31, v11
	v_lshl_add_u32 v9, v9, 3, v11
	v_cmp_ne_u32_e64 s[0:1], 7, v9
	v_cndmask_b32_e64 v3, v30, v3, s[0:1]
	v_cmp_ne_u32_e64 s[0:1], 6, v9
	v_cndmask_b32_e64 v2, v30, v2, s[0:1]
	;; [unrolled: 2-line block ×8, first 2 shown]
	s_branch .LBB88_13
.LBB88_18:
	s_waitcnt lgkmcnt(0)
	v_sub_f32_e32 v4, v4, v19
	s_mov_b32 s0, 0x3fb8aa3b
	v_mul_f32_e32 v8, 0x3fb8aa3b, v4
	v_fma_f32 v9, v4, s0, -v8
	v_rndne_f32_e32 v10, v8
	v_fmac_f32_e32 v9, 0x32a5705f, v4
	v_sub_f32_e32 v8, v8, v10
	v_add_f32_e32 v8, v8, v9
	v_exp_f32_e32 v8, v8
	v_cvt_i32_f32_e32 v9, v10
	v_sub_f32_e32 v5, v5, v19
	s_mov_b32 s1, 0xc2ce8ed0
	v_cmp_ngt_f32_e32 vcc, s1, v4
	v_ldexp_f32 v8, v8, v9
	v_mul_f32_e32 v9, 0x3fb8aa3b, v5
	v_fma_f32 v10, v5, s0, -v9
	v_rndne_f32_e32 v11, v9
	v_fmac_f32_e32 v10, 0x32a5705f, v5
	v_sub_f32_e32 v9, v9, v11
	v_add_f32_e32 v9, v9, v10
	v_exp_f32_e32 v9, v9
	v_cvt_i32_f32_e32 v10, v11
	s_mov_b32 s2, 0x42b17218
	v_cndmask_b32_e32 v8, 0, v8, vcc
	v_mov_b32_e32 v11, 0x7f800000
	v_cmp_nlt_f32_e32 vcc, s2, v4
	v_sub_f32_e32 v6, v6, v19
	v_cndmask_b32_e32 v4, v11, v8, vcc
	v_ldexp_f32 v8, v9, v10
	v_mul_f32_e32 v9, 0x3fb8aa3b, v6
	v_fma_f32 v10, v6, s0, -v9
	v_rndne_f32_e32 v12, v9
	v_fmac_f32_e32 v10, 0x32a5705f, v6
	v_sub_f32_e32 v9, v9, v12
	v_add_f32_e32 v9, v9, v10
	v_exp_f32_e32 v9, v9
	v_cvt_i32_f32_e32 v10, v12
	v_cmp_ngt_f32_e32 vcc, s1, v5
	v_cndmask_b32_e32 v8, 0, v8, vcc
	v_cmp_nlt_f32_e32 vcc, s2, v5
	v_sub_f32_e32 v7, v7, v19
	v_cndmask_b32_e32 v5, v11, v8, vcc
	v_mul_f32_e32 v8, 0x3fb8aa3b, v7
	v_add_f32_e32 v4, v4, v5
	v_ldexp_f32 v5, v9, v10
	v_fma_f32 v9, v7, s0, -v8
	v_rndne_f32_e32 v10, v8
	v_fmac_f32_e32 v9, 0x32a5705f, v7
	v_sub_f32_e32 v8, v8, v10
	v_add_f32_e32 v8, v8, v9
	v_exp_f32_e32 v8, v8
	v_cvt_i32_f32_e32 v9, v10
	v_cmp_ngt_f32_e32 vcc, s1, v6
	v_cndmask_b32_e32 v5, 0, v5, vcc
	v_cmp_nlt_f32_e32 vcc, s2, v6
	v_sub_f32_e32 v0, v0, v19
	v_cndmask_b32_e32 v5, v11, v5, vcc
	v_mul_f32_e32 v6, 0x3fb8aa3b, v0
	v_add_f32_e32 v4, v4, v5
	v_ldexp_f32 v5, v8, v9
	v_fma_f32 v8, v0, s0, -v6
	v_rndne_f32_e32 v9, v6
	v_fmac_f32_e32 v8, 0x32a5705f, v0
	v_sub_f32_e32 v6, v6, v9
	v_add_f32_e32 v6, v6, v8
	v_exp_f32_e32 v6, v6
	v_cvt_i32_f32_e32 v8, v9
	v_cmp_ngt_f32_e32 vcc, s1, v7
	v_cndmask_b32_e32 v5, 0, v5, vcc
	v_cmp_nlt_f32_e32 vcc, s2, v7
	v_cndmask_b32_e32 v5, v11, v5, vcc
	v_sub_f32_e32 v1, v1, v19
	v_add_f32_e32 v4, v4, v5
	v_ldexp_f32 v5, v6, v8
	v_mul_f32_e32 v6, 0x3fb8aa3b, v1
	v_fma_f32 v7, v1, s0, -v6
	v_rndne_f32_e32 v8, v6
	v_fmac_f32_e32 v7, 0x32a5705f, v1
	v_sub_f32_e32 v6, v6, v8
	v_add_f32_e32 v6, v6, v7
	v_exp_f32_e32 v6, v6
	v_cvt_i32_f32_e32 v7, v8
	v_cmp_ngt_f32_e32 vcc, s1, v0
	v_cndmask_b32_e32 v5, 0, v5, vcc
	v_cmp_nlt_f32_e32 vcc, s2, v0
	v_sub_f32_e32 v2, v2, v19
	v_cndmask_b32_e32 v0, v11, v5, vcc
	v_mul_f32_e32 v5, 0x3fb8aa3b, v2
	v_add_f32_e32 v0, v4, v0
	v_ldexp_f32 v4, v6, v7
	v_fma_f32 v6, v2, s0, -v5
	v_rndne_f32_e32 v7, v5
	v_fmac_f32_e32 v6, 0x32a5705f, v2
	v_sub_f32_e32 v5, v5, v7
	v_add_f32_e32 v5, v5, v6
	v_exp_f32_e32 v5, v5
	v_cvt_i32_f32_e32 v6, v7
	v_cmp_ngt_f32_e32 vcc, s1, v1
	v_cndmask_b32_e32 v4, 0, v4, vcc
	v_cmp_nlt_f32_e32 vcc, s2, v1
	v_sub_f32_e32 v3, v3, v19
	v_cndmask_b32_e32 v1, v11, v4, vcc
	v_mul_f32_e32 v4, 0x3fb8aa3b, v3
	v_add_f32_e32 v0, v0, v1
	v_ldexp_f32 v1, v5, v6
	v_fma_f32 v5, v3, s0, -v4
	v_rndne_f32_e32 v6, v4
	v_fmac_f32_e32 v5, 0x32a5705f, v3
	v_sub_f32_e32 v4, v4, v6
	v_add_f32_e32 v4, v4, v5
	v_exp_f32_e32 v4, v4
	v_cvt_i32_f32_e32 v5, v6
	v_cmp_ngt_f32_e32 vcc, s1, v2
	v_cndmask_b32_e32 v1, 0, v1, vcc
	v_cmp_nlt_f32_e32 vcc, s2, v2
	v_cndmask_b32_e32 v1, v11, v1, vcc
	v_add_f32_e32 v0, v0, v1
	v_ldexp_f32 v1, v4, v5
	v_cmp_ngt_f32_e32 vcc, s1, v3
	v_cndmask_b32_e32 v1, 0, v1, vcc
	v_cmp_nlt_f32_e32 vcc, s2, v3
	v_cndmask_b32_e32 v1, v11, v1, vcc
	v_add_f32_e32 v0, v0, v1
	v_cmp_eq_u32_e32 vcc, 0, v15
	s_nop 0
	v_mov_b32_dpp v1, v0 quad_perm:[1,0,3,2] row_mask:0xf bank_mask:0xf
	v_add_f32_e32 v0, v0, v1
	s_nop 1
	v_mov_b32_dpp v1, v0 quad_perm:[2,3,0,1] row_mask:0xf bank_mask:0xf
	v_add_f32_e32 v0, v0, v1
	s_nop 1
	v_mov_b32_dpp v1, v0 row_half_mirror row_mask:0xf bank_mask:0xf
	v_add_f32_e32 v0, v0, v1
	s_nop 1
	v_mov_b32_dpp v1, v0 row_mirror row_mask:0xf bank_mask:0xf
	v_add_f32_e32 v0, v0, v1
	s_nop 1
	v_mov_b32_dpp v1, v0 row_bcast:15 row_mask:0xa bank_mask:0xf
	v_add_f32_e32 v0, v0, v1
	ds_bpermute_b32 v0, v18, v0
	s_and_b64 exec, exec, vcc
	s_cbranch_execz .LBB88_31
; %bb.19:
	s_waitcnt lgkmcnt(0)
	v_add_f32_e32 v0, v16, v0
	v_cmp_neq_f32_e32 vcc, 0, v0
	s_and_b64 exec, exec, vcc
	s_cbranch_execz .LBB88_31
; %bb.20:
	s_andn2_b64 vcc, exec, s[18:19]
	s_cbranch_vccnz .LBB88_31
; %bb.21:
	v_div_scale_f32 v1, s[0:1], v0, v0, 1.0
	v_rcp_f32_e32 v2, v1
	v_div_scale_f32 v3, vcc, 1.0, v0, 1.0
	s_cmp_gt_u32 s8, 3
	v_fma_f32 v4, -v1, v2, 1.0
	v_fmac_f32_e32 v2, v4, v2
	v_mul_f32_e32 v4, v3, v2
	v_fma_f32 v5, -v1, v4, v3
	v_fmac_f32_e32 v4, v5, v2
	v_fma_f32 v1, -v1, v4, v3
	v_div_fmas_f32 v1, v1, v2, v4
	v_mul_lo_u32 v2, v14, s11
	v_div_fixup_f32 v0, v1, v0, 1.0
	v_ashrrev_i32_e32 v3, 31, v2
	s_cbranch_scc0 .LBB88_25
; %bb.22:
	v_lshlrev_b64 v[4:5], 2, v[2:3]
	v_mov_b32_e32 v6, s7
	v_add_co_u32_e32 v4, vcc, s6, v4
	v_addc_co_u32_e32 v5, vcc, v5, v6, vcc
	s_and_b32 s4, s8, 0x7ffffffc
	v_add_co_u32_e32 v4, vcc, 8, v4
	v_mov_b32_e32 v1, v0
	v_addc_co_u32_e32 v5, vcc, 0, v5, vcc
	s_mov_b32 s0, s4
.LBB88_23:                              ; =>This Inner Loop Header: Depth=1
	global_load_dwordx4 v[6:9], v[4:5], off offset:-8
	s_add_i32 s0, s0, -4
	s_cmp_lg_u32 s0, 0
	s_waitcnt vmcnt(0)
	v_pk_mul_f32 v[6:7], v[0:1], v[6:7]
	v_pk_mul_f32 v[8:9], v[0:1], v[8:9]
	global_store_dwordx4 v[4:5], v[6:9], off offset:-8
	v_add_co_u32_e32 v4, vcc, 16, v4
	v_addc_co_u32_e32 v5, vcc, 0, v5, vcc
	s_cbranch_scc1 .LBB88_23
; %bb.24:
	s_cmp_lg_u32 s4, s8
	s_mov_b64 s[2:3], 0
	s_cselect_b64 s[0:1], -1, 0
	s_branch .LBB88_26
.LBB88_25:
	s_mov_b64 s[2:3], -1
	s_mov_b64 s[0:1], 0
                                        ; implicit-def: $sgpr4
.LBB88_26:
	s_and_b64 vcc, exec, s[2:3]
	s_cbranch_vccz .LBB88_28
; %bb.27:
	s_mov_b64 s[0:1], -1
	s_mov_b32 s4, 0
.LBB88_28:
	s_andn2_b64 vcc, exec, s[0:1]
	s_cbranch_vccnz .LBB88_31
; %bb.29:
	v_add_co_u32_e32 v2, vcc, s4, v2
	v_addc_co_u32_e32 v3, vcc, 0, v3, vcc
	v_lshlrev_b64 v[2:3], 2, v[2:3]
	v_mov_b32_e32 v1, s7
	v_add_co_u32_e32 v2, vcc, s6, v2
	s_sub_i32 s0, s8, s4
	v_addc_co_u32_e32 v3, vcc, v1, v3, vcc
.LBB88_30:                              ; =>This Inner Loop Header: Depth=1
	global_load_dword v1, v[2:3], off
	s_add_i32 s0, s0, -1
	s_cmp_lg_u32 s0, 0
	s_waitcnt vmcnt(0)
	v_mul_f32_e32 v1, v0, v1
	global_store_dword v[2:3], v1, off
	v_add_co_u32_e32 v2, vcc, 4, v2
	v_addc_co_u32_e32 v3, vcc, 0, v3, vcc
	s_cbranch_scc1 .LBB88_30
.LBB88_31:
	s_endpgm
	.section	.rodata,"a",@progbits
	.p2align	6, 0x0
	.amdhsa_kernel _ZN4vllm3moe17topkGatingSoftmaxIfLi8ELi256ELi8ELi32ELb0ELi4ELNS0_23SharedExpertScoringFuncE1EEEvPKT_PKbPfiPiS9_iiiiii
		.amdhsa_group_segment_fixed_size 0
		.amdhsa_private_segment_fixed_size 0
		.amdhsa_kernarg_size 72
		.amdhsa_user_sgpr_count 6
		.amdhsa_user_sgpr_private_segment_buffer 1
		.amdhsa_user_sgpr_dispatch_ptr 0
		.amdhsa_user_sgpr_queue_ptr 0
		.amdhsa_user_sgpr_kernarg_segment_ptr 1
		.amdhsa_user_sgpr_dispatch_id 0
		.amdhsa_user_sgpr_flat_scratch_init 0
		.amdhsa_user_sgpr_kernarg_preload_length 0
		.amdhsa_user_sgpr_kernarg_preload_offset 0
		.amdhsa_user_sgpr_private_segment_size 0
		.amdhsa_uses_dynamic_stack 0
		.amdhsa_system_sgpr_private_segment_wavefront_offset 0
		.amdhsa_system_sgpr_workgroup_id_x 1
		.amdhsa_system_sgpr_workgroup_id_y 0
		.amdhsa_system_sgpr_workgroup_id_z 0
		.amdhsa_system_sgpr_workgroup_info 0
		.amdhsa_system_vgpr_workitem_id 1
		.amdhsa_next_free_vgpr 35
		.amdhsa_next_free_sgpr 25
		.amdhsa_accum_offset 36
		.amdhsa_reserve_vcc 1
		.amdhsa_reserve_flat_scratch 0
		.amdhsa_float_round_mode_32 0
		.amdhsa_float_round_mode_16_64 0
		.amdhsa_float_denorm_mode_32 3
		.amdhsa_float_denorm_mode_16_64 3
		.amdhsa_dx10_clamp 1
		.amdhsa_ieee_mode 1
		.amdhsa_fp16_overflow 0
		.amdhsa_tg_split 0
		.amdhsa_exception_fp_ieee_invalid_op 0
		.amdhsa_exception_fp_denorm_src 0
		.amdhsa_exception_fp_ieee_div_zero 0
		.amdhsa_exception_fp_ieee_overflow 0
		.amdhsa_exception_fp_ieee_underflow 0
		.amdhsa_exception_fp_ieee_inexact 0
		.amdhsa_exception_int_div_zero 0
	.end_amdhsa_kernel
	.section	.text._ZN4vllm3moe17topkGatingSoftmaxIfLi8ELi256ELi8ELi32ELb0ELi4ELNS0_23SharedExpertScoringFuncE1EEEvPKT_PKbPfiPiS9_iiiiii,"axG",@progbits,_ZN4vllm3moe17topkGatingSoftmaxIfLi8ELi256ELi8ELi32ELb0ELi4ELNS0_23SharedExpertScoringFuncE1EEEvPKT_PKbPfiPiS9_iiiiii,comdat
.Lfunc_end88:
	.size	_ZN4vllm3moe17topkGatingSoftmaxIfLi8ELi256ELi8ELi32ELb0ELi4ELNS0_23SharedExpertScoringFuncE1EEEvPKT_PKbPfiPiS9_iiiiii, .Lfunc_end88-_ZN4vllm3moe17topkGatingSoftmaxIfLi8ELi256ELi8ELi32ELb0ELi4ELNS0_23SharedExpertScoringFuncE1EEEvPKT_PKbPfiPiS9_iiiiii
                                        ; -- End function
	.section	.AMDGPU.csdata,"",@progbits
; Kernel info:
; codeLenInByte = 3756
; NumSgprs: 29
; NumVgprs: 35
; NumAgprs: 0
; TotalNumVgprs: 35
; ScratchSize: 0
; MemoryBound: 0
; FloatMode: 240
; IeeeMode: 1
; LDSByteSize: 0 bytes/workgroup (compile time only)
; SGPRBlocks: 3
; VGPRBlocks: 4
; NumSGPRsForWavesPerEU: 29
; NumVGPRsForWavesPerEU: 35
; AccumOffset: 36
; Occupancy: 8
; WaveLimiterHint : 0
; COMPUTE_PGM_RSRC2:SCRATCH_EN: 0
; COMPUTE_PGM_RSRC2:USER_SGPR: 6
; COMPUTE_PGM_RSRC2:TRAP_HANDLER: 0
; COMPUTE_PGM_RSRC2:TGID_X_EN: 1
; COMPUTE_PGM_RSRC2:TGID_Y_EN: 0
; COMPUTE_PGM_RSRC2:TGID_Z_EN: 0
; COMPUTE_PGM_RSRC2:TIDIG_COMP_CNT: 1
; COMPUTE_PGM_RSRC3_GFX90A:ACCUM_OFFSET: 8
; COMPUTE_PGM_RSRC3_GFX90A:TG_SPLIT: 0
	.section	.text._ZN4vllm3moe17topkGatingSoftmaxIfLi8ELi256ELi8ELi32ELb1ELi8ELNS0_23SharedExpertScoringFuncE1EEEvPKT_PKbPfiPiS9_iiiiii,"axG",@progbits,_ZN4vllm3moe17topkGatingSoftmaxIfLi8ELi256ELi8ELi32ELb1ELi8ELNS0_23SharedExpertScoringFuncE1EEEvPKT_PKbPfiPiS9_iiiiii,comdat
	.protected	_ZN4vllm3moe17topkGatingSoftmaxIfLi8ELi256ELi8ELi32ELb1ELi8ELNS0_23SharedExpertScoringFuncE1EEEvPKT_PKbPfiPiS9_iiiiii ; -- Begin function _ZN4vllm3moe17topkGatingSoftmaxIfLi8ELi256ELi8ELi32ELb1ELi8ELNS0_23SharedExpertScoringFuncE1EEEvPKT_PKbPfiPiS9_iiiiii
	.globl	_ZN4vllm3moe17topkGatingSoftmaxIfLi8ELi256ELi8ELi32ELb1ELi8ELNS0_23SharedExpertScoringFuncE1EEEvPKT_PKbPfiPiS9_iiiiii
	.p2align	8
	.type	_ZN4vllm3moe17topkGatingSoftmaxIfLi8ELi256ELi8ELi32ELb1ELi8ELNS0_23SharedExpertScoringFuncE1EEEvPKT_PKbPfiPiS9_iiiiii,@function
_ZN4vllm3moe17topkGatingSoftmaxIfLi8ELi256ELi8ELi32ELb1ELi8ELNS0_23SharedExpertScoringFuncE1EEEvPKT_PKbPfiPiS9_iiiiii: ; @_ZN4vllm3moe17topkGatingSoftmaxIfLi8ELi256ELi8ELi32ELb1ELi8ELNS0_23SharedExpertScoringFuncE1EEEvPKT_PKbPfiPiS9_iiiiii
; %bb.0:
	s_load_dword s22, s[4:5], 0x18
	v_bfe_u32 v1, v0, 10, 10
	v_and_b32_e32 v0, 0x3ff, v0
	s_lshl_b32 s23, s6, 4
	v_lshlrev_b32_e32 v25, 1, v1
	v_lshrrev_b32_e32 v26, 5, v0
	v_add3_u32 v14, s23, v25, v26
	s_waitcnt lgkmcnt(0)
	v_cmp_gt_i32_e32 vcc, s22, v14
	s_and_saveexec_b64 s[0:1], vcc
	s_cbranch_execz .LBB89_29
; %bb.1:
	s_load_dwordx4 s[0:3], s[4:5], 0x0
	s_load_dwordx2 s[6:7], s[4:5], 0x10
	s_waitcnt lgkmcnt(0)
	s_cmp_eq_u64 s[2:3], 0
	s_cbranch_scc1 .LBB89_3
; %bb.2:
	v_ashrrev_i32_e32 v1, 31, v14
	v_mov_b32_e32 v3, s3
	v_add_co_u32_e32 v2, vcc, s2, v14
	v_addc_co_u32_e32 v3, vcc, v3, v1, vcc
	global_load_ubyte v1, v[2:3], off
	s_waitcnt vmcnt(0)
	v_and_b32_e32 v1, 1, v1
	v_cmp_eq_u32_e32 vcc, 1, v1
	s_xor_b64 s[2:3], vcc, -1
	s_orn2_b64 s[16:17], s[2:3], exec
	s_branch .LBB89_4
.LBB89_3:
	s_mov_b64 s[16:17], -1
.LBB89_4:
	s_load_dwordx2 s[20:21], s[4:5], 0x40
	s_load_dwordx4 s[8:11], s[4:5], 0x30
	v_mov_b32_e32 v1, s1
	v_and_b32_e32 v15, 31, v0
	v_lshlrev_b32_e32 v0, 5, v15
	s_waitcnt lgkmcnt(0)
	v_mul_lo_u32 v2, v14, s21
	v_ashrrev_i32_e32 v3, 31, v2
	v_lshlrev_b64 v[2:3], 2, v[2:3]
	v_add_co_u32_e32 v8, vcc, s0, v2
	v_addc_co_u32_e32 v9, vcc, v1, v3, vcc
	v_add_co_u32_e32 v10, vcc, v8, v0
	v_addc_co_u32_e32 v11, vcc, 0, v9, vcc
	global_load_dwordx4 v[0:3], v[10:11], off offset:16
	global_load_dwordx4 v[4:7], v[10:11], off
	v_lshlrev_b32_e32 v17, 3, v15
	v_mov_b32_e32 v16, 0
	v_cmp_gt_u32_e32 vcc, 8, v15
	s_and_saveexec_b64 s[0:1], vcc
	s_cbranch_execz .LBB89_6
; %bb.5:
	v_lshlrev_b32_e32 v10, 2, v15
	v_add_co_u32_e32 v8, vcc, v8, v10
	v_addc_co_u32_e32 v9, vcc, 0, v9, vcc
	global_load_dword v10, v[8:9], off offset:1024
	s_mov_b32 s2, 0xbfb8aa3b
	s_mov_b32 s3, 0x42ce8ed0
	;; [unrolled: 1-line block ×3, first 2 shown]
	v_mov_b32_e32 v11, 0x7f800000
	v_mul_lo_u32 v8, v14, s11
	v_add3_u32 v8, v8, s8, v15
	v_mov_b32_e32 v18, s7
	s_waitcnt vmcnt(0)
	v_mul_f32_e32 v9, 0xbfb8aa3b, v10
	v_fma_f32 v12, v10, s2, -v9
	v_rndne_f32_e32 v13, v9
	v_fmac_f32_e32 v12, 0xb2a5705f, v10
	v_sub_f32_e32 v9, v9, v13
	v_add_f32_e32 v9, v9, v12
	v_cvt_i32_f32_e32 v13, v13
	v_exp_f32_e32 v12, v9
	v_cmp_nlt_f32_e32 vcc, s3, v10
	v_ashrrev_i32_e32 v9, 31, v8
	v_lshlrev_b64 v[8:9], 2, v[8:9]
	v_ldexp_f32 v12, v12, v13
	v_cndmask_b32_e32 v12, 0, v12, vcc
	v_cmp_ngt_f32_e32 vcc, s12, v10
	v_cndmask_b32_e32 v10, v11, v12, vcc
	v_add_f32_e32 v10, 1.0, v10
	v_div_scale_f32 v11, s[2:3], v10, v10, 1.0
	v_rcp_f32_e32 v12, v11
	v_div_scale_f32 v13, vcc, 1.0, v10, 1.0
	v_fma_f32 v19, -v11, v12, 1.0
	v_fmac_f32_e32 v12, v19, v12
	v_mul_f32_e32 v19, v13, v12
	v_fma_f32 v20, -v11, v19, v13
	v_fmac_f32_e32 v19, v20, v12
	v_fma_f32 v11, -v11, v19, v13
	v_div_fmas_f32 v11, v11, v12, v19
	v_add_co_u32_e32 v8, vcc, s6, v8
	v_div_fixup_f32 v10, v11, v10, 1.0
	v_addc_co_u32_e32 v9, vcc, v18, v9, vcc
	global_store_dword v[8:9], v10, off
.LBB89_6:
	s_or_b64 exec, exec, s[0:1]
	s_waitcnt vmcnt(0)
	v_cmp_lt_f32_e32 vcc, v4, v5
	v_or_b32_e32 v18, 1, v17
	v_cndmask_b32_e32 v9, v4, v5, vcc
	v_cndmask_b32_e32 v8, v17, v18, vcc
	v_cmp_lt_f32_e32 vcc, v9, v6
	v_or_b32_e32 v19, 2, v17
	v_cndmask_b32_e32 v9, v9, v6, vcc
	v_cndmask_b32_e32 v8, v8, v19, vcc
	;; [unrolled: 4-line block ×6, first 2 shown]
	v_or_b32_e32 v24, 7, v17
	v_cmp_lt_f32_e32 vcc, v9, v3
	v_cndmask_b32_e32 v8, v8, v24, vcc
	v_cndmask_b32_e32 v9, v9, v3, vcc
	s_nop 0
	v_mov_b32_dpp v10, v8 quad_perm:[1,0,3,2] row_mask:0xf bank_mask:0xf
	v_mov_b32_dpp v11, v9 quad_perm:[1,0,3,2] row_mask:0xf bank_mask:0xf
	v_cmp_eq_f32_e64 s[0:1], v9, v11
	v_cmp_lt_i32_e64 s[2:3], v10, v8
	v_cmp_lt_f32_e32 vcc, v9, v11
	s_and_b64 s[0:1], s[0:1], s[2:3]
	s_or_b64 vcc, vcc, s[0:1]
	v_cndmask_b32_e32 v9, v9, v11, vcc
	v_cndmask_b32_e32 v8, v8, v10, vcc
	s_nop 0
	v_mov_b32_dpp v11, v9 quad_perm:[2,3,0,1] row_mask:0xf bank_mask:0xf
	v_mov_b32_dpp v10, v8 quad_perm:[2,3,0,1] row_mask:0xf bank_mask:0xf
	v_cmp_eq_f32_e64 s[0:1], v9, v11
	v_cmp_lt_i32_e64 s[2:3], v10, v8
	v_cmp_lt_f32_e32 vcc, v9, v11
	s_and_b64 s[0:1], s[0:1], s[2:3]
	s_or_b64 vcc, vcc, s[0:1]
	v_cndmask_b32_e32 v9, v9, v11, vcc
	v_cndmask_b32_e32 v8, v8, v10, vcc
	s_nop 0
	v_mov_b32_dpp v11, v9 row_half_mirror row_mask:0xf bank_mask:0xf
	v_mov_b32_dpp v10, v8 row_half_mirror row_mask:0xf bank_mask:0xf
	v_cmp_eq_f32_e64 s[0:1], v9, v11
	v_cmp_lt_i32_e64 s[2:3], v10, v8
	v_cmp_lt_f32_e32 vcc, v9, v11
	s_and_b64 s[0:1], s[0:1], s[2:3]
	s_or_b64 vcc, vcc, s[0:1]
	v_cndmask_b32_e32 v9, v9, v11, vcc
	v_cndmask_b32_e32 v8, v8, v10, vcc
	s_nop 0
	v_mov_b32_dpp v11, v9 row_mirror row_mask:0xf bank_mask:0xf
	v_mov_b32_dpp v10, v8 row_mirror row_mask:0xf bank_mask:0xf
	v_cmp_eq_f32_e64 s[0:1], v9, v11
	v_cmp_lt_i32_e64 s[2:3], v10, v8
	v_cmp_lt_f32_e32 vcc, v9, v11
	s_and_b64 s[0:1], s[0:1], s[2:3]
	s_or_b64 vcc, vcc, s[0:1]
	v_cndmask_b32_e32 v9, v9, v11, vcc
	v_cndmask_b32_e32 v8, v8, v10, vcc
	s_nop 0
	v_mov_b32_dpp v11, v9 row_bcast:15 row_mask:0xa bank_mask:0xf
	v_mov_b32_dpp v10, v8 row_bcast:15 row_mask:0xa bank_mask:0xf
	v_cmp_eq_f32_e32 vcc, v9, v11
	v_cmp_lt_i32_e64 s[0:1], v10, v8
	s_and_b64 vcc, vcc, s[0:1]
	v_cmp_lt_f32_e64 s[0:1], v9, v11
	v_cndmask_b32_e32 v12, v9, v11, vcc
	s_or_b64 vcc, s[0:1], vcc
	v_cndmask_b32_e32 v8, v8, v10, vcc
	v_mbcnt_lo_u32_b32 v10, -1, 0
	v_cndmask_b32_e64 v9, v12, v11, s[0:1]
	v_mbcnt_hi_u32_b32 v10, -1, v10
	v_mov_b32_e32 v11, 0x7c
	v_lshl_or_b32 v27, v10, 2, v11
	ds_bpermute_b32 v29, v27, v8
	ds_bpermute_b32 v28, v27, v9
	s_cmp_gt_i32 s8, 0
	s_cselect_b64 s[18:19], -1, 0
	s_cmp_lt_i32 s8, 1
	v_cmp_eq_u32_e32 vcc, 0, v15
	s_cbranch_scc1 .LBB89_18
; %bb.7:
	s_load_dwordx4 s[12:15], s[4:5], 0x20
	v_mul_lo_u32 v12, v14, s11
	v_mul_lo_u32 v10, v14, s20
	;; [unrolled: 1-line block ×3, first 2 shown]
	v_mov_b32_e32 v16, 0
	s_and_saveexec_b64 s[4:5], vcc
	s_cbranch_execz .LBB89_9
; %bb.8:
	s_waitcnt lgkmcnt(0)
	v_sub_f32_e32 v9, v28, v28
	v_mul_f32_e32 v11, 0x3fb8aa3b, v9
	s_mov_b32 s0, 0x3fb8aa3b
	v_rndne_f32_e32 v13, v11
	v_sub_f32_e32 v16, v11, v13
	v_fma_f32 v11, v9, s0, -v11
	v_fmac_f32_e32 v11, 0x32a5705f, v9
	v_add_f32_e32 v11, v16, v11
	v_exp_f32_e32 v11, v11
	v_cvt_i32_f32_e32 v13, v13
	v_cmp_le_i32_e64 s[0:1], s9, v29
	v_cmp_gt_i32_e64 s[2:3], s10, v29
	s_and_b64 s[2:3], s[0:1], s[2:3]
	s_mov_b32 s0, 0xc2ce8ed0
	v_ldexp_f32 v11, v11, v13
	v_cmp_ngt_f32_e64 s[0:1], s0, v9
	v_cndmask_b32_e64 v11, 0, v11, s[0:1]
	s_mov_b32 s0, 0x42b17218
	v_mov_b32_e32 v13, 0x7f800000
	v_cmp_nlt_f32_e64 s[0:1], s0, v9
	v_cndmask_b32_e64 v16, v13, v11, s[0:1]
	v_ashrrev_i32_e32 v13, 31, v12
	v_lshlrev_b64 v[30:31], 2, v[12:13]
	v_mov_b32_e32 v9, s7
	v_add_co_u32_e64 v30, s[0:1], s6, v30
	v_addc_co_u32_e64 v31, s[0:1], v9, v31, s[0:1]
	v_subrev_u32_e32 v9, s9, v29
	v_mov_b32_e32 v11, 0x100
	s_and_b64 s[0:1], s[16:17], s[2:3]
	v_cndmask_b32_e64 v9, v11, v9, s[0:1]
	v_ashrrev_i32_e32 v11, 31, v10
	global_store_dword v[30:31], v16, off
	v_lshlrev_b64 v[30:31], 2, v[10:11]
	v_mov_b32_e32 v11, s13
	v_add_co_u32_e64 v30, s[0:1], s12, v30
	v_addc_co_u32_e64 v31, s[0:1], v11, v31, s[0:1]
	global_store_dword v[30:31], v9, off
	v_ashrrev_i32_e32 v9, 31, v8
	v_lshlrev_b64 v[30:31], 2, v[8:9]
	v_mov_b32_e32 v9, s15
	v_add_co_u32_e64 v30, s[0:1], s14, v30
	v_addc_co_u32_e64 v31, s[0:1], v9, v31, s[0:1]
	global_store_dword v[30:31], v14, off
.LBB89_9:
	s_or_b64 exec, exec, s[4:5]
	s_waitcnt lgkmcnt(0)
	v_ashrrev_i32_e32 v9, 31, v29
	v_lshrrev_b32_e32 v11, 29, v9
	v_add_u32_e32 v13, v29, v11
	v_ashrrev_i32_e32 v11, 3, v13
	v_ashrrev_i32_e32 v13, 31, v13
	v_lshrrev_b32_e32 v13, 27, v13
	v_add_u32_e32 v13, v11, v13
	v_and_b32_e32 v13, 0xffffffe0, v13
	v_sub_u32_e32 v13, v11, v13
	v_cmp_eq_u32_e64 s[0:1], v15, v13
	s_and_saveexec_b64 s[2:3], s[0:1]
	s_cbranch_execz .LBB89_11
; %bb.10:
	v_add_u32_sdwa v9, v29, v9 dst_sel:DWORD dst_unused:UNUSED_PAD src0_sel:DWORD src1_sel:BYTE_3
	v_lshlrev_b32_e32 v11, 3, v11
	v_ashrrev_i32_e32 v9, 8, v9
	v_sub_u32_e32 v11, v29, v11
	v_lshl_add_u32 v9, v9, 3, v11
	v_mov_b32_e32 v11, 0xff800000
	v_cmp_ne_u32_e64 s[0:1], 7, v9
	v_cndmask_b32_e64 v3, v11, v3, s[0:1]
	v_cmp_ne_u32_e64 s[0:1], 6, v9
	v_cndmask_b32_e64 v2, v11, v2, s[0:1]
	;; [unrolled: 2-line block ×8, first 2 shown]
.LBB89_11:
	s_or_b64 exec, exec, s[2:3]
	s_cmp_eq_u32 s8, 1
	s_cbranch_scc1 .LBB89_18
; %bb.12:
	s_add_i32 s23, s23, s22
	s_add_i32 s20, s8, -1
	v_add3_u32 v25, s23, v26, v25
	v_add_u32_e32 v8, 1, v8
	v_add_u32_e32 v10, 1, v10
	;; [unrolled: 1-line block ×3, first 2 shown]
	s_mov_b32 s21, 0x3fb8aa3b
	s_mov_b32 s23, 0xc2ce8ed0
	;; [unrolled: 1-line block ×3, first 2 shown]
	v_mov_b32_e32 v26, 0x7f800000
	v_mov_b32_e32 v29, 0x100
	;; [unrolled: 1-line block ×3, first 2 shown]
	s_branch .LBB89_14
.LBB89_13:                              ;   in Loop: Header=BB89_14 Depth=1
	s_or_b64 exec, exec, s[2:3]
	s_add_i32 s20, s20, -1
	v_add_u32_e32 v25, s22, v25
	v_add_u32_e32 v8, 1, v8
	;; [unrolled: 1-line block ×3, first 2 shown]
	s_cmp_eq_u32 s20, 0
	v_add_u32_e32 v12, 1, v12
	s_cbranch_scc1 .LBB89_18
.LBB89_14:                              ; =>This Inner Loop Header: Depth=1
	v_cmp_gt_f32_e64 s[0:1], v5, v4
	v_cndmask_b32_e64 v11, v4, v5, s[0:1]
	v_cndmask_b32_e64 v9, v17, v18, s[0:1]
	v_cmp_gt_f32_e64 s[0:1], v6, v11
	v_cndmask_b32_e64 v11, v11, v6, s[0:1]
	v_cndmask_b32_e64 v9, v9, v19, s[0:1]
	;; [unrolled: 3-line block ×7, first 2 shown]
	s_nop 0
	v_mov_b32_dpp v13, v9 quad_perm:[1,0,3,2] row_mask:0xf bank_mask:0xf
	v_mov_b32_dpp v31, v11 quad_perm:[1,0,3,2] row_mask:0xf bank_mask:0xf
	v_cmp_eq_f32_e64 s[2:3], v11, v31
	v_cmp_lt_i32_e64 s[4:5], v13, v9
	v_cmp_lt_f32_e64 s[0:1], v11, v31
	s_and_b64 s[2:3], s[2:3], s[4:5]
	s_or_b64 s[0:1], s[0:1], s[2:3]
	v_cndmask_b32_e64 v11, v11, v31, s[0:1]
	v_cndmask_b32_e64 v9, v9, v13, s[0:1]
	s_nop 0
	v_mov_b32_dpp v31, v11 quad_perm:[2,3,0,1] row_mask:0xf bank_mask:0xf
	v_mov_b32_dpp v13, v9 quad_perm:[2,3,0,1] row_mask:0xf bank_mask:0xf
	v_cmp_eq_f32_e64 s[2:3], v11, v31
	v_cmp_lt_i32_e64 s[4:5], v13, v9
	v_cmp_lt_f32_e64 s[0:1], v11, v31
	s_and_b64 s[2:3], s[2:3], s[4:5]
	s_or_b64 s[0:1], s[0:1], s[2:3]
	v_cndmask_b32_e64 v11, v11, v31, s[0:1]
	v_cndmask_b32_e64 v9, v9, v13, s[0:1]
	s_nop 0
	v_mov_b32_dpp v31, v11 row_half_mirror row_mask:0xf bank_mask:0xf
	v_mov_b32_dpp v13, v9 row_half_mirror row_mask:0xf bank_mask:0xf
	v_cmp_eq_f32_e64 s[2:3], v11, v31
	v_cmp_lt_i32_e64 s[4:5], v13, v9
	v_cmp_lt_f32_e64 s[0:1], v11, v31
	s_and_b64 s[2:3], s[2:3], s[4:5]
	s_or_b64 s[0:1], s[0:1], s[2:3]
	v_cndmask_b32_e64 v11, v11, v31, s[0:1]
	v_cndmask_b32_e64 v9, v9, v13, s[0:1]
	s_nop 0
	v_mov_b32_dpp v31, v11 row_mirror row_mask:0xf bank_mask:0xf
	v_mov_b32_dpp v13, v9 row_mirror row_mask:0xf bank_mask:0xf
	v_cmp_eq_f32_e64 s[2:3], v11, v31
	v_cmp_lt_i32_e64 s[4:5], v13, v9
	v_cmp_lt_f32_e64 s[0:1], v11, v31
	s_and_b64 s[2:3], s[2:3], s[4:5]
	s_or_b64 s[0:1], s[0:1], s[2:3]
	v_cndmask_b32_e64 v11, v11, v31, s[0:1]
	v_cndmask_b32_e64 v9, v9, v13, s[0:1]
	s_nop 0
	v_mov_b32_dpp v31, v11 row_bcast:15 row_mask:0xa bank_mask:0xf
	v_mov_b32_dpp v13, v9 row_bcast:15 row_mask:0xa bank_mask:0xf
	v_cmp_eq_f32_e64 s[0:1], v11, v31
	v_cmp_lt_i32_e64 s[2:3], v13, v9
	s_and_b64 s[0:1], s[0:1], s[2:3]
	v_cmp_lt_f32_e64 s[2:3], v11, v31
	v_cndmask_b32_e64 v32, v11, v31, s[0:1]
	s_or_b64 s[0:1], s[2:3], s[0:1]
	v_cndmask_b32_e64 v11, v32, v31, s[2:3]
	v_cndmask_b32_e64 v9, v9, v13, s[0:1]
	ds_bpermute_b32 v31, v27, v9
	ds_bpermute_b32 v9, v27, v11
	s_and_saveexec_b64 s[4:5], vcc
	s_cbranch_execz .LBB89_16
; %bb.15:                               ;   in Loop: Header=BB89_14 Depth=1
	s_waitcnt lgkmcnt(0)
	v_sub_f32_e32 v9, v9, v28
	v_mul_f32_e32 v11, 0x3fb8aa3b, v9
	v_fma_f32 v13, v9, s21, -v11
	v_rndne_f32_e32 v32, v11
	v_fmac_f32_e32 v13, 0x32a5705f, v9
	v_sub_f32_e32 v11, v11, v32
	v_add_f32_e32 v11, v11, v13
	v_exp_f32_e32 v11, v11
	v_cvt_i32_f32_e32 v13, v32
	v_cmp_le_i32_e64 s[0:1], s9, v31
	v_cmp_gt_i32_e64 s[2:3], s10, v31
	s_and_b64 s[2:3], s[0:1], s[2:3]
	v_ldexp_f32 v11, v11, v13
	v_cmp_ngt_f32_e64 s[0:1], s23, v9
	v_ashrrev_i32_e32 v13, 31, v12
	v_cndmask_b32_e64 v11, 0, v11, s[0:1]
	v_cmp_nlt_f32_e64 s[0:1], s24, v9
	v_lshlrev_b64 v[32:33], 2, v[12:13]
	v_cndmask_b32_e64 v34, v26, v11, s[0:1]
	v_mov_b32_e32 v9, s7
	v_add_co_u32_e64 v32, s[0:1], s6, v32
	v_addc_co_u32_e64 v33, s[0:1], v9, v33, s[0:1]
	v_ashrrev_i32_e32 v11, 31, v10
	global_store_dword v[32:33], v34, off
	v_subrev_u32_e32 v9, s9, v31
	s_and_b64 s[0:1], s[16:17], s[2:3]
	v_lshlrev_b64 v[32:33], 2, v[10:11]
	v_cndmask_b32_e64 v9, v29, v9, s[0:1]
	v_mov_b32_e32 v11, s13
	v_add_co_u32_e64 v32, s[0:1], s12, v32
	v_addc_co_u32_e64 v33, s[0:1], v11, v33, s[0:1]
	global_store_dword v[32:33], v9, off
	v_ashrrev_i32_e32 v9, 31, v8
	v_lshlrev_b64 v[32:33], 2, v[8:9]
	v_mov_b32_e32 v9, s15
	v_add_co_u32_e64 v32, s[0:1], s14, v32
	v_addc_co_u32_e64 v33, s[0:1], v9, v33, s[0:1]
	v_add_f32_e32 v16, v16, v34
	global_store_dword v[32:33], v25, off
.LBB89_16:                              ;   in Loop: Header=BB89_14 Depth=1
	s_or_b64 exec, exec, s[4:5]
	s_waitcnt lgkmcnt(0)
	v_ashrrev_i32_e32 v9, 31, v31
	v_lshrrev_b32_e32 v11, 29, v9
	v_add_u32_e32 v13, v31, v11
	v_ashrrev_i32_e32 v11, 3, v13
	v_ashrrev_i32_e32 v13, 31, v13
	v_lshrrev_b32_e32 v13, 27, v13
	v_add_u32_e32 v13, v11, v13
	v_and_b32_e32 v13, 0xffffffe0, v13
	v_sub_u32_e32 v13, v11, v13
	v_cmp_eq_u32_e64 s[0:1], v15, v13
	s_and_saveexec_b64 s[2:3], s[0:1]
	s_cbranch_execz .LBB89_13
; %bb.17:                               ;   in Loop: Header=BB89_14 Depth=1
	v_add_u32_sdwa v9, v31, v9 dst_sel:DWORD dst_unused:UNUSED_PAD src0_sel:DWORD src1_sel:BYTE_3
	v_lshlrev_b32_e32 v11, 3, v11
	v_ashrrev_i32_e32 v9, 8, v9
	v_sub_u32_e32 v11, v31, v11
	v_lshl_add_u32 v9, v9, 3, v11
	v_cmp_ne_u32_e64 s[0:1], 7, v9
	v_cndmask_b32_e64 v3, v30, v3, s[0:1]
	v_cmp_ne_u32_e64 s[0:1], 6, v9
	v_cndmask_b32_e64 v2, v30, v2, s[0:1]
	;; [unrolled: 2-line block ×8, first 2 shown]
	s_branch .LBB89_13
.LBB89_18:
	v_cmp_eq_u32_e32 vcc, 0, v15
	v_cmp_neq_f32_e64 s[0:1], 0, v16
	s_and_b64 s[0:1], vcc, s[0:1]
	s_and_b64 exec, exec, s[0:1]
	s_cbranch_execz .LBB89_29
; %bb.19:
	s_andn2_b64 vcc, exec, s[18:19]
	s_cbranch_vccnz .LBB89_29
; %bb.20:
	v_div_scale_f32 v0, s[0:1], v16, v16, 1.0
	v_rcp_f32_e32 v1, v0
	v_div_scale_f32 v2, vcc, 1.0, v16, 1.0
	s_cmp_gt_u32 s8, 3
	v_fma_f32 v3, -v0, v1, 1.0
	v_fmac_f32_e32 v1, v3, v1
	v_mul_f32_e32 v3, v2, v1
	v_fma_f32 v4, -v0, v3, v2
	v_fmac_f32_e32 v3, v4, v1
	v_fma_f32 v0, -v0, v3, v2
	v_div_fmas_f32 v0, v0, v1, v3
	v_mul_lo_u32 v2, v14, s11
	v_div_fixup_f32 v0, v0, v16, 1.0
	v_ashrrev_i32_e32 v3, 31, v2
	s_cbranch_scc0 .LBB89_24
; %bb.21:
	v_lshlrev_b64 v[4:5], 2, v[2:3]
	v_mov_b32_e32 v6, s7
	v_add_co_u32_e32 v4, vcc, s6, v4
	v_addc_co_u32_e32 v5, vcc, v5, v6, vcc
	s_and_b32 s4, s8, 0x7ffffffc
	v_add_co_u32_e32 v4, vcc, 8, v4
	v_mov_b32_e32 v1, v0
	v_addc_co_u32_e32 v5, vcc, 0, v5, vcc
	s_mov_b32 s0, s4
.LBB89_22:                              ; =>This Inner Loop Header: Depth=1
	global_load_dwordx4 v[6:9], v[4:5], off offset:-8
	s_add_i32 s0, s0, -4
	s_cmp_lg_u32 s0, 0
	s_waitcnt vmcnt(0)
	v_pk_mul_f32 v[6:7], v[0:1], v[6:7]
	v_pk_mul_f32 v[8:9], v[0:1], v[8:9]
	global_store_dwordx4 v[4:5], v[6:9], off offset:-8
	v_add_co_u32_e32 v4, vcc, 16, v4
	v_addc_co_u32_e32 v5, vcc, 0, v5, vcc
	s_cbranch_scc1 .LBB89_22
; %bb.23:
	s_cmp_lg_u32 s4, s8
	s_cselect_b64 s[0:1], -1, 0
	s_branch .LBB89_26
.LBB89_24:
	s_mov_b64 s[0:1], 0
                                        ; implicit-def: $sgpr4
	s_cbranch_execz .LBB89_26
; %bb.25:
	s_mov_b64 s[0:1], -1
	s_mov_b32 s4, 0
.LBB89_26:
	s_andn2_b64 vcc, exec, s[0:1]
	s_cbranch_vccnz .LBB89_29
; %bb.27:
	v_add_co_u32_e32 v2, vcc, s4, v2
	v_addc_co_u32_e32 v3, vcc, 0, v3, vcc
	v_lshlrev_b64 v[2:3], 2, v[2:3]
	v_mov_b32_e32 v1, s7
	v_add_co_u32_e32 v2, vcc, s6, v2
	s_sub_i32 s0, s8, s4
	v_addc_co_u32_e32 v3, vcc, v1, v3, vcc
.LBB89_28:                              ; =>This Inner Loop Header: Depth=1
	global_load_dword v1, v[2:3], off
	s_add_i32 s0, s0, -1
	s_cmp_lg_u32 s0, 0
	s_waitcnt vmcnt(0)
	v_mul_f32_e32 v1, v0, v1
	global_store_dword v[2:3], v1, off
	v_add_co_u32_e32 v2, vcc, 4, v2
	v_addc_co_u32_e32 v3, vcc, 0, v3, vcc
	s_cbranch_scc1 .LBB89_28
.LBB89_29:
	s_endpgm
	.section	.rodata,"a",@progbits
	.p2align	6, 0x0
	.amdhsa_kernel _ZN4vllm3moe17topkGatingSoftmaxIfLi8ELi256ELi8ELi32ELb1ELi8ELNS0_23SharedExpertScoringFuncE1EEEvPKT_PKbPfiPiS9_iiiiii
		.amdhsa_group_segment_fixed_size 0
		.amdhsa_private_segment_fixed_size 0
		.amdhsa_kernarg_size 72
		.amdhsa_user_sgpr_count 6
		.amdhsa_user_sgpr_private_segment_buffer 1
		.amdhsa_user_sgpr_dispatch_ptr 0
		.amdhsa_user_sgpr_queue_ptr 0
		.amdhsa_user_sgpr_kernarg_segment_ptr 1
		.amdhsa_user_sgpr_dispatch_id 0
		.amdhsa_user_sgpr_flat_scratch_init 0
		.amdhsa_user_sgpr_kernarg_preload_length 0
		.amdhsa_user_sgpr_kernarg_preload_offset 0
		.amdhsa_user_sgpr_private_segment_size 0
		.amdhsa_uses_dynamic_stack 0
		.amdhsa_system_sgpr_private_segment_wavefront_offset 0
		.amdhsa_system_sgpr_workgroup_id_x 1
		.amdhsa_system_sgpr_workgroup_id_y 0
		.amdhsa_system_sgpr_workgroup_id_z 0
		.amdhsa_system_sgpr_workgroup_info 0
		.amdhsa_system_vgpr_workitem_id 1
		.amdhsa_next_free_vgpr 35
		.amdhsa_next_free_sgpr 25
		.amdhsa_accum_offset 36
		.amdhsa_reserve_vcc 1
		.amdhsa_reserve_flat_scratch 0
		.amdhsa_float_round_mode_32 0
		.amdhsa_float_round_mode_16_64 0
		.amdhsa_float_denorm_mode_32 3
		.amdhsa_float_denorm_mode_16_64 3
		.amdhsa_dx10_clamp 1
		.amdhsa_ieee_mode 1
		.amdhsa_fp16_overflow 0
		.amdhsa_tg_split 0
		.amdhsa_exception_fp_ieee_invalid_op 0
		.amdhsa_exception_fp_denorm_src 0
		.amdhsa_exception_fp_ieee_div_zero 0
		.amdhsa_exception_fp_ieee_overflow 0
		.amdhsa_exception_fp_ieee_underflow 0
		.amdhsa_exception_fp_ieee_inexact 0
		.amdhsa_exception_int_div_zero 0
	.end_amdhsa_kernel
	.section	.text._ZN4vllm3moe17topkGatingSoftmaxIfLi8ELi256ELi8ELi32ELb1ELi8ELNS0_23SharedExpertScoringFuncE1EEEvPKT_PKbPfiPiS9_iiiiii,"axG",@progbits,_ZN4vllm3moe17topkGatingSoftmaxIfLi8ELi256ELi8ELi32ELb1ELi8ELNS0_23SharedExpertScoringFuncE1EEEvPKT_PKbPfiPiS9_iiiiii,comdat
.Lfunc_end89:
	.size	_ZN4vllm3moe17topkGatingSoftmaxIfLi8ELi256ELi8ELi32ELb1ELi8ELNS0_23SharedExpertScoringFuncE1EEEvPKT_PKbPfiPiS9_iiiiii, .Lfunc_end89-_ZN4vllm3moe17topkGatingSoftmaxIfLi8ELi256ELi8ELi32ELb1ELi8ELNS0_23SharedExpertScoringFuncE1EEEvPKT_PKbPfiPiS9_iiiiii
                                        ; -- End function
	.section	.AMDGPU.csdata,"",@progbits
; Kernel info:
; codeLenInByte = 3008
; NumSgprs: 29
; NumVgprs: 35
; NumAgprs: 0
; TotalNumVgprs: 35
; ScratchSize: 0
; MemoryBound: 0
; FloatMode: 240
; IeeeMode: 1
; LDSByteSize: 0 bytes/workgroup (compile time only)
; SGPRBlocks: 3
; VGPRBlocks: 4
; NumSGPRsForWavesPerEU: 29
; NumVGPRsForWavesPerEU: 35
; AccumOffset: 36
; Occupancy: 8
; WaveLimiterHint : 0
; COMPUTE_PGM_RSRC2:SCRATCH_EN: 0
; COMPUTE_PGM_RSRC2:USER_SGPR: 6
; COMPUTE_PGM_RSRC2:TRAP_HANDLER: 0
; COMPUTE_PGM_RSRC2:TGID_X_EN: 1
; COMPUTE_PGM_RSRC2:TGID_Y_EN: 0
; COMPUTE_PGM_RSRC2:TGID_Z_EN: 0
; COMPUTE_PGM_RSRC2:TIDIG_COMP_CNT: 1
; COMPUTE_PGM_RSRC3_GFX90A:ACCUM_OFFSET: 8
; COMPUTE_PGM_RSRC3_GFX90A:TG_SPLIT: 0
	.section	.text._ZN4vllm3moe17topkGatingSoftmaxIfLi8ELi256ELi8ELi32ELb0ELi8ELNS0_23SharedExpertScoringFuncE1EEEvPKT_PKbPfiPiS9_iiiiii,"axG",@progbits,_ZN4vllm3moe17topkGatingSoftmaxIfLi8ELi256ELi8ELi32ELb0ELi8ELNS0_23SharedExpertScoringFuncE1EEEvPKT_PKbPfiPiS9_iiiiii,comdat
	.protected	_ZN4vllm3moe17topkGatingSoftmaxIfLi8ELi256ELi8ELi32ELb0ELi8ELNS0_23SharedExpertScoringFuncE1EEEvPKT_PKbPfiPiS9_iiiiii ; -- Begin function _ZN4vllm3moe17topkGatingSoftmaxIfLi8ELi256ELi8ELi32ELb0ELi8ELNS0_23SharedExpertScoringFuncE1EEEvPKT_PKbPfiPiS9_iiiiii
	.globl	_ZN4vllm3moe17topkGatingSoftmaxIfLi8ELi256ELi8ELi32ELb0ELi8ELNS0_23SharedExpertScoringFuncE1EEEvPKT_PKbPfiPiS9_iiiiii
	.p2align	8
	.type	_ZN4vllm3moe17topkGatingSoftmaxIfLi8ELi256ELi8ELi32ELb0ELi8ELNS0_23SharedExpertScoringFuncE1EEEvPKT_PKbPfiPiS9_iiiiii,@function
_ZN4vllm3moe17topkGatingSoftmaxIfLi8ELi256ELi8ELi32ELb0ELi8ELNS0_23SharedExpertScoringFuncE1EEEvPKT_PKbPfiPiS9_iiiiii: ; @_ZN4vllm3moe17topkGatingSoftmaxIfLi8ELi256ELi8ELi32ELb0ELi8ELNS0_23SharedExpertScoringFuncE1EEEvPKT_PKbPfiPiS9_iiiiii
; %bb.0:
	s_load_dword s22, s[4:5], 0x18
	v_bfe_u32 v1, v0, 10, 10
	v_and_b32_e32 v0, 0x3ff, v0
	s_lshl_b32 s23, s6, 4
	v_lshlrev_b32_e32 v27, 1, v1
	v_lshrrev_b32_e32 v28, 5, v0
	v_add3_u32 v14, s23, v27, v28
	s_waitcnt lgkmcnt(0)
	v_cmp_gt_i32_e32 vcc, s22, v14
	s_and_saveexec_b64 s[0:1], vcc
	s_cbranch_execz .LBB90_31
; %bb.1:
	s_load_dwordx4 s[0:3], s[4:5], 0x0
	s_load_dwordx2 s[6:7], s[4:5], 0x10
	s_waitcnt lgkmcnt(0)
	s_cmp_eq_u64 s[2:3], 0
	s_cbranch_scc1 .LBB90_3
; %bb.2:
	v_ashrrev_i32_e32 v1, 31, v14
	v_mov_b32_e32 v3, s3
	v_add_co_u32_e32 v2, vcc, s2, v14
	v_addc_co_u32_e32 v3, vcc, v3, v1, vcc
	global_load_ubyte v1, v[2:3], off
	s_waitcnt vmcnt(0)
	v_and_b32_e32 v1, 1, v1
	v_cmp_eq_u32_e32 vcc, 1, v1
	s_xor_b64 s[2:3], vcc, -1
	s_orn2_b64 s[16:17], s[2:3], exec
	s_branch .LBB90_4
.LBB90_3:
	s_mov_b64 s[16:17], -1
.LBB90_4:
	s_load_dwordx2 s[20:21], s[4:5], 0x40
	s_load_dwordx4 s[8:11], s[4:5], 0x30
	v_mov_b32_e32 v1, s1
	v_and_b32_e32 v15, 31, v0
	v_lshlrev_b32_e32 v0, 5, v15
	s_waitcnt lgkmcnt(0)
	v_mul_lo_u32 v2, v14, s21
	v_ashrrev_i32_e32 v3, 31, v2
	v_lshlrev_b64 v[2:3], 2, v[2:3]
	v_add_co_u32_e32 v8, vcc, s0, v2
	v_addc_co_u32_e32 v9, vcc, v1, v3, vcc
	v_add_co_u32_e32 v10, vcc, v8, v0
	v_addc_co_u32_e32 v11, vcc, 0, v9, vcc
	global_load_dwordx4 v[0:3], v[10:11], off offset:16
	global_load_dwordx4 v[4:7], v[10:11], off
	v_lshlrev_b32_e32 v17, 3, v15
	v_mov_b32_e32 v16, 0
	v_cmp_gt_u32_e32 vcc, 8, v15
	s_and_saveexec_b64 s[0:1], vcc
	s_cbranch_execz .LBB90_6
; %bb.5:
	v_lshlrev_b32_e32 v10, 2, v15
	v_add_co_u32_e32 v8, vcc, v8, v10
	v_addc_co_u32_e32 v9, vcc, 0, v9, vcc
	global_load_dword v10, v[8:9], off offset:1024
	s_mov_b32 s2, 0xbfb8aa3b
	s_mov_b32 s3, 0x42ce8ed0
	;; [unrolled: 1-line block ×3, first 2 shown]
	v_mov_b32_e32 v11, 0x7f800000
	v_mul_lo_u32 v8, v14, s11
	v_add3_u32 v8, v8, s8, v15
	v_mov_b32_e32 v18, s7
	s_waitcnt vmcnt(0)
	v_mul_f32_e32 v9, 0xbfb8aa3b, v10
	v_fma_f32 v12, v10, s2, -v9
	v_rndne_f32_e32 v13, v9
	v_fmac_f32_e32 v12, 0xb2a5705f, v10
	v_sub_f32_e32 v9, v9, v13
	v_add_f32_e32 v9, v9, v12
	v_cvt_i32_f32_e32 v13, v13
	v_exp_f32_e32 v12, v9
	v_cmp_nlt_f32_e32 vcc, s3, v10
	v_ashrrev_i32_e32 v9, 31, v8
	v_lshlrev_b64 v[8:9], 2, v[8:9]
	v_ldexp_f32 v12, v12, v13
	v_cndmask_b32_e32 v12, 0, v12, vcc
	v_cmp_ngt_f32_e32 vcc, s12, v10
	v_cndmask_b32_e32 v10, v11, v12, vcc
	v_add_f32_e32 v10, 1.0, v10
	v_div_scale_f32 v11, s[2:3], v10, v10, 1.0
	v_rcp_f32_e32 v12, v11
	v_div_scale_f32 v13, vcc, 1.0, v10, 1.0
	v_fma_f32 v19, -v11, v12, 1.0
	v_fmac_f32_e32 v12, v19, v12
	v_mul_f32_e32 v19, v13, v12
	v_fma_f32 v20, -v11, v19, v13
	v_fmac_f32_e32 v19, v20, v12
	v_fma_f32 v11, -v11, v19, v13
	v_div_fmas_f32 v11, v11, v12, v19
	v_add_co_u32_e32 v8, vcc, s6, v8
	v_div_fixup_f32 v10, v11, v10, 1.0
	v_addc_co_u32_e32 v9, vcc, v18, v9, vcc
	global_store_dword v[8:9], v10, off
.LBB90_6:
	s_or_b64 exec, exec, s[0:1]
	s_waitcnt vmcnt(0)
	v_cmp_lt_f32_e32 vcc, v4, v5
	v_or_b32_e32 v20, 1, v17
	v_cndmask_b32_e32 v9, v4, v5, vcc
	v_cndmask_b32_e32 v8, v17, v20, vcc
	v_cmp_lt_f32_e32 vcc, v9, v6
	v_or_b32_e32 v21, 2, v17
	v_cndmask_b32_e32 v9, v9, v6, vcc
	v_cndmask_b32_e32 v8, v8, v21, vcc
	v_cmp_lt_f32_e32 vcc, v9, v7
	v_or_b32_e32 v22, 3, v17
	v_cndmask_b32_e32 v9, v9, v7, vcc
	v_cndmask_b32_e32 v8, v8, v22, vcc
	v_cmp_lt_f32_e32 vcc, v9, v0
	v_or_b32_e32 v23, 4, v17
	v_cndmask_b32_e32 v9, v9, v0, vcc
	v_cndmask_b32_e32 v8, v8, v23, vcc
	v_cmp_lt_f32_e32 vcc, v9, v1
	v_or_b32_e32 v24, 5, v17
	v_cndmask_b32_e32 v9, v9, v1, vcc
	v_cndmask_b32_e32 v8, v8, v24, vcc
	v_cmp_lt_f32_e32 vcc, v9, v2
	v_or_b32_e32 v25, 6, v17
	v_cndmask_b32_e32 v9, v9, v2, vcc
	v_cndmask_b32_e32 v8, v8, v25, vcc
	v_or_b32_e32 v26, 7, v17
	v_cmp_lt_f32_e32 vcc, v9, v3
	v_cndmask_b32_e32 v8, v8, v26, vcc
	v_cndmask_b32_e32 v9, v9, v3, vcc
	s_nop 0
	v_mov_b32_dpp v10, v8 quad_perm:[1,0,3,2] row_mask:0xf bank_mask:0xf
	v_mov_b32_dpp v11, v9 quad_perm:[1,0,3,2] row_mask:0xf bank_mask:0xf
	v_cmp_eq_f32_e64 s[0:1], v9, v11
	v_cmp_lt_i32_e64 s[2:3], v10, v8
	v_cmp_lt_f32_e32 vcc, v9, v11
	s_and_b64 s[0:1], s[0:1], s[2:3]
	s_or_b64 vcc, vcc, s[0:1]
	v_cndmask_b32_e32 v9, v9, v11, vcc
	v_cndmask_b32_e32 v8, v8, v10, vcc
	s_nop 0
	v_mov_b32_dpp v11, v9 quad_perm:[2,3,0,1] row_mask:0xf bank_mask:0xf
	v_mov_b32_dpp v10, v8 quad_perm:[2,3,0,1] row_mask:0xf bank_mask:0xf
	v_cmp_eq_f32_e64 s[0:1], v9, v11
	v_cmp_lt_i32_e64 s[2:3], v10, v8
	v_cmp_lt_f32_e32 vcc, v9, v11
	s_and_b64 s[0:1], s[0:1], s[2:3]
	s_or_b64 vcc, vcc, s[0:1]
	v_cndmask_b32_e32 v9, v9, v11, vcc
	v_cndmask_b32_e32 v8, v8, v10, vcc
	s_nop 0
	v_mov_b32_dpp v11, v9 row_half_mirror row_mask:0xf bank_mask:0xf
	v_mov_b32_dpp v10, v8 row_half_mirror row_mask:0xf bank_mask:0xf
	v_cmp_eq_f32_e64 s[0:1], v9, v11
	v_cmp_lt_i32_e64 s[2:3], v10, v8
	v_cmp_lt_f32_e32 vcc, v9, v11
	s_and_b64 s[0:1], s[0:1], s[2:3]
	s_or_b64 vcc, vcc, s[0:1]
	v_cndmask_b32_e32 v9, v9, v11, vcc
	v_cndmask_b32_e32 v8, v8, v10, vcc
	s_nop 0
	v_mov_b32_dpp v11, v9 row_mirror row_mask:0xf bank_mask:0xf
	v_mov_b32_dpp v10, v8 row_mirror row_mask:0xf bank_mask:0xf
	v_cmp_eq_f32_e64 s[0:1], v9, v11
	v_cmp_lt_i32_e64 s[2:3], v10, v8
	v_cmp_lt_f32_e32 vcc, v9, v11
	s_and_b64 s[0:1], s[0:1], s[2:3]
	s_or_b64 vcc, vcc, s[0:1]
	v_cndmask_b32_e32 v9, v9, v11, vcc
	v_cndmask_b32_e32 v8, v8, v10, vcc
	s_nop 0
	v_mov_b32_dpp v11, v9 row_bcast:15 row_mask:0xa bank_mask:0xf
	v_mov_b32_dpp v10, v8 row_bcast:15 row_mask:0xa bank_mask:0xf
	v_cmp_eq_f32_e32 vcc, v9, v11
	v_cmp_lt_i32_e64 s[0:1], v10, v8
	s_and_b64 vcc, vcc, s[0:1]
	v_cmp_lt_f32_e64 s[0:1], v9, v11
	v_cndmask_b32_e32 v12, v9, v11, vcc
	s_or_b64 vcc, s[0:1], vcc
	v_cndmask_b32_e32 v8, v8, v10, vcc
	v_mbcnt_lo_u32_b32 v10, -1, 0
	v_cndmask_b32_e64 v9, v12, v11, s[0:1]
	v_mbcnt_hi_u32_b32 v10, -1, v10
	v_mov_b32_e32 v11, 0x7c
	v_lshl_or_b32 v18, v10, 2, v11
	ds_bpermute_b32 v29, v18, v8
	ds_bpermute_b32 v19, v18, v9
	s_cmp_gt_i32 s8, 0
	s_cselect_b64 s[18:19], -1, 0
	s_cmp_lt_i32 s8, 1
	v_cmp_eq_u32_e32 vcc, 0, v15
	s_cbranch_scc1 .LBB90_18
; %bb.7:
	s_load_dwordx4 s[12:15], s[4:5], 0x20
	v_mul_lo_u32 v12, v14, s11
	v_mul_lo_u32 v10, v14, s20
	;; [unrolled: 1-line block ×3, first 2 shown]
	v_mov_b32_e32 v16, 0
	s_and_saveexec_b64 s[4:5], vcc
	s_cbranch_execz .LBB90_9
; %bb.8:
	s_waitcnt lgkmcnt(0)
	v_sub_f32_e32 v9, v19, v19
	v_mul_f32_e32 v11, 0x3fb8aa3b, v9
	s_mov_b32 s0, 0x3fb8aa3b
	v_rndne_f32_e32 v13, v11
	v_sub_f32_e32 v16, v11, v13
	v_fma_f32 v11, v9, s0, -v11
	v_fmac_f32_e32 v11, 0x32a5705f, v9
	v_add_f32_e32 v11, v16, v11
	v_exp_f32_e32 v11, v11
	v_cvt_i32_f32_e32 v13, v13
	v_cmp_le_i32_e64 s[0:1], s9, v29
	v_cmp_gt_i32_e64 s[2:3], s10, v29
	s_and_b64 s[2:3], s[0:1], s[2:3]
	s_mov_b32 s0, 0xc2ce8ed0
	v_ldexp_f32 v11, v11, v13
	v_cmp_ngt_f32_e64 s[0:1], s0, v9
	v_cndmask_b32_e64 v11, 0, v11, s[0:1]
	s_mov_b32 s0, 0x42b17218
	v_mov_b32_e32 v13, 0x7f800000
	v_cmp_nlt_f32_e64 s[0:1], s0, v9
	v_cndmask_b32_e64 v16, v13, v11, s[0:1]
	v_ashrrev_i32_e32 v13, 31, v12
	v_lshlrev_b64 v[30:31], 2, v[12:13]
	v_mov_b32_e32 v9, s7
	v_add_co_u32_e64 v30, s[0:1], s6, v30
	v_addc_co_u32_e64 v31, s[0:1], v9, v31, s[0:1]
	v_subrev_u32_e32 v9, s9, v29
	v_mov_b32_e32 v11, 0x100
	s_and_b64 s[0:1], s[16:17], s[2:3]
	v_cndmask_b32_e64 v9, v11, v9, s[0:1]
	v_ashrrev_i32_e32 v11, 31, v10
	global_store_dword v[30:31], v16, off
	v_lshlrev_b64 v[30:31], 2, v[10:11]
	v_mov_b32_e32 v11, s13
	v_add_co_u32_e64 v30, s[0:1], s12, v30
	v_addc_co_u32_e64 v31, s[0:1], v11, v31, s[0:1]
	global_store_dword v[30:31], v9, off
	v_ashrrev_i32_e32 v9, 31, v8
	v_lshlrev_b64 v[30:31], 2, v[8:9]
	v_mov_b32_e32 v9, s15
	v_add_co_u32_e64 v30, s[0:1], s14, v30
	v_addc_co_u32_e64 v31, s[0:1], v9, v31, s[0:1]
	global_store_dword v[30:31], v14, off
.LBB90_9:
	s_or_b64 exec, exec, s[4:5]
	s_waitcnt lgkmcnt(0)
	v_ashrrev_i32_e32 v9, 31, v29
	v_lshrrev_b32_e32 v11, 29, v9
	v_add_u32_e32 v13, v29, v11
	v_ashrrev_i32_e32 v11, 3, v13
	v_ashrrev_i32_e32 v13, 31, v13
	v_lshrrev_b32_e32 v13, 27, v13
	v_add_u32_e32 v13, v11, v13
	v_and_b32_e32 v13, 0xffffffe0, v13
	v_sub_u32_e32 v13, v11, v13
	v_cmp_eq_u32_e64 s[0:1], v15, v13
	s_and_saveexec_b64 s[2:3], s[0:1]
	s_cbranch_execz .LBB90_11
; %bb.10:
	v_add_u32_sdwa v9, v29, v9 dst_sel:DWORD dst_unused:UNUSED_PAD src0_sel:DWORD src1_sel:BYTE_3
	v_lshlrev_b32_e32 v11, 3, v11
	v_ashrrev_i32_e32 v9, 8, v9
	v_sub_u32_e32 v11, v29, v11
	v_lshl_add_u32 v9, v9, 3, v11
	v_mov_b32_e32 v11, 0xff800000
	v_cmp_ne_u32_e64 s[0:1], 7, v9
	v_cndmask_b32_e64 v3, v11, v3, s[0:1]
	v_cmp_ne_u32_e64 s[0:1], 6, v9
	v_cndmask_b32_e64 v2, v11, v2, s[0:1]
	;; [unrolled: 2-line block ×8, first 2 shown]
.LBB90_11:
	s_or_b64 exec, exec, s[2:3]
	s_cmp_eq_u32 s8, 1
	s_cbranch_scc1 .LBB90_18
; %bb.12:
	s_add_i32 s23, s23, s22
	s_add_i32 s20, s8, -1
	v_add3_u32 v27, s23, v28, v27
	v_add_u32_e32 v8, 1, v8
	v_add_u32_e32 v10, 1, v10
	;; [unrolled: 1-line block ×3, first 2 shown]
	s_mov_b32 s21, 0x3fb8aa3b
	s_mov_b32 s23, 0xc2ce8ed0
	;; [unrolled: 1-line block ×3, first 2 shown]
	v_mov_b32_e32 v28, 0x7f800000
	v_mov_b32_e32 v29, 0x100
	;; [unrolled: 1-line block ×3, first 2 shown]
	s_branch .LBB90_14
.LBB90_13:                              ;   in Loop: Header=BB90_14 Depth=1
	s_or_b64 exec, exec, s[2:3]
	s_add_i32 s20, s20, -1
	v_add_u32_e32 v27, s22, v27
	v_add_u32_e32 v8, 1, v8
	;; [unrolled: 1-line block ×3, first 2 shown]
	s_cmp_eq_u32 s20, 0
	v_add_u32_e32 v12, 1, v12
	s_cbranch_scc1 .LBB90_18
.LBB90_14:                              ; =>This Inner Loop Header: Depth=1
	v_cmp_gt_f32_e64 s[0:1], v5, v4
	v_cndmask_b32_e64 v11, v4, v5, s[0:1]
	v_cndmask_b32_e64 v9, v17, v20, s[0:1]
	v_cmp_gt_f32_e64 s[0:1], v6, v11
	v_cndmask_b32_e64 v11, v11, v6, s[0:1]
	v_cndmask_b32_e64 v9, v9, v21, s[0:1]
	;; [unrolled: 3-line block ×7, first 2 shown]
	s_nop 0
	v_mov_b32_dpp v13, v9 quad_perm:[1,0,3,2] row_mask:0xf bank_mask:0xf
	v_mov_b32_dpp v31, v11 quad_perm:[1,0,3,2] row_mask:0xf bank_mask:0xf
	v_cmp_eq_f32_e64 s[2:3], v11, v31
	v_cmp_lt_i32_e64 s[4:5], v13, v9
	v_cmp_lt_f32_e64 s[0:1], v11, v31
	s_and_b64 s[2:3], s[2:3], s[4:5]
	s_or_b64 s[0:1], s[0:1], s[2:3]
	v_cndmask_b32_e64 v11, v11, v31, s[0:1]
	v_cndmask_b32_e64 v9, v9, v13, s[0:1]
	s_nop 0
	v_mov_b32_dpp v31, v11 quad_perm:[2,3,0,1] row_mask:0xf bank_mask:0xf
	v_mov_b32_dpp v13, v9 quad_perm:[2,3,0,1] row_mask:0xf bank_mask:0xf
	v_cmp_eq_f32_e64 s[2:3], v11, v31
	v_cmp_lt_i32_e64 s[4:5], v13, v9
	v_cmp_lt_f32_e64 s[0:1], v11, v31
	s_and_b64 s[2:3], s[2:3], s[4:5]
	s_or_b64 s[0:1], s[0:1], s[2:3]
	v_cndmask_b32_e64 v11, v11, v31, s[0:1]
	v_cndmask_b32_e64 v9, v9, v13, s[0:1]
	s_nop 0
	v_mov_b32_dpp v31, v11 row_half_mirror row_mask:0xf bank_mask:0xf
	v_mov_b32_dpp v13, v9 row_half_mirror row_mask:0xf bank_mask:0xf
	v_cmp_eq_f32_e64 s[2:3], v11, v31
	v_cmp_lt_i32_e64 s[4:5], v13, v9
	v_cmp_lt_f32_e64 s[0:1], v11, v31
	s_and_b64 s[2:3], s[2:3], s[4:5]
	s_or_b64 s[0:1], s[0:1], s[2:3]
	v_cndmask_b32_e64 v11, v11, v31, s[0:1]
	v_cndmask_b32_e64 v9, v9, v13, s[0:1]
	s_nop 0
	v_mov_b32_dpp v31, v11 row_mirror row_mask:0xf bank_mask:0xf
	v_mov_b32_dpp v13, v9 row_mirror row_mask:0xf bank_mask:0xf
	v_cmp_eq_f32_e64 s[2:3], v11, v31
	v_cmp_lt_i32_e64 s[4:5], v13, v9
	v_cmp_lt_f32_e64 s[0:1], v11, v31
	s_and_b64 s[2:3], s[2:3], s[4:5]
	s_or_b64 s[0:1], s[0:1], s[2:3]
	v_cndmask_b32_e64 v11, v11, v31, s[0:1]
	v_cndmask_b32_e64 v9, v9, v13, s[0:1]
	s_nop 0
	v_mov_b32_dpp v31, v11 row_bcast:15 row_mask:0xa bank_mask:0xf
	v_mov_b32_dpp v13, v9 row_bcast:15 row_mask:0xa bank_mask:0xf
	v_cmp_eq_f32_e64 s[0:1], v11, v31
	v_cmp_lt_i32_e64 s[2:3], v13, v9
	s_and_b64 s[0:1], s[0:1], s[2:3]
	v_cmp_lt_f32_e64 s[2:3], v11, v31
	v_cndmask_b32_e64 v32, v11, v31, s[0:1]
	s_or_b64 s[0:1], s[2:3], s[0:1]
	v_cndmask_b32_e64 v11, v32, v31, s[2:3]
	v_cndmask_b32_e64 v9, v9, v13, s[0:1]
	ds_bpermute_b32 v31, v18, v9
	ds_bpermute_b32 v9, v18, v11
	s_and_saveexec_b64 s[4:5], vcc
	s_cbranch_execz .LBB90_16
; %bb.15:                               ;   in Loop: Header=BB90_14 Depth=1
	s_waitcnt lgkmcnt(0)
	v_sub_f32_e32 v9, v9, v19
	v_mul_f32_e32 v11, 0x3fb8aa3b, v9
	v_fma_f32 v13, v9, s21, -v11
	v_rndne_f32_e32 v32, v11
	v_fmac_f32_e32 v13, 0x32a5705f, v9
	v_sub_f32_e32 v11, v11, v32
	v_add_f32_e32 v11, v11, v13
	v_exp_f32_e32 v11, v11
	v_cvt_i32_f32_e32 v13, v32
	v_cmp_le_i32_e64 s[0:1], s9, v31
	v_cmp_gt_i32_e64 s[2:3], s10, v31
	s_and_b64 s[2:3], s[0:1], s[2:3]
	v_ldexp_f32 v11, v11, v13
	v_cmp_ngt_f32_e64 s[0:1], s23, v9
	v_ashrrev_i32_e32 v13, 31, v12
	v_cndmask_b32_e64 v11, 0, v11, s[0:1]
	v_cmp_nlt_f32_e64 s[0:1], s24, v9
	v_lshlrev_b64 v[32:33], 2, v[12:13]
	v_cndmask_b32_e64 v34, v28, v11, s[0:1]
	v_mov_b32_e32 v9, s7
	v_add_co_u32_e64 v32, s[0:1], s6, v32
	v_addc_co_u32_e64 v33, s[0:1], v9, v33, s[0:1]
	v_ashrrev_i32_e32 v11, 31, v10
	global_store_dword v[32:33], v34, off
	v_subrev_u32_e32 v9, s9, v31
	s_and_b64 s[0:1], s[16:17], s[2:3]
	v_lshlrev_b64 v[32:33], 2, v[10:11]
	v_cndmask_b32_e64 v9, v29, v9, s[0:1]
	v_mov_b32_e32 v11, s13
	v_add_co_u32_e64 v32, s[0:1], s12, v32
	v_addc_co_u32_e64 v33, s[0:1], v11, v33, s[0:1]
	global_store_dword v[32:33], v9, off
	v_ashrrev_i32_e32 v9, 31, v8
	v_lshlrev_b64 v[32:33], 2, v[8:9]
	v_mov_b32_e32 v9, s15
	v_add_co_u32_e64 v32, s[0:1], s14, v32
	v_addc_co_u32_e64 v33, s[0:1], v9, v33, s[0:1]
	v_add_f32_e32 v16, v16, v34
	global_store_dword v[32:33], v27, off
.LBB90_16:                              ;   in Loop: Header=BB90_14 Depth=1
	s_or_b64 exec, exec, s[4:5]
	s_waitcnt lgkmcnt(0)
	v_ashrrev_i32_e32 v9, 31, v31
	v_lshrrev_b32_e32 v11, 29, v9
	v_add_u32_e32 v13, v31, v11
	v_ashrrev_i32_e32 v11, 3, v13
	v_ashrrev_i32_e32 v13, 31, v13
	v_lshrrev_b32_e32 v13, 27, v13
	v_add_u32_e32 v13, v11, v13
	v_and_b32_e32 v13, 0xffffffe0, v13
	v_sub_u32_e32 v13, v11, v13
	v_cmp_eq_u32_e64 s[0:1], v15, v13
	s_and_saveexec_b64 s[2:3], s[0:1]
	s_cbranch_execz .LBB90_13
; %bb.17:                               ;   in Loop: Header=BB90_14 Depth=1
	v_add_u32_sdwa v9, v31, v9 dst_sel:DWORD dst_unused:UNUSED_PAD src0_sel:DWORD src1_sel:BYTE_3
	v_lshlrev_b32_e32 v11, 3, v11
	v_ashrrev_i32_e32 v9, 8, v9
	v_sub_u32_e32 v11, v31, v11
	v_lshl_add_u32 v9, v9, 3, v11
	v_cmp_ne_u32_e64 s[0:1], 7, v9
	v_cndmask_b32_e64 v3, v30, v3, s[0:1]
	v_cmp_ne_u32_e64 s[0:1], 6, v9
	v_cndmask_b32_e64 v2, v30, v2, s[0:1]
	;; [unrolled: 2-line block ×8, first 2 shown]
	s_branch .LBB90_13
.LBB90_18:
	s_waitcnt lgkmcnt(0)
	v_sub_f32_e32 v4, v4, v19
	s_mov_b32 s0, 0x3fb8aa3b
	v_mul_f32_e32 v8, 0x3fb8aa3b, v4
	v_fma_f32 v9, v4, s0, -v8
	v_rndne_f32_e32 v10, v8
	v_fmac_f32_e32 v9, 0x32a5705f, v4
	v_sub_f32_e32 v8, v8, v10
	v_add_f32_e32 v8, v8, v9
	v_exp_f32_e32 v8, v8
	v_cvt_i32_f32_e32 v9, v10
	v_sub_f32_e32 v5, v5, v19
	s_mov_b32 s1, 0xc2ce8ed0
	v_cmp_ngt_f32_e32 vcc, s1, v4
	v_ldexp_f32 v8, v8, v9
	v_mul_f32_e32 v9, 0x3fb8aa3b, v5
	v_fma_f32 v10, v5, s0, -v9
	v_rndne_f32_e32 v11, v9
	v_fmac_f32_e32 v10, 0x32a5705f, v5
	v_sub_f32_e32 v9, v9, v11
	v_add_f32_e32 v9, v9, v10
	v_exp_f32_e32 v9, v9
	v_cvt_i32_f32_e32 v10, v11
	s_mov_b32 s2, 0x42b17218
	v_cndmask_b32_e32 v8, 0, v8, vcc
	v_mov_b32_e32 v11, 0x7f800000
	v_cmp_nlt_f32_e32 vcc, s2, v4
	v_sub_f32_e32 v6, v6, v19
	v_cndmask_b32_e32 v4, v11, v8, vcc
	v_ldexp_f32 v8, v9, v10
	v_mul_f32_e32 v9, 0x3fb8aa3b, v6
	v_fma_f32 v10, v6, s0, -v9
	v_rndne_f32_e32 v12, v9
	v_fmac_f32_e32 v10, 0x32a5705f, v6
	v_sub_f32_e32 v9, v9, v12
	v_add_f32_e32 v9, v9, v10
	v_exp_f32_e32 v9, v9
	v_cvt_i32_f32_e32 v10, v12
	v_cmp_ngt_f32_e32 vcc, s1, v5
	v_cndmask_b32_e32 v8, 0, v8, vcc
	v_cmp_nlt_f32_e32 vcc, s2, v5
	v_sub_f32_e32 v7, v7, v19
	v_cndmask_b32_e32 v5, v11, v8, vcc
	v_mul_f32_e32 v8, 0x3fb8aa3b, v7
	v_add_f32_e32 v4, v4, v5
	v_ldexp_f32 v5, v9, v10
	v_fma_f32 v9, v7, s0, -v8
	v_rndne_f32_e32 v10, v8
	v_fmac_f32_e32 v9, 0x32a5705f, v7
	v_sub_f32_e32 v8, v8, v10
	v_add_f32_e32 v8, v8, v9
	v_exp_f32_e32 v8, v8
	v_cvt_i32_f32_e32 v9, v10
	v_cmp_ngt_f32_e32 vcc, s1, v6
	v_cndmask_b32_e32 v5, 0, v5, vcc
	v_cmp_nlt_f32_e32 vcc, s2, v6
	v_sub_f32_e32 v0, v0, v19
	v_cndmask_b32_e32 v5, v11, v5, vcc
	v_mul_f32_e32 v6, 0x3fb8aa3b, v0
	v_add_f32_e32 v4, v4, v5
	v_ldexp_f32 v5, v8, v9
	v_fma_f32 v8, v0, s0, -v6
	v_rndne_f32_e32 v9, v6
	v_fmac_f32_e32 v8, 0x32a5705f, v0
	v_sub_f32_e32 v6, v6, v9
	v_add_f32_e32 v6, v6, v8
	v_exp_f32_e32 v6, v6
	v_cvt_i32_f32_e32 v8, v9
	v_cmp_ngt_f32_e32 vcc, s1, v7
	v_cndmask_b32_e32 v5, 0, v5, vcc
	v_cmp_nlt_f32_e32 vcc, s2, v7
	v_cndmask_b32_e32 v5, v11, v5, vcc
	v_sub_f32_e32 v1, v1, v19
	v_add_f32_e32 v4, v4, v5
	v_ldexp_f32 v5, v6, v8
	v_mul_f32_e32 v6, 0x3fb8aa3b, v1
	v_fma_f32 v7, v1, s0, -v6
	v_rndne_f32_e32 v8, v6
	v_fmac_f32_e32 v7, 0x32a5705f, v1
	v_sub_f32_e32 v6, v6, v8
	v_add_f32_e32 v6, v6, v7
	v_exp_f32_e32 v6, v6
	v_cvt_i32_f32_e32 v7, v8
	v_cmp_ngt_f32_e32 vcc, s1, v0
	v_cndmask_b32_e32 v5, 0, v5, vcc
	v_cmp_nlt_f32_e32 vcc, s2, v0
	v_sub_f32_e32 v2, v2, v19
	v_cndmask_b32_e32 v0, v11, v5, vcc
	v_mul_f32_e32 v5, 0x3fb8aa3b, v2
	v_add_f32_e32 v0, v4, v0
	v_ldexp_f32 v4, v6, v7
	v_fma_f32 v6, v2, s0, -v5
	v_rndne_f32_e32 v7, v5
	v_fmac_f32_e32 v6, 0x32a5705f, v2
	v_sub_f32_e32 v5, v5, v7
	v_add_f32_e32 v5, v5, v6
	v_exp_f32_e32 v5, v5
	v_cvt_i32_f32_e32 v6, v7
	v_cmp_ngt_f32_e32 vcc, s1, v1
	v_cndmask_b32_e32 v4, 0, v4, vcc
	v_cmp_nlt_f32_e32 vcc, s2, v1
	v_sub_f32_e32 v3, v3, v19
	v_cndmask_b32_e32 v1, v11, v4, vcc
	v_mul_f32_e32 v4, 0x3fb8aa3b, v3
	v_add_f32_e32 v0, v0, v1
	v_ldexp_f32 v1, v5, v6
	v_fma_f32 v5, v3, s0, -v4
	v_rndne_f32_e32 v6, v4
	v_fmac_f32_e32 v5, 0x32a5705f, v3
	v_sub_f32_e32 v4, v4, v6
	v_add_f32_e32 v4, v4, v5
	v_exp_f32_e32 v4, v4
	v_cvt_i32_f32_e32 v5, v6
	v_cmp_ngt_f32_e32 vcc, s1, v2
	v_cndmask_b32_e32 v1, 0, v1, vcc
	v_cmp_nlt_f32_e32 vcc, s2, v2
	v_cndmask_b32_e32 v1, v11, v1, vcc
	v_add_f32_e32 v0, v0, v1
	v_ldexp_f32 v1, v4, v5
	v_cmp_ngt_f32_e32 vcc, s1, v3
	v_cndmask_b32_e32 v1, 0, v1, vcc
	v_cmp_nlt_f32_e32 vcc, s2, v3
	v_cndmask_b32_e32 v1, v11, v1, vcc
	v_add_f32_e32 v0, v0, v1
	v_cmp_eq_u32_e32 vcc, 0, v15
	s_nop 0
	v_mov_b32_dpp v1, v0 quad_perm:[1,0,3,2] row_mask:0xf bank_mask:0xf
	v_add_f32_e32 v0, v0, v1
	s_nop 1
	v_mov_b32_dpp v1, v0 quad_perm:[2,3,0,1] row_mask:0xf bank_mask:0xf
	v_add_f32_e32 v0, v0, v1
	s_nop 1
	v_mov_b32_dpp v1, v0 row_half_mirror row_mask:0xf bank_mask:0xf
	v_add_f32_e32 v0, v0, v1
	s_nop 1
	v_mov_b32_dpp v1, v0 row_mirror row_mask:0xf bank_mask:0xf
	v_add_f32_e32 v0, v0, v1
	s_nop 1
	v_mov_b32_dpp v1, v0 row_bcast:15 row_mask:0xa bank_mask:0xf
	v_add_f32_e32 v0, v0, v1
	ds_bpermute_b32 v0, v18, v0
	s_and_b64 exec, exec, vcc
	s_cbranch_execz .LBB90_31
; %bb.19:
	s_waitcnt lgkmcnt(0)
	v_add_f32_e32 v0, v16, v0
	v_cmp_neq_f32_e32 vcc, 0, v0
	s_and_b64 exec, exec, vcc
	s_cbranch_execz .LBB90_31
; %bb.20:
	s_andn2_b64 vcc, exec, s[18:19]
	s_cbranch_vccnz .LBB90_31
; %bb.21:
	v_div_scale_f32 v1, s[0:1], v0, v0, 1.0
	v_rcp_f32_e32 v2, v1
	v_div_scale_f32 v3, vcc, 1.0, v0, 1.0
	s_cmp_gt_u32 s8, 3
	v_fma_f32 v4, -v1, v2, 1.0
	v_fmac_f32_e32 v2, v4, v2
	v_mul_f32_e32 v4, v3, v2
	v_fma_f32 v5, -v1, v4, v3
	v_fmac_f32_e32 v4, v5, v2
	v_fma_f32 v1, -v1, v4, v3
	v_div_fmas_f32 v1, v1, v2, v4
	v_mul_lo_u32 v2, v14, s11
	v_div_fixup_f32 v0, v1, v0, 1.0
	v_ashrrev_i32_e32 v3, 31, v2
	s_cbranch_scc0 .LBB90_25
; %bb.22:
	v_lshlrev_b64 v[4:5], 2, v[2:3]
	v_mov_b32_e32 v6, s7
	v_add_co_u32_e32 v4, vcc, s6, v4
	v_addc_co_u32_e32 v5, vcc, v5, v6, vcc
	s_and_b32 s4, s8, 0x7ffffffc
	v_add_co_u32_e32 v4, vcc, 8, v4
	v_mov_b32_e32 v1, v0
	v_addc_co_u32_e32 v5, vcc, 0, v5, vcc
	s_mov_b32 s0, s4
.LBB90_23:                              ; =>This Inner Loop Header: Depth=1
	global_load_dwordx4 v[6:9], v[4:5], off offset:-8
	s_add_i32 s0, s0, -4
	s_cmp_lg_u32 s0, 0
	s_waitcnt vmcnt(0)
	v_pk_mul_f32 v[6:7], v[0:1], v[6:7]
	v_pk_mul_f32 v[8:9], v[0:1], v[8:9]
	global_store_dwordx4 v[4:5], v[6:9], off offset:-8
	v_add_co_u32_e32 v4, vcc, 16, v4
	v_addc_co_u32_e32 v5, vcc, 0, v5, vcc
	s_cbranch_scc1 .LBB90_23
; %bb.24:
	s_cmp_lg_u32 s4, s8
	s_mov_b64 s[2:3], 0
	s_cselect_b64 s[0:1], -1, 0
	s_branch .LBB90_26
.LBB90_25:
	s_mov_b64 s[2:3], -1
	s_mov_b64 s[0:1], 0
                                        ; implicit-def: $sgpr4
.LBB90_26:
	s_and_b64 vcc, exec, s[2:3]
	s_cbranch_vccz .LBB90_28
; %bb.27:
	s_mov_b64 s[0:1], -1
	s_mov_b32 s4, 0
.LBB90_28:
	s_andn2_b64 vcc, exec, s[0:1]
	s_cbranch_vccnz .LBB90_31
; %bb.29:
	v_add_co_u32_e32 v2, vcc, s4, v2
	v_addc_co_u32_e32 v3, vcc, 0, v3, vcc
	v_lshlrev_b64 v[2:3], 2, v[2:3]
	v_mov_b32_e32 v1, s7
	v_add_co_u32_e32 v2, vcc, s6, v2
	s_sub_i32 s0, s8, s4
	v_addc_co_u32_e32 v3, vcc, v1, v3, vcc
.LBB90_30:                              ; =>This Inner Loop Header: Depth=1
	global_load_dword v1, v[2:3], off
	s_add_i32 s0, s0, -1
	s_cmp_lg_u32 s0, 0
	s_waitcnt vmcnt(0)
	v_mul_f32_e32 v1, v0, v1
	global_store_dword v[2:3], v1, off
	v_add_co_u32_e32 v2, vcc, 4, v2
	v_addc_co_u32_e32 v3, vcc, 0, v3, vcc
	s_cbranch_scc1 .LBB90_30
.LBB90_31:
	s_endpgm
	.section	.rodata,"a",@progbits
	.p2align	6, 0x0
	.amdhsa_kernel _ZN4vllm3moe17topkGatingSoftmaxIfLi8ELi256ELi8ELi32ELb0ELi8ELNS0_23SharedExpertScoringFuncE1EEEvPKT_PKbPfiPiS9_iiiiii
		.amdhsa_group_segment_fixed_size 0
		.amdhsa_private_segment_fixed_size 0
		.amdhsa_kernarg_size 72
		.amdhsa_user_sgpr_count 6
		.amdhsa_user_sgpr_private_segment_buffer 1
		.amdhsa_user_sgpr_dispatch_ptr 0
		.amdhsa_user_sgpr_queue_ptr 0
		.amdhsa_user_sgpr_kernarg_segment_ptr 1
		.amdhsa_user_sgpr_dispatch_id 0
		.amdhsa_user_sgpr_flat_scratch_init 0
		.amdhsa_user_sgpr_kernarg_preload_length 0
		.amdhsa_user_sgpr_kernarg_preload_offset 0
		.amdhsa_user_sgpr_private_segment_size 0
		.amdhsa_uses_dynamic_stack 0
		.amdhsa_system_sgpr_private_segment_wavefront_offset 0
		.amdhsa_system_sgpr_workgroup_id_x 1
		.amdhsa_system_sgpr_workgroup_id_y 0
		.amdhsa_system_sgpr_workgroup_id_z 0
		.amdhsa_system_sgpr_workgroup_info 0
		.amdhsa_system_vgpr_workitem_id 1
		.amdhsa_next_free_vgpr 35
		.amdhsa_next_free_sgpr 25
		.amdhsa_accum_offset 36
		.amdhsa_reserve_vcc 1
		.amdhsa_reserve_flat_scratch 0
		.amdhsa_float_round_mode_32 0
		.amdhsa_float_round_mode_16_64 0
		.amdhsa_float_denorm_mode_32 3
		.amdhsa_float_denorm_mode_16_64 3
		.amdhsa_dx10_clamp 1
		.amdhsa_ieee_mode 1
		.amdhsa_fp16_overflow 0
		.amdhsa_tg_split 0
		.amdhsa_exception_fp_ieee_invalid_op 0
		.amdhsa_exception_fp_denorm_src 0
		.amdhsa_exception_fp_ieee_div_zero 0
		.amdhsa_exception_fp_ieee_overflow 0
		.amdhsa_exception_fp_ieee_underflow 0
		.amdhsa_exception_fp_ieee_inexact 0
		.amdhsa_exception_int_div_zero 0
	.end_amdhsa_kernel
	.section	.text._ZN4vllm3moe17topkGatingSoftmaxIfLi8ELi256ELi8ELi32ELb0ELi8ELNS0_23SharedExpertScoringFuncE1EEEvPKT_PKbPfiPiS9_iiiiii,"axG",@progbits,_ZN4vllm3moe17topkGatingSoftmaxIfLi8ELi256ELi8ELi32ELb0ELi8ELNS0_23SharedExpertScoringFuncE1EEEvPKT_PKbPfiPiS9_iiiiii,comdat
.Lfunc_end90:
	.size	_ZN4vllm3moe17topkGatingSoftmaxIfLi8ELi256ELi8ELi32ELb0ELi8ELNS0_23SharedExpertScoringFuncE1EEEvPKT_PKbPfiPiS9_iiiiii, .Lfunc_end90-_ZN4vllm3moe17topkGatingSoftmaxIfLi8ELi256ELi8ELi32ELb0ELi8ELNS0_23SharedExpertScoringFuncE1EEEvPKT_PKbPfiPiS9_iiiiii
                                        ; -- End function
	.section	.AMDGPU.csdata,"",@progbits
; Kernel info:
; codeLenInByte = 3756
; NumSgprs: 29
; NumVgprs: 35
; NumAgprs: 0
; TotalNumVgprs: 35
; ScratchSize: 0
; MemoryBound: 0
; FloatMode: 240
; IeeeMode: 1
; LDSByteSize: 0 bytes/workgroup (compile time only)
; SGPRBlocks: 3
; VGPRBlocks: 4
; NumSGPRsForWavesPerEU: 29
; NumVGPRsForWavesPerEU: 35
; AccumOffset: 36
; Occupancy: 8
; WaveLimiterHint : 0
; COMPUTE_PGM_RSRC2:SCRATCH_EN: 0
; COMPUTE_PGM_RSRC2:USER_SGPR: 6
; COMPUTE_PGM_RSRC2:TRAP_HANDLER: 0
; COMPUTE_PGM_RSRC2:TGID_X_EN: 1
; COMPUTE_PGM_RSRC2:TGID_Y_EN: 0
; COMPUTE_PGM_RSRC2:TGID_Z_EN: 0
; COMPUTE_PGM_RSRC2:TIDIG_COMP_CNT: 1
; COMPUTE_PGM_RSRC3_GFX90A:ACCUM_OFFSET: 8
; COMPUTE_PGM_RSRC3_GFX90A:TG_SPLIT: 0
	.section	.text._ZN4vllm3moe17topkGatingSoftmaxIfLi16ELi512ELi2ELi64ELb1ELi0ELNS0_23SharedExpertScoringFuncE0EEEvPKT_PKbPfiPiS9_iiiiii,"axG",@progbits,_ZN4vllm3moe17topkGatingSoftmaxIfLi16ELi512ELi2ELi64ELb1ELi0ELNS0_23SharedExpertScoringFuncE0EEEvPKT_PKbPfiPiS9_iiiiii,comdat
	.protected	_ZN4vllm3moe17topkGatingSoftmaxIfLi16ELi512ELi2ELi64ELb1ELi0ELNS0_23SharedExpertScoringFuncE0EEEvPKT_PKbPfiPiS9_iiiiii ; -- Begin function _ZN4vllm3moe17topkGatingSoftmaxIfLi16ELi512ELi2ELi64ELb1ELi0ELNS0_23SharedExpertScoringFuncE0EEEvPKT_PKbPfiPiS9_iiiiii
	.globl	_ZN4vllm3moe17topkGatingSoftmaxIfLi16ELi512ELi2ELi64ELb1ELi0ELNS0_23SharedExpertScoringFuncE0EEEvPKT_PKbPfiPiS9_iiiiii
	.p2align	8
	.type	_ZN4vllm3moe17topkGatingSoftmaxIfLi16ELi512ELi2ELi64ELb1ELi0ELNS0_23SharedExpertScoringFuncE0EEEvPKT_PKbPfiPiS9_iiiiii,@function
_ZN4vllm3moe17topkGatingSoftmaxIfLi16ELi512ELi2ELi64ELb1ELi0ELNS0_23SharedExpertScoringFuncE0EEEvPKT_PKbPfiPiS9_iiiiii: ; @_ZN4vllm3moe17topkGatingSoftmaxIfLi16ELi512ELi2ELi64ELb1ELi0ELNS0_23SharedExpertScoringFuncE0EEEvPKT_PKbPfiPiS9_iiiiii
; %bb.0:
	s_load_dword s22, s[4:5], 0x18
	v_bfe_u32 v1, v0, 10, 10
	v_and_b32_e32 v0, 0x3ff, v0
	s_lshl_b32 s23, s6, 2
	v_lshlrev_b32_e32 v42, 1, v1
	v_lshrrev_b32_e32 v43, 5, v0
	v_add3_u32 v22, s23, v42, v43
	s_waitcnt lgkmcnt(0)
	v_cmp_gt_i32_e32 vcc, s22, v22
	s_and_saveexec_b64 s[0:1], vcc
	s_cbranch_execz .LBB91_27
; %bb.1:
	s_load_dwordx4 s[0:3], s[4:5], 0x0
	s_load_dwordx2 s[6:7], s[4:5], 0x10
	s_waitcnt lgkmcnt(0)
	s_cmp_eq_u64 s[2:3], 0
	s_cbranch_scc1 .LBB91_3
; %bb.2:
	v_ashrrev_i32_e32 v1, 31, v22
	v_mov_b32_e32 v3, s3
	v_add_co_u32_e32 v2, vcc, s2, v22
	v_addc_co_u32_e32 v3, vcc, v3, v1, vcc
	global_load_ubyte v1, v[2:3], off
	s_waitcnt vmcnt(0)
	v_and_b32_e32 v1, 1, v1
	v_cmp_eq_u32_e32 vcc, 1, v1
	s_xor_b64 s[2:3], vcc, -1
	s_orn2_b64 s[16:17], s[2:3], exec
	s_branch .LBB91_4
.LBB91_3:
	s_mov_b64 s[16:17], -1
.LBB91_4:
	s_load_dwordx2 s[20:21], s[4:5], 0x40
	s_load_dwordx4 s[8:11], s[4:5], 0x30
	v_mov_b32_e32 v1, s1
	v_and_b32_e32 v23, 31, v0
	v_lshlrev_b32_e32 v0, 6, v23
	s_waitcnt lgkmcnt(0)
	v_mul_lo_u32 v2, v22, s21
	v_ashrrev_i32_e32 v3, 31, v2
	v_lshlrev_b64 v[2:3], 2, v[2:3]
	v_add_co_u32_e32 v2, vcc, s0, v2
	v_addc_co_u32_e32 v1, vcc, v1, v3, vcc
	v_add_co_u32_e32 v16, vcc, v2, v0
	v_addc_co_u32_e32 v17, vcc, 0, v1, vcc
	global_load_dwordx4 v[0:3], v[16:17], off
	global_load_dwordx4 v[4:7], v[16:17], off offset:16
	global_load_dwordx4 v[8:11], v[16:17], off offset:32
	;; [unrolled: 1-line block ×3, first 2 shown]
	v_mbcnt_lo_u32_b32 v16, -1, 0
	v_mov_b32_e32 v17, 0x7c
	v_lshlrev_b32_e32 v25, 4, v23
	v_mbcnt_hi_u32_b32 v16, -1, v16
	v_or_b32_e32 v26, 1, v25
	v_lshl_or_b32 v41, v16, 2, v17
	v_or_b32_e32 v27, 2, v25
	v_or_b32_e32 v28, 3, v25
	;; [unrolled: 1-line block ×14, first 2 shown]
	v_mov_b32_e32 v24, 0
	s_waitcnt vmcnt(3)
	v_cmp_lt_f32_e32 vcc, v0, v1
	v_cndmask_b32_e32 v17, v0, v1, vcc
	v_cndmask_b32_e32 v16, v25, v26, vcc
	v_cmp_lt_f32_e32 vcc, v17, v2
	v_cndmask_b32_e32 v17, v17, v2, vcc
	v_cndmask_b32_e32 v16, v16, v27, vcc
	v_cmp_lt_f32_e32 vcc, v17, v3
	v_cndmask_b32_e32 v17, v17, v3, vcc
	v_cndmask_b32_e32 v16, v16, v28, vcc
	s_waitcnt vmcnt(2)
	v_cmp_lt_f32_e32 vcc, v17, v4
	v_cndmask_b32_e32 v17, v17, v4, vcc
	v_cndmask_b32_e32 v16, v16, v29, vcc
	v_cmp_lt_f32_e32 vcc, v17, v5
	v_cndmask_b32_e32 v17, v17, v5, vcc
	v_cndmask_b32_e32 v16, v16, v30, vcc
	v_cmp_lt_f32_e32 vcc, v17, v6
	v_cndmask_b32_e32 v17, v17, v6, vcc
	v_cndmask_b32_e32 v16, v16, v31, vcc
	v_cmp_lt_f32_e32 vcc, v17, v7
	v_cndmask_b32_e32 v17, v17, v7, vcc
	v_cndmask_b32_e32 v16, v16, v32, vcc
	s_waitcnt vmcnt(1)
	v_cmp_lt_f32_e32 vcc, v17, v8
	v_cndmask_b32_e32 v17, v17, v8, vcc
	v_cndmask_b32_e32 v16, v16, v33, vcc
	;; [unrolled: 13-line block ×3, first 2 shown]
	v_cmp_lt_f32_e32 vcc, v17, v13
	v_cndmask_b32_e32 v17, v17, v13, vcc
	v_cndmask_b32_e32 v16, v16, v38, vcc
	v_cmp_lt_f32_e32 vcc, v17, v14
	v_cndmask_b32_e32 v17, v17, v14, vcc
	v_cndmask_b32_e32 v16, v16, v39, vcc
	;; [unrolled: 3-line block ×3, first 2 shown]
	s_nop 0
	v_mov_b32_dpp v18, v16 quad_perm:[1,0,3,2] row_mask:0xf bank_mask:0xf
	v_mov_b32_dpp v19, v17 quad_perm:[1,0,3,2] row_mask:0xf bank_mask:0xf
	v_cmp_lt_i32_e32 vcc, v18, v16
	v_cmp_eq_f32_e64 s[2:3], v17, v19
	v_cmp_lt_f32_e64 s[0:1], v17, v19
	s_and_b64 s[2:3], s[2:3], vcc
	s_or_b64 vcc, s[0:1], s[2:3]
	v_cndmask_b32_e32 v17, v17, v19, vcc
	v_cndmask_b32_e32 v16, v16, v18, vcc
	s_nop 0
	v_mov_b32_dpp v18, v17 quad_perm:[2,3,0,1] row_mask:0xf bank_mask:0xf
	v_mov_b32_dpp v19, v16 quad_perm:[2,3,0,1] row_mask:0xf bank_mask:0xf
	v_cmp_eq_f32_e64 s[0:1], v17, v18
	v_cmp_lt_i32_e64 s[2:3], v19, v16
	v_cmp_lt_f32_e32 vcc, v17, v18
	s_and_b64 s[0:1], s[0:1], s[2:3]
	s_or_b64 vcc, vcc, s[0:1]
	v_cndmask_b32_e32 v17, v17, v18, vcc
	v_cndmask_b32_e32 v16, v16, v19, vcc
	s_nop 0
	v_mov_b32_dpp v18, v17 row_half_mirror row_mask:0xf bank_mask:0xf
	v_mov_b32_dpp v19, v16 row_half_mirror row_mask:0xf bank_mask:0xf
	v_cmp_eq_f32_e64 s[0:1], v17, v18
	v_cmp_lt_i32_e64 s[2:3], v19, v16
	v_cmp_lt_f32_e32 vcc, v17, v18
	s_and_b64 s[0:1], s[0:1], s[2:3]
	s_or_b64 vcc, vcc, s[0:1]
	v_cndmask_b32_e32 v17, v17, v18, vcc
	v_cndmask_b32_e32 v16, v16, v19, vcc
	s_nop 0
	v_mov_b32_dpp v18, v17 row_mirror row_mask:0xf bank_mask:0xf
	v_mov_b32_dpp v19, v16 row_mirror row_mask:0xf bank_mask:0xf
	v_cmp_eq_f32_e64 s[0:1], v17, v18
	v_cmp_lt_i32_e64 s[2:3], v19, v16
	v_cmp_lt_f32_e32 vcc, v17, v18
	s_and_b64 s[0:1], s[0:1], s[2:3]
	s_or_b64 vcc, vcc, s[0:1]
	v_cndmask_b32_e32 v17, v17, v18, vcc
	v_cndmask_b32_e32 v16, v16, v19, vcc
	s_nop 0
	v_mov_b32_dpp v18, v17 row_bcast:15 row_mask:0xa bank_mask:0xf
	v_mov_b32_dpp v19, v16 row_bcast:15 row_mask:0xa bank_mask:0xf
	v_cmp_eq_f32_e32 vcc, v17, v18
	v_cmp_lt_i32_e64 s[0:1], v19, v16
	s_and_b64 vcc, vcc, s[0:1]
	v_cmp_lt_f32_e64 s[0:1], v17, v18
	v_cndmask_b32_e32 v20, v17, v18, vcc
	s_or_b64 vcc, s[0:1], vcc
	v_cndmask_b32_e64 v17, v20, v18, s[0:1]
	v_cndmask_b32_e32 v16, v16, v19, vcc
	ds_bpermute_b32 v45, v41, v16
	ds_bpermute_b32 v44, v41, v17
	s_cmp_gt_i32 s8, 0
	s_cselect_b64 s[18:19], -1, 0
	s_cmp_lt_i32 s8, 1
	v_cmp_eq_u32_e32 vcc, 0, v23
	s_cbranch_scc1 .LBB91_16
; %bb.5:
	s_load_dwordx4 s[12:15], s[4:5], 0x20
	v_mul_lo_u32 v20, v22, s11
	v_mul_lo_u32 v18, v22, s20
	;; [unrolled: 1-line block ×3, first 2 shown]
	v_mov_b32_e32 v24, 0
	s_and_saveexec_b64 s[4:5], vcc
	s_cbranch_execz .LBB91_7
; %bb.6:
	s_waitcnt lgkmcnt(0)
	v_sub_f32_e32 v17, v44, v44
	v_mul_f32_e32 v19, 0x3fb8aa3b, v17
	s_mov_b32 s0, 0x3fb8aa3b
	v_rndne_f32_e32 v21, v19
	v_sub_f32_e32 v24, v19, v21
	v_fma_f32 v19, v17, s0, -v19
	v_fmac_f32_e32 v19, 0x32a5705f, v17
	v_add_f32_e32 v19, v24, v19
	v_exp_f32_e32 v19, v19
	v_cvt_i32_f32_e32 v21, v21
	v_cmp_le_i32_e64 s[0:1], s9, v45
	v_cmp_gt_i32_e64 s[2:3], s10, v45
	s_and_b64 s[2:3], s[0:1], s[2:3]
	s_mov_b32 s0, 0xc2ce8ed0
	v_ldexp_f32 v19, v19, v21
	v_cmp_ngt_f32_e64 s[0:1], s0, v17
	v_cndmask_b32_e64 v19, 0, v19, s[0:1]
	s_mov_b32 s0, 0x42b17218
	v_mov_b32_e32 v21, 0x7f800000
	v_cmp_nlt_f32_e64 s[0:1], s0, v17
	v_cndmask_b32_e64 v24, v21, v19, s[0:1]
	v_ashrrev_i32_e32 v21, 31, v20
	v_lshlrev_b64 v[46:47], 2, v[20:21]
	v_mov_b32_e32 v17, s7
	v_add_co_u32_e64 v46, s[0:1], s6, v46
	v_addc_co_u32_e64 v47, s[0:1], v17, v47, s[0:1]
	v_subrev_u32_e32 v17, s9, v45
	v_mov_b32_e32 v19, 0x200
	s_and_b64 s[0:1], s[16:17], s[2:3]
	v_cndmask_b32_e64 v17, v19, v17, s[0:1]
	v_ashrrev_i32_e32 v19, 31, v18
	global_store_dword v[46:47], v24, off
	v_lshlrev_b64 v[46:47], 2, v[18:19]
	v_mov_b32_e32 v19, s13
	v_add_co_u32_e64 v46, s[0:1], s12, v46
	v_addc_co_u32_e64 v47, s[0:1], v19, v47, s[0:1]
	global_store_dword v[46:47], v17, off
	v_ashrrev_i32_e32 v17, 31, v16
	v_lshlrev_b64 v[46:47], 2, v[16:17]
	v_mov_b32_e32 v17, s15
	v_add_co_u32_e64 v46, s[0:1], s14, v46
	v_addc_co_u32_e64 v47, s[0:1], v17, v47, s[0:1]
	global_store_dword v[46:47], v22, off
.LBB91_7:
	s_or_b64 exec, exec, s[4:5]
	s_waitcnt lgkmcnt(0)
	v_ashrrev_i32_e32 v19, 31, v45
	v_lshrrev_b32_e32 v17, 28, v19
	v_add_u32_e32 v17, v45, v17
	v_ashrrev_i32_e32 v17, 4, v17
	v_lshrrev_b32_e32 v21, 27, v17
	v_add_u32_e32 v21, v17, v21
	v_and_b32_e32 v21, 0xffffffe0, v21
	v_sub_u32_e32 v21, v17, v21
	v_cmp_eq_u32_e64 s[0:1], v23, v21
	s_and_saveexec_b64 s[2:3], s[0:1]
	s_cbranch_execz .LBB91_9
; %bb.8:
	v_lshrrev_b32_e32 v19, 23, v19
	v_add_u32_e32 v19, v45, v19
	v_lshlrev_b32_e32 v17, 4, v17
	v_ashrrev_i32_e32 v19, 9, v19
	v_sub_u32_e32 v17, v45, v17
	v_lshl_add_u32 v17, v19, 4, v17
	v_mov_b32_e32 v19, 0xff800000
	v_cmp_ne_u32_e64 s[0:1], 15, v17
	v_cndmask_b32_e64 v15, v19, v15, s[0:1]
	v_cmp_ne_u32_e64 s[0:1], 14, v17
	v_cndmask_b32_e64 v14, v19, v14, s[0:1]
	;; [unrolled: 2-line block ×16, first 2 shown]
.LBB91_9:
	s_or_b64 exec, exec, s[2:3]
	s_cmp_eq_u32 s8, 1
	s_cbranch_scc1 .LBB91_16
; %bb.10:
	s_add_i32 s23, s23, s22
	s_add_i32 s20, s8, -1
	v_add3_u32 v42, s23, v43, v42
	v_add_u32_e32 v16, 1, v16
	v_add_u32_e32 v18, 1, v18
	;; [unrolled: 1-line block ×3, first 2 shown]
	s_mov_b32 s21, 0x3fb8aa3b
	s_mov_b32 s23, 0xc2ce8ed0
	;; [unrolled: 1-line block ×3, first 2 shown]
	v_mov_b32_e32 v43, 0x7f800000
	v_mov_b32_e32 v45, 0x200
	v_mov_b32_e32 v46, 0xff800000
	s_branch .LBB91_12
.LBB91_11:                              ;   in Loop: Header=BB91_12 Depth=1
	s_or_b64 exec, exec, s[2:3]
	s_add_i32 s20, s20, -1
	v_add_u32_e32 v42, s22, v42
	v_add_u32_e32 v16, 1, v16
	;; [unrolled: 1-line block ×3, first 2 shown]
	s_cmp_eq_u32 s20, 0
	v_add_u32_e32 v20, 1, v20
	s_cbranch_scc1 .LBB91_16
.LBB91_12:                              ; =>This Inner Loop Header: Depth=1
	v_cmp_gt_f32_e64 s[0:1], v1, v0
	v_cndmask_b32_e64 v19, v0, v1, s[0:1]
	v_cndmask_b32_e64 v17, v25, v26, s[0:1]
	v_cmp_gt_f32_e64 s[0:1], v2, v19
	v_cndmask_b32_e64 v19, v19, v2, s[0:1]
	v_cndmask_b32_e64 v17, v17, v27, s[0:1]
	;; [unrolled: 3-line block ×15, first 2 shown]
	s_nop 0
	v_mov_b32_dpp v21, v17 quad_perm:[1,0,3,2] row_mask:0xf bank_mask:0xf
	v_mov_b32_dpp v47, v19 quad_perm:[1,0,3,2] row_mask:0xf bank_mask:0xf
	v_cmp_eq_f32_e64 s[2:3], v19, v47
	v_cmp_lt_i32_e64 s[4:5], v21, v17
	v_cmp_lt_f32_e64 s[0:1], v19, v47
	s_and_b64 s[2:3], s[2:3], s[4:5]
	s_or_b64 s[0:1], s[0:1], s[2:3]
	v_cndmask_b32_e64 v19, v19, v47, s[0:1]
	v_cndmask_b32_e64 v17, v17, v21, s[0:1]
	s_nop 0
	v_mov_b32_dpp v47, v19 quad_perm:[2,3,0,1] row_mask:0xf bank_mask:0xf
	v_mov_b32_dpp v21, v17 quad_perm:[2,3,0,1] row_mask:0xf bank_mask:0xf
	v_cmp_eq_f32_e64 s[2:3], v19, v47
	v_cmp_lt_i32_e64 s[4:5], v21, v17
	v_cmp_lt_f32_e64 s[0:1], v19, v47
	s_and_b64 s[2:3], s[2:3], s[4:5]
	s_or_b64 s[0:1], s[0:1], s[2:3]
	v_cndmask_b32_e64 v19, v19, v47, s[0:1]
	v_cndmask_b32_e64 v17, v17, v21, s[0:1]
	s_nop 0
	v_mov_b32_dpp v47, v19 row_half_mirror row_mask:0xf bank_mask:0xf
	v_mov_b32_dpp v21, v17 row_half_mirror row_mask:0xf bank_mask:0xf
	v_cmp_eq_f32_e64 s[2:3], v19, v47
	v_cmp_lt_i32_e64 s[4:5], v21, v17
	v_cmp_lt_f32_e64 s[0:1], v19, v47
	s_and_b64 s[2:3], s[2:3], s[4:5]
	s_or_b64 s[0:1], s[0:1], s[2:3]
	v_cndmask_b32_e64 v19, v19, v47, s[0:1]
	v_cndmask_b32_e64 v17, v17, v21, s[0:1]
	s_nop 0
	v_mov_b32_dpp v47, v19 row_mirror row_mask:0xf bank_mask:0xf
	v_mov_b32_dpp v21, v17 row_mirror row_mask:0xf bank_mask:0xf
	v_cmp_eq_f32_e64 s[2:3], v19, v47
	v_cmp_lt_i32_e64 s[4:5], v21, v17
	v_cmp_lt_f32_e64 s[0:1], v19, v47
	s_and_b64 s[2:3], s[2:3], s[4:5]
	s_or_b64 s[0:1], s[0:1], s[2:3]
	v_cndmask_b32_e64 v19, v19, v47, s[0:1]
	v_cndmask_b32_e64 v17, v17, v21, s[0:1]
	s_nop 0
	v_mov_b32_dpp v47, v19 row_bcast:15 row_mask:0xa bank_mask:0xf
	v_mov_b32_dpp v21, v17 row_bcast:15 row_mask:0xa bank_mask:0xf
	v_cmp_eq_f32_e64 s[0:1], v19, v47
	v_cmp_lt_i32_e64 s[2:3], v21, v17
	s_and_b64 s[0:1], s[0:1], s[2:3]
	v_cmp_lt_f32_e64 s[2:3], v19, v47
	v_cndmask_b32_e64 v48, v19, v47, s[0:1]
	s_or_b64 s[0:1], s[2:3], s[0:1]
	v_cndmask_b32_e64 v19, v48, v47, s[2:3]
	v_cndmask_b32_e64 v17, v17, v21, s[0:1]
	ds_bpermute_b32 v47, v41, v17
	ds_bpermute_b32 v17, v41, v19
	s_and_saveexec_b64 s[4:5], vcc
	s_cbranch_execz .LBB91_14
; %bb.13:                               ;   in Loop: Header=BB91_12 Depth=1
	s_waitcnt lgkmcnt(0)
	v_sub_f32_e32 v17, v17, v44
	v_mul_f32_e32 v19, 0x3fb8aa3b, v17
	v_fma_f32 v21, v17, s21, -v19
	v_rndne_f32_e32 v48, v19
	v_fmac_f32_e32 v21, 0x32a5705f, v17
	v_sub_f32_e32 v19, v19, v48
	v_add_f32_e32 v19, v19, v21
	v_exp_f32_e32 v19, v19
	v_cvt_i32_f32_e32 v21, v48
	v_cmp_le_i32_e64 s[0:1], s9, v47
	v_cmp_gt_i32_e64 s[2:3], s10, v47
	s_and_b64 s[2:3], s[0:1], s[2:3]
	v_ldexp_f32 v19, v19, v21
	v_cmp_ngt_f32_e64 s[0:1], s23, v17
	v_ashrrev_i32_e32 v21, 31, v20
	v_cndmask_b32_e64 v19, 0, v19, s[0:1]
	v_cmp_nlt_f32_e64 s[0:1], s24, v17
	v_lshlrev_b64 v[48:49], 2, v[20:21]
	v_cndmask_b32_e64 v50, v43, v19, s[0:1]
	v_mov_b32_e32 v17, s7
	v_add_co_u32_e64 v48, s[0:1], s6, v48
	v_addc_co_u32_e64 v49, s[0:1], v17, v49, s[0:1]
	v_ashrrev_i32_e32 v19, 31, v18
	global_store_dword v[48:49], v50, off
	v_subrev_u32_e32 v17, s9, v47
	s_and_b64 s[0:1], s[16:17], s[2:3]
	v_lshlrev_b64 v[48:49], 2, v[18:19]
	v_cndmask_b32_e64 v17, v45, v17, s[0:1]
	v_mov_b32_e32 v19, s13
	v_add_co_u32_e64 v48, s[0:1], s12, v48
	v_addc_co_u32_e64 v49, s[0:1], v19, v49, s[0:1]
	global_store_dword v[48:49], v17, off
	v_ashrrev_i32_e32 v17, 31, v16
	v_lshlrev_b64 v[48:49], 2, v[16:17]
	v_mov_b32_e32 v17, s15
	v_add_co_u32_e64 v48, s[0:1], s14, v48
	v_addc_co_u32_e64 v49, s[0:1], v17, v49, s[0:1]
	v_add_f32_e32 v24, v24, v50
	global_store_dword v[48:49], v42, off
.LBB91_14:                              ;   in Loop: Header=BB91_12 Depth=1
	s_or_b64 exec, exec, s[4:5]
	s_waitcnt lgkmcnt(1)
	v_ashrrev_i32_e32 v19, 31, v47
	s_waitcnt lgkmcnt(0)
	v_lshrrev_b32_e32 v17, 28, v19
	v_add_u32_e32 v17, v47, v17
	v_ashrrev_i32_e32 v17, 4, v17
	v_lshrrev_b32_e32 v21, 27, v17
	v_add_u32_e32 v21, v17, v21
	v_and_b32_e32 v21, 0xffffffe0, v21
	v_sub_u32_e32 v21, v17, v21
	v_cmp_eq_u32_e64 s[0:1], v23, v21
	s_and_saveexec_b64 s[2:3], s[0:1]
	s_cbranch_execz .LBB91_11
; %bb.15:                               ;   in Loop: Header=BB91_12 Depth=1
	v_lshrrev_b32_e32 v19, 23, v19
	v_add_u32_e32 v19, v47, v19
	v_lshlrev_b32_e32 v17, 4, v17
	v_ashrrev_i32_e32 v19, 9, v19
	v_sub_u32_e32 v17, v47, v17
	v_lshl_add_u32 v17, v19, 4, v17
	v_cmp_ne_u32_e64 s[0:1], 15, v17
	v_cndmask_b32_e64 v15, v46, v15, s[0:1]
	v_cmp_ne_u32_e64 s[0:1], 14, v17
	v_cndmask_b32_e64 v14, v46, v14, s[0:1]
	;; [unrolled: 2-line block ×16, first 2 shown]
	s_branch .LBB91_11
.LBB91_16:
	v_cmp_eq_u32_e32 vcc, 0, v23
	v_cmp_neq_f32_e64 s[0:1], 0, v24
	s_and_b64 s[0:1], vcc, s[0:1]
	s_and_b64 exec, exec, s[0:1]
	s_cbranch_execz .LBB91_27
; %bb.17:
	s_andn2_b64 vcc, exec, s[18:19]
	s_cbranch_vccnz .LBB91_27
; %bb.18:
	v_div_scale_f32 v0, s[0:1], v24, v24, 1.0
	v_rcp_f32_e32 v1, v0
	v_div_scale_f32 v2, vcc, 1.0, v24, 1.0
	s_cmp_gt_u32 s8, 3
	v_fma_f32 v3, -v0, v1, 1.0
	v_fmac_f32_e32 v1, v3, v1
	v_mul_f32_e32 v3, v2, v1
	v_fma_f32 v4, -v0, v3, v2
	v_fmac_f32_e32 v3, v4, v1
	v_fma_f32 v0, -v0, v3, v2
	v_div_fmas_f32 v0, v0, v1, v3
	v_mul_lo_u32 v2, v22, s11
	v_div_fixup_f32 v0, v0, v24, 1.0
	v_ashrrev_i32_e32 v3, 31, v2
	s_cbranch_scc0 .LBB91_22
; %bb.19:
	v_lshlrev_b64 v[4:5], 2, v[2:3]
	v_mov_b32_e32 v6, s7
	v_add_co_u32_e32 v4, vcc, s6, v4
	v_addc_co_u32_e32 v5, vcc, v5, v6, vcc
	s_and_b32 s4, s8, 0x7ffffffc
	v_add_co_u32_e32 v4, vcc, 8, v4
	v_mov_b32_e32 v1, v0
	v_addc_co_u32_e32 v5, vcc, 0, v5, vcc
	s_mov_b32 s0, s4
.LBB91_20:                              ; =>This Inner Loop Header: Depth=1
	global_load_dwordx4 v[6:9], v[4:5], off offset:-8
	s_add_i32 s0, s0, -4
	s_cmp_lg_u32 s0, 0
	s_waitcnt vmcnt(0)
	v_pk_mul_f32 v[6:7], v[0:1], v[6:7]
	v_pk_mul_f32 v[8:9], v[0:1], v[8:9]
	global_store_dwordx4 v[4:5], v[6:9], off offset:-8
	v_add_co_u32_e32 v4, vcc, 16, v4
	v_addc_co_u32_e32 v5, vcc, 0, v5, vcc
	s_cbranch_scc1 .LBB91_20
; %bb.21:
	s_cmp_lg_u32 s4, s8
	s_cselect_b64 s[0:1], -1, 0
	s_branch .LBB91_24
.LBB91_22:
	s_mov_b64 s[0:1], 0
                                        ; implicit-def: $sgpr4
	s_cbranch_execz .LBB91_24
; %bb.23:
	s_mov_b64 s[0:1], -1
	s_mov_b32 s4, 0
.LBB91_24:
	s_andn2_b64 vcc, exec, s[0:1]
	s_cbranch_vccnz .LBB91_27
; %bb.25:
	v_add_co_u32_e32 v2, vcc, s4, v2
	v_addc_co_u32_e32 v3, vcc, 0, v3, vcc
	v_lshlrev_b64 v[2:3], 2, v[2:3]
	v_mov_b32_e32 v1, s7
	v_add_co_u32_e32 v2, vcc, s6, v2
	s_sub_i32 s0, s8, s4
	v_addc_co_u32_e32 v3, vcc, v1, v3, vcc
.LBB91_26:                              ; =>This Inner Loop Header: Depth=1
	global_load_dword v1, v[2:3], off
	s_add_i32 s0, s0, -1
	s_cmp_lg_u32 s0, 0
	s_waitcnt vmcnt(0)
	v_mul_f32_e32 v1, v0, v1
	global_store_dword v[2:3], v1, off
	v_add_co_u32_e32 v2, vcc, 4, v2
	v_addc_co_u32_e32 v3, vcc, 0, v3, vcc
	s_cbranch_scc1 .LBB91_26
.LBB91_27:
	s_endpgm
	.section	.rodata,"a",@progbits
	.p2align	6, 0x0
	.amdhsa_kernel _ZN4vllm3moe17topkGatingSoftmaxIfLi16ELi512ELi2ELi64ELb1ELi0ELNS0_23SharedExpertScoringFuncE0EEEvPKT_PKbPfiPiS9_iiiiii
		.amdhsa_group_segment_fixed_size 0
		.amdhsa_private_segment_fixed_size 0
		.amdhsa_kernarg_size 72
		.amdhsa_user_sgpr_count 6
		.amdhsa_user_sgpr_private_segment_buffer 1
		.amdhsa_user_sgpr_dispatch_ptr 0
		.amdhsa_user_sgpr_queue_ptr 0
		.amdhsa_user_sgpr_kernarg_segment_ptr 1
		.amdhsa_user_sgpr_dispatch_id 0
		.amdhsa_user_sgpr_flat_scratch_init 0
		.amdhsa_user_sgpr_kernarg_preload_length 0
		.amdhsa_user_sgpr_kernarg_preload_offset 0
		.amdhsa_user_sgpr_private_segment_size 0
		.amdhsa_uses_dynamic_stack 0
		.amdhsa_system_sgpr_private_segment_wavefront_offset 0
		.amdhsa_system_sgpr_workgroup_id_x 1
		.amdhsa_system_sgpr_workgroup_id_y 0
		.amdhsa_system_sgpr_workgroup_id_z 0
		.amdhsa_system_sgpr_workgroup_info 0
		.amdhsa_system_vgpr_workitem_id 1
		.amdhsa_next_free_vgpr 51
		.amdhsa_next_free_sgpr 25
		.amdhsa_accum_offset 52
		.amdhsa_reserve_vcc 1
		.amdhsa_reserve_flat_scratch 0
		.amdhsa_float_round_mode_32 0
		.amdhsa_float_round_mode_16_64 0
		.amdhsa_float_denorm_mode_32 3
		.amdhsa_float_denorm_mode_16_64 3
		.amdhsa_dx10_clamp 1
		.amdhsa_ieee_mode 1
		.amdhsa_fp16_overflow 0
		.amdhsa_tg_split 0
		.amdhsa_exception_fp_ieee_invalid_op 0
		.amdhsa_exception_fp_denorm_src 0
		.amdhsa_exception_fp_ieee_div_zero 0
		.amdhsa_exception_fp_ieee_overflow 0
		.amdhsa_exception_fp_ieee_underflow 0
		.amdhsa_exception_fp_ieee_inexact 0
		.amdhsa_exception_int_div_zero 0
	.end_amdhsa_kernel
	.section	.text._ZN4vllm3moe17topkGatingSoftmaxIfLi16ELi512ELi2ELi64ELb1ELi0ELNS0_23SharedExpertScoringFuncE0EEEvPKT_PKbPfiPiS9_iiiiii,"axG",@progbits,_ZN4vllm3moe17topkGatingSoftmaxIfLi16ELi512ELi2ELi64ELb1ELi0ELNS0_23SharedExpertScoringFuncE0EEEvPKT_PKbPfiPiS9_iiiiii,comdat
.Lfunc_end91:
	.size	_ZN4vllm3moe17topkGatingSoftmaxIfLi16ELi512ELi2ELi64ELb1ELi0ELNS0_23SharedExpertScoringFuncE0EEEvPKT_PKbPfiPiS9_iiiiii, .Lfunc_end91-_ZN4vllm3moe17topkGatingSoftmaxIfLi16ELi512ELi2ELi64ELb1ELi0ELNS0_23SharedExpertScoringFuncE0EEEvPKT_PKbPfiPiS9_iiiiii
                                        ; -- End function
	.section	.AMDGPU.csdata,"",@progbits
; Kernel info:
; codeLenInByte = 3344
; NumSgprs: 29
; NumVgprs: 51
; NumAgprs: 0
; TotalNumVgprs: 51
; ScratchSize: 0
; MemoryBound: 0
; FloatMode: 240
; IeeeMode: 1
; LDSByteSize: 0 bytes/workgroup (compile time only)
; SGPRBlocks: 3
; VGPRBlocks: 6
; NumSGPRsForWavesPerEU: 29
; NumVGPRsForWavesPerEU: 51
; AccumOffset: 52
; Occupancy: 8
; WaveLimiterHint : 0
; COMPUTE_PGM_RSRC2:SCRATCH_EN: 0
; COMPUTE_PGM_RSRC2:USER_SGPR: 6
; COMPUTE_PGM_RSRC2:TRAP_HANDLER: 0
; COMPUTE_PGM_RSRC2:TGID_X_EN: 1
; COMPUTE_PGM_RSRC2:TGID_Y_EN: 0
; COMPUTE_PGM_RSRC2:TGID_Z_EN: 0
; COMPUTE_PGM_RSRC2:TIDIG_COMP_CNT: 1
; COMPUTE_PGM_RSRC3_GFX90A:ACCUM_OFFSET: 12
; COMPUTE_PGM_RSRC3_GFX90A:TG_SPLIT: 0
	.section	.text._ZN4vllm3moe17topkGatingSoftmaxIfLi16ELi512ELi2ELi64ELb0ELi0ELNS0_23SharedExpertScoringFuncE0EEEvPKT_PKbPfiPiS9_iiiiii,"axG",@progbits,_ZN4vllm3moe17topkGatingSoftmaxIfLi16ELi512ELi2ELi64ELb0ELi0ELNS0_23SharedExpertScoringFuncE0EEEvPKT_PKbPfiPiS9_iiiiii,comdat
	.protected	_ZN4vllm3moe17topkGatingSoftmaxIfLi16ELi512ELi2ELi64ELb0ELi0ELNS0_23SharedExpertScoringFuncE0EEEvPKT_PKbPfiPiS9_iiiiii ; -- Begin function _ZN4vllm3moe17topkGatingSoftmaxIfLi16ELi512ELi2ELi64ELb0ELi0ELNS0_23SharedExpertScoringFuncE0EEEvPKT_PKbPfiPiS9_iiiiii
	.globl	_ZN4vllm3moe17topkGatingSoftmaxIfLi16ELi512ELi2ELi64ELb0ELi0ELNS0_23SharedExpertScoringFuncE0EEEvPKT_PKbPfiPiS9_iiiiii
	.p2align	8
	.type	_ZN4vllm3moe17topkGatingSoftmaxIfLi16ELi512ELi2ELi64ELb0ELi0ELNS0_23SharedExpertScoringFuncE0EEEvPKT_PKbPfiPiS9_iiiiii,@function
_ZN4vllm3moe17topkGatingSoftmaxIfLi16ELi512ELi2ELi64ELb0ELi0ELNS0_23SharedExpertScoringFuncE0EEEvPKT_PKbPfiPiS9_iiiiii: ; @_ZN4vllm3moe17topkGatingSoftmaxIfLi16ELi512ELi2ELi64ELb0ELi0ELNS0_23SharedExpertScoringFuncE0EEEvPKT_PKbPfiPiS9_iiiiii
; %bb.0:
	s_load_dword s22, s[4:5], 0x18
	v_bfe_u32 v1, v0, 10, 10
	v_and_b32_e32 v0, 0x3ff, v0
	s_lshl_b32 s23, s6, 2
	v_lshlrev_b32_e32 v43, 1, v1
	v_lshrrev_b32_e32 v44, 5, v0
	v_add3_u32 v22, s23, v43, v44
	s_waitcnt lgkmcnt(0)
	v_cmp_gt_i32_e32 vcc, s22, v22
	s_and_saveexec_b64 s[0:1], vcc
	s_cbranch_execz .LBB92_29
; %bb.1:
	s_load_dwordx4 s[0:3], s[4:5], 0x0
	s_load_dwordx2 s[6:7], s[4:5], 0x10
	s_waitcnt lgkmcnt(0)
	s_cmp_eq_u64 s[2:3], 0
	s_cbranch_scc1 .LBB92_3
; %bb.2:
	v_ashrrev_i32_e32 v1, 31, v22
	v_mov_b32_e32 v3, s3
	v_add_co_u32_e32 v2, vcc, s2, v22
	v_addc_co_u32_e32 v3, vcc, v3, v1, vcc
	global_load_ubyte v1, v[2:3], off
	s_waitcnt vmcnt(0)
	v_and_b32_e32 v1, 1, v1
	v_cmp_eq_u32_e32 vcc, 1, v1
	s_xor_b64 s[2:3], vcc, -1
	s_orn2_b64 s[18:19], s[2:3], exec
	s_branch .LBB92_4
.LBB92_3:
	s_mov_b64 s[18:19], -1
.LBB92_4:
	s_load_dwordx2 s[20:21], s[4:5], 0x40
	s_load_dwordx4 s[8:11], s[4:5], 0x30
	v_mov_b32_e32 v1, s1
	v_and_b32_e32 v23, 31, v0
	v_lshlrev_b32_e32 v0, 6, v23
	s_waitcnt lgkmcnt(0)
	v_mul_lo_u32 v2, v22, s21
	v_ashrrev_i32_e32 v3, 31, v2
	v_lshlrev_b64 v[2:3], 2, v[2:3]
	v_add_co_u32_e32 v2, vcc, s0, v2
	v_addc_co_u32_e32 v1, vcc, v1, v3, vcc
	v_add_co_u32_e32 v16, vcc, v2, v0
	v_addc_co_u32_e32 v17, vcc, 0, v1, vcc
	global_load_dwordx4 v[12:15], v[16:17], off
	global_load_dwordx4 v[8:11], v[16:17], off offset:16
	global_load_dwordx4 v[4:7], v[16:17], off offset:32
	;; [unrolled: 1-line block ×3, first 2 shown]
	v_mbcnt_lo_u32_b32 v16, -1, 0
	v_mov_b32_e32 v17, 0x7c
	v_lshlrev_b32_e32 v27, 4, v23
	v_mbcnt_hi_u32_b32 v16, -1, v16
	v_or_b32_e32 v28, 1, v27
	v_lshl_or_b32 v25, v16, 2, v17
	v_or_b32_e32 v29, 2, v27
	v_or_b32_e32 v30, 3, v27
	;; [unrolled: 1-line block ×14, first 2 shown]
	v_mov_b32_e32 v24, 0
	s_waitcnt vmcnt(3)
	v_cmp_lt_f32_e32 vcc, v12, v13
	v_cndmask_b32_e32 v17, v12, v13, vcc
	v_cndmask_b32_e32 v16, v27, v28, vcc
	v_cmp_lt_f32_e32 vcc, v17, v14
	v_cndmask_b32_e32 v17, v17, v14, vcc
	v_cndmask_b32_e32 v16, v16, v29, vcc
	v_cmp_lt_f32_e32 vcc, v17, v15
	v_cndmask_b32_e32 v17, v17, v15, vcc
	v_cndmask_b32_e32 v16, v16, v30, vcc
	s_waitcnt vmcnt(2)
	v_cmp_lt_f32_e32 vcc, v17, v8
	v_cndmask_b32_e32 v17, v17, v8, vcc
	v_cndmask_b32_e32 v16, v16, v31, vcc
	v_cmp_lt_f32_e32 vcc, v17, v9
	v_cndmask_b32_e32 v17, v17, v9, vcc
	v_cndmask_b32_e32 v16, v16, v32, vcc
	v_cmp_lt_f32_e32 vcc, v17, v10
	v_cndmask_b32_e32 v17, v17, v10, vcc
	v_cndmask_b32_e32 v16, v16, v33, vcc
	v_cmp_lt_f32_e32 vcc, v17, v11
	v_cndmask_b32_e32 v17, v17, v11, vcc
	v_cndmask_b32_e32 v16, v16, v34, vcc
	s_waitcnt vmcnt(1)
	v_cmp_lt_f32_e32 vcc, v17, v4
	v_cndmask_b32_e32 v17, v17, v4, vcc
	v_cndmask_b32_e32 v16, v16, v35, vcc
	;; [unrolled: 13-line block ×3, first 2 shown]
	v_cmp_lt_f32_e32 vcc, v17, v1
	v_cndmask_b32_e32 v17, v17, v1, vcc
	v_cndmask_b32_e32 v16, v16, v40, vcc
	v_cmp_lt_f32_e32 vcc, v17, v2
	v_cndmask_b32_e32 v17, v17, v2, vcc
	v_cndmask_b32_e32 v16, v16, v41, vcc
	;; [unrolled: 3-line block ×3, first 2 shown]
	s_nop 0
	v_mov_b32_dpp v18, v16 quad_perm:[1,0,3,2] row_mask:0xf bank_mask:0xf
	v_mov_b32_dpp v19, v17 quad_perm:[1,0,3,2] row_mask:0xf bank_mask:0xf
	v_cmp_lt_i32_e32 vcc, v18, v16
	v_cmp_eq_f32_e64 s[2:3], v17, v19
	v_cmp_lt_f32_e64 s[0:1], v17, v19
	s_and_b64 s[2:3], s[2:3], vcc
	s_or_b64 vcc, s[0:1], s[2:3]
	v_cndmask_b32_e32 v17, v17, v19, vcc
	v_cndmask_b32_e32 v16, v16, v18, vcc
	s_nop 0
	v_mov_b32_dpp v18, v17 quad_perm:[2,3,0,1] row_mask:0xf bank_mask:0xf
	v_mov_b32_dpp v19, v16 quad_perm:[2,3,0,1] row_mask:0xf bank_mask:0xf
	v_cmp_eq_f32_e64 s[0:1], v17, v18
	v_cmp_lt_i32_e64 s[2:3], v19, v16
	v_cmp_lt_f32_e32 vcc, v17, v18
	s_and_b64 s[0:1], s[0:1], s[2:3]
	s_or_b64 vcc, vcc, s[0:1]
	v_cndmask_b32_e32 v17, v17, v18, vcc
	v_cndmask_b32_e32 v16, v16, v19, vcc
	s_nop 0
	v_mov_b32_dpp v18, v17 row_half_mirror row_mask:0xf bank_mask:0xf
	v_mov_b32_dpp v19, v16 row_half_mirror row_mask:0xf bank_mask:0xf
	v_cmp_eq_f32_e64 s[0:1], v17, v18
	v_cmp_lt_i32_e64 s[2:3], v19, v16
	v_cmp_lt_f32_e32 vcc, v17, v18
	s_and_b64 s[0:1], s[0:1], s[2:3]
	s_or_b64 vcc, vcc, s[0:1]
	v_cndmask_b32_e32 v17, v17, v18, vcc
	v_cndmask_b32_e32 v16, v16, v19, vcc
	s_nop 0
	v_mov_b32_dpp v18, v17 row_mirror row_mask:0xf bank_mask:0xf
	v_mov_b32_dpp v19, v16 row_mirror row_mask:0xf bank_mask:0xf
	v_cmp_eq_f32_e64 s[0:1], v17, v18
	v_cmp_lt_i32_e64 s[2:3], v19, v16
	v_cmp_lt_f32_e32 vcc, v17, v18
	s_and_b64 s[0:1], s[0:1], s[2:3]
	s_or_b64 vcc, vcc, s[0:1]
	v_cndmask_b32_e32 v17, v17, v18, vcc
	v_cndmask_b32_e32 v16, v16, v19, vcc
	s_nop 0
	v_mov_b32_dpp v18, v17 row_bcast:15 row_mask:0xa bank_mask:0xf
	v_mov_b32_dpp v19, v16 row_bcast:15 row_mask:0xa bank_mask:0xf
	v_cmp_eq_f32_e32 vcc, v17, v18
	v_cmp_lt_i32_e64 s[0:1], v19, v16
	s_and_b64 vcc, vcc, s[0:1]
	v_cmp_lt_f32_e64 s[0:1], v17, v18
	v_cndmask_b32_e32 v20, v17, v18, vcc
	s_or_b64 vcc, s[0:1], vcc
	v_cndmask_b32_e64 v17, v20, v18, s[0:1]
	v_cndmask_b32_e32 v16, v16, v19, vcc
	ds_bpermute_b32 v45, v25, v16
	ds_bpermute_b32 v26, v25, v17
	s_cmp_gt_i32 s8, 0
	s_cselect_b64 s[16:17], -1, 0
	s_cmp_lt_i32 s8, 1
	v_cmp_eq_u32_e32 vcc, 0, v23
	s_cbranch_scc1 .LBB92_16
; %bb.5:
	s_load_dwordx4 s[12:15], s[4:5], 0x20
	v_mul_lo_u32 v20, v22, s11
	v_mul_lo_u32 v18, v22, s20
	;; [unrolled: 1-line block ×3, first 2 shown]
	v_mov_b32_e32 v24, 0
	s_and_saveexec_b64 s[4:5], vcc
	s_cbranch_execz .LBB92_7
; %bb.6:
	s_waitcnt lgkmcnt(0)
	v_sub_f32_e32 v17, v26, v26
	v_mul_f32_e32 v19, 0x3fb8aa3b, v17
	s_mov_b32 s0, 0x3fb8aa3b
	v_rndne_f32_e32 v21, v19
	v_sub_f32_e32 v24, v19, v21
	v_fma_f32 v19, v17, s0, -v19
	v_fmac_f32_e32 v19, 0x32a5705f, v17
	v_add_f32_e32 v19, v24, v19
	v_exp_f32_e32 v19, v19
	v_cvt_i32_f32_e32 v21, v21
	v_cmp_le_i32_e64 s[0:1], s9, v45
	v_cmp_gt_i32_e64 s[2:3], s10, v45
	s_and_b64 s[2:3], s[0:1], s[2:3]
	s_mov_b32 s0, 0xc2ce8ed0
	v_ldexp_f32 v19, v19, v21
	v_cmp_ngt_f32_e64 s[0:1], s0, v17
	v_cndmask_b32_e64 v19, 0, v19, s[0:1]
	s_mov_b32 s0, 0x42b17218
	v_mov_b32_e32 v21, 0x7f800000
	v_cmp_nlt_f32_e64 s[0:1], s0, v17
	v_cndmask_b32_e64 v24, v21, v19, s[0:1]
	v_ashrrev_i32_e32 v21, 31, v20
	v_lshlrev_b64 v[46:47], 2, v[20:21]
	v_mov_b32_e32 v17, s7
	v_add_co_u32_e64 v46, s[0:1], s6, v46
	v_addc_co_u32_e64 v47, s[0:1], v17, v47, s[0:1]
	v_subrev_u32_e32 v17, s9, v45
	v_mov_b32_e32 v19, 0x200
	s_and_b64 s[0:1], s[18:19], s[2:3]
	v_cndmask_b32_e64 v17, v19, v17, s[0:1]
	v_ashrrev_i32_e32 v19, 31, v18
	global_store_dword v[46:47], v24, off
	v_lshlrev_b64 v[46:47], 2, v[18:19]
	v_mov_b32_e32 v19, s13
	v_add_co_u32_e64 v46, s[0:1], s12, v46
	v_addc_co_u32_e64 v47, s[0:1], v19, v47, s[0:1]
	global_store_dword v[46:47], v17, off
	v_ashrrev_i32_e32 v17, 31, v16
	v_lshlrev_b64 v[46:47], 2, v[16:17]
	v_mov_b32_e32 v17, s15
	v_add_co_u32_e64 v46, s[0:1], s14, v46
	v_addc_co_u32_e64 v47, s[0:1], v17, v47, s[0:1]
	global_store_dword v[46:47], v22, off
.LBB92_7:
	s_or_b64 exec, exec, s[4:5]
	s_waitcnt lgkmcnt(0)
	v_ashrrev_i32_e32 v19, 31, v45
	v_lshrrev_b32_e32 v17, 28, v19
	v_add_u32_e32 v17, v45, v17
	v_ashrrev_i32_e32 v17, 4, v17
	v_lshrrev_b32_e32 v21, 27, v17
	v_add_u32_e32 v21, v17, v21
	v_and_b32_e32 v21, 0xffffffe0, v21
	v_sub_u32_e32 v21, v17, v21
	v_cmp_eq_u32_e64 s[0:1], v23, v21
	s_and_saveexec_b64 s[2:3], s[0:1]
	s_cbranch_execz .LBB92_9
; %bb.8:
	v_lshrrev_b32_e32 v19, 23, v19
	v_add_u32_e32 v19, v45, v19
	v_lshlrev_b32_e32 v17, 4, v17
	v_ashrrev_i32_e32 v19, 9, v19
	v_sub_u32_e32 v17, v45, v17
	v_lshl_add_u32 v17, v19, 4, v17
	v_mov_b32_e32 v19, 0xff800000
	v_cmp_ne_u32_e64 s[0:1], 15, v17
	v_cndmask_b32_e64 v3, v19, v3, s[0:1]
	v_cmp_ne_u32_e64 s[0:1], 14, v17
	v_cndmask_b32_e64 v2, v19, v2, s[0:1]
	v_cmp_ne_u32_e64 s[0:1], 13, v17
	v_cndmask_b32_e64 v1, v19, v1, s[0:1]
	v_cmp_ne_u32_e64 s[0:1], 12, v17
	v_cndmask_b32_e64 v0, v19, v0, s[0:1]
	v_cmp_ne_u32_e64 s[0:1], 11, v17
	v_cndmask_b32_e64 v7, v19, v7, s[0:1]
	v_cmp_ne_u32_e64 s[0:1], 10, v17
	v_cndmask_b32_e64 v6, v19, v6, s[0:1]
	v_cmp_ne_u32_e64 s[0:1], 9, v17
	v_cndmask_b32_e64 v5, v19, v5, s[0:1]
	v_cmp_ne_u32_e64 s[0:1], 8, v17
	v_cndmask_b32_e64 v4, v19, v4, s[0:1]
	v_cmp_ne_u32_e64 s[0:1], 7, v17
	v_cndmask_b32_e64 v11, v19, v11, s[0:1]
	v_cmp_ne_u32_e64 s[0:1], 6, v17
	v_cndmask_b32_e64 v10, v19, v10, s[0:1]
	v_cmp_ne_u32_e64 s[0:1], 5, v17
	v_cndmask_b32_e64 v9, v19, v9, s[0:1]
	v_cmp_ne_u32_e64 s[0:1], 4, v17
	v_cndmask_b32_e64 v8, v19, v8, s[0:1]
	v_cmp_ne_u32_e64 s[0:1], 3, v17
	v_cndmask_b32_e64 v15, v19, v15, s[0:1]
	v_cmp_ne_u32_e64 s[0:1], 2, v17
	v_cndmask_b32_e64 v14, v19, v14, s[0:1]
	v_cmp_ne_u32_e64 s[0:1], 1, v17
	v_cndmask_b32_e64 v13, v19, v13, s[0:1]
	v_cmp_ne_u32_e64 s[0:1], 0, v17
	v_cndmask_b32_e64 v12, v19, v12, s[0:1]
.LBB92_9:
	s_or_b64 exec, exec, s[2:3]
	s_cmp_eq_u32 s8, 1
	s_cbranch_scc1 .LBB92_16
; %bb.10:
	s_add_i32 s23, s23, s22
	s_add_i32 s20, s8, -1
	v_add3_u32 v43, s23, v44, v43
	v_add_u32_e32 v16, 1, v16
	v_add_u32_e32 v18, 1, v18
	v_add_u32_e32 v20, 1, v20
	s_mov_b32 s21, 0x3fb8aa3b
	s_mov_b32 s23, 0xc2ce8ed0
	;; [unrolled: 1-line block ×3, first 2 shown]
	v_mov_b32_e32 v44, 0x7f800000
	v_mov_b32_e32 v45, 0x200
	;; [unrolled: 1-line block ×3, first 2 shown]
	s_branch .LBB92_12
.LBB92_11:                              ;   in Loop: Header=BB92_12 Depth=1
	s_or_b64 exec, exec, s[2:3]
	s_add_i32 s20, s20, -1
	v_add_u32_e32 v43, s22, v43
	v_add_u32_e32 v16, 1, v16
	;; [unrolled: 1-line block ×3, first 2 shown]
	s_cmp_eq_u32 s20, 0
	v_add_u32_e32 v20, 1, v20
	s_cbranch_scc1 .LBB92_16
.LBB92_12:                              ; =>This Inner Loop Header: Depth=1
	v_cmp_gt_f32_e64 s[0:1], v13, v12
	v_cndmask_b32_e64 v19, v12, v13, s[0:1]
	v_cndmask_b32_e64 v17, v27, v28, s[0:1]
	v_cmp_gt_f32_e64 s[0:1], v14, v19
	v_cndmask_b32_e64 v19, v19, v14, s[0:1]
	v_cndmask_b32_e64 v17, v17, v29, s[0:1]
	;; [unrolled: 3-line block ×15, first 2 shown]
	s_nop 0
	v_mov_b32_dpp v21, v17 quad_perm:[1,0,3,2] row_mask:0xf bank_mask:0xf
	v_mov_b32_dpp v47, v19 quad_perm:[1,0,3,2] row_mask:0xf bank_mask:0xf
	v_cmp_eq_f32_e64 s[2:3], v19, v47
	v_cmp_lt_i32_e64 s[4:5], v21, v17
	v_cmp_lt_f32_e64 s[0:1], v19, v47
	s_and_b64 s[2:3], s[2:3], s[4:5]
	s_or_b64 s[0:1], s[0:1], s[2:3]
	v_cndmask_b32_e64 v19, v19, v47, s[0:1]
	v_cndmask_b32_e64 v17, v17, v21, s[0:1]
	s_nop 0
	v_mov_b32_dpp v47, v19 quad_perm:[2,3,0,1] row_mask:0xf bank_mask:0xf
	v_mov_b32_dpp v21, v17 quad_perm:[2,3,0,1] row_mask:0xf bank_mask:0xf
	v_cmp_eq_f32_e64 s[2:3], v19, v47
	v_cmp_lt_i32_e64 s[4:5], v21, v17
	v_cmp_lt_f32_e64 s[0:1], v19, v47
	s_and_b64 s[2:3], s[2:3], s[4:5]
	s_or_b64 s[0:1], s[0:1], s[2:3]
	v_cndmask_b32_e64 v19, v19, v47, s[0:1]
	v_cndmask_b32_e64 v17, v17, v21, s[0:1]
	s_nop 0
	v_mov_b32_dpp v47, v19 row_half_mirror row_mask:0xf bank_mask:0xf
	v_mov_b32_dpp v21, v17 row_half_mirror row_mask:0xf bank_mask:0xf
	v_cmp_eq_f32_e64 s[2:3], v19, v47
	v_cmp_lt_i32_e64 s[4:5], v21, v17
	v_cmp_lt_f32_e64 s[0:1], v19, v47
	s_and_b64 s[2:3], s[2:3], s[4:5]
	s_or_b64 s[0:1], s[0:1], s[2:3]
	v_cndmask_b32_e64 v19, v19, v47, s[0:1]
	v_cndmask_b32_e64 v17, v17, v21, s[0:1]
	s_nop 0
	v_mov_b32_dpp v47, v19 row_mirror row_mask:0xf bank_mask:0xf
	v_mov_b32_dpp v21, v17 row_mirror row_mask:0xf bank_mask:0xf
	v_cmp_eq_f32_e64 s[2:3], v19, v47
	v_cmp_lt_i32_e64 s[4:5], v21, v17
	v_cmp_lt_f32_e64 s[0:1], v19, v47
	s_and_b64 s[2:3], s[2:3], s[4:5]
	s_or_b64 s[0:1], s[0:1], s[2:3]
	v_cndmask_b32_e64 v19, v19, v47, s[0:1]
	v_cndmask_b32_e64 v17, v17, v21, s[0:1]
	s_nop 0
	v_mov_b32_dpp v47, v19 row_bcast:15 row_mask:0xa bank_mask:0xf
	v_mov_b32_dpp v21, v17 row_bcast:15 row_mask:0xa bank_mask:0xf
	v_cmp_eq_f32_e64 s[0:1], v19, v47
	v_cmp_lt_i32_e64 s[2:3], v21, v17
	s_and_b64 s[0:1], s[0:1], s[2:3]
	v_cmp_lt_f32_e64 s[2:3], v19, v47
	v_cndmask_b32_e64 v48, v19, v47, s[0:1]
	s_or_b64 s[0:1], s[2:3], s[0:1]
	v_cndmask_b32_e64 v19, v48, v47, s[2:3]
	v_cndmask_b32_e64 v17, v17, v21, s[0:1]
	ds_bpermute_b32 v47, v25, v17
	ds_bpermute_b32 v17, v25, v19
	s_and_saveexec_b64 s[4:5], vcc
	s_cbranch_execz .LBB92_14
; %bb.13:                               ;   in Loop: Header=BB92_12 Depth=1
	s_waitcnt lgkmcnt(0)
	v_sub_f32_e32 v17, v17, v26
	v_mul_f32_e32 v19, 0x3fb8aa3b, v17
	v_fma_f32 v21, v17, s21, -v19
	v_rndne_f32_e32 v48, v19
	v_fmac_f32_e32 v21, 0x32a5705f, v17
	v_sub_f32_e32 v19, v19, v48
	v_add_f32_e32 v19, v19, v21
	v_exp_f32_e32 v19, v19
	v_cvt_i32_f32_e32 v21, v48
	v_cmp_le_i32_e64 s[0:1], s9, v47
	v_cmp_gt_i32_e64 s[2:3], s10, v47
	s_and_b64 s[2:3], s[0:1], s[2:3]
	v_ldexp_f32 v19, v19, v21
	v_cmp_ngt_f32_e64 s[0:1], s23, v17
	v_ashrrev_i32_e32 v21, 31, v20
	v_cndmask_b32_e64 v19, 0, v19, s[0:1]
	v_cmp_nlt_f32_e64 s[0:1], s24, v17
	v_lshlrev_b64 v[48:49], 2, v[20:21]
	v_cndmask_b32_e64 v50, v44, v19, s[0:1]
	v_mov_b32_e32 v17, s7
	v_add_co_u32_e64 v48, s[0:1], s6, v48
	v_addc_co_u32_e64 v49, s[0:1], v17, v49, s[0:1]
	v_ashrrev_i32_e32 v19, 31, v18
	global_store_dword v[48:49], v50, off
	v_subrev_u32_e32 v17, s9, v47
	s_and_b64 s[0:1], s[18:19], s[2:3]
	v_lshlrev_b64 v[48:49], 2, v[18:19]
	v_cndmask_b32_e64 v17, v45, v17, s[0:1]
	v_mov_b32_e32 v19, s13
	v_add_co_u32_e64 v48, s[0:1], s12, v48
	v_addc_co_u32_e64 v49, s[0:1], v19, v49, s[0:1]
	global_store_dword v[48:49], v17, off
	v_ashrrev_i32_e32 v17, 31, v16
	v_lshlrev_b64 v[48:49], 2, v[16:17]
	v_mov_b32_e32 v17, s15
	v_add_co_u32_e64 v48, s[0:1], s14, v48
	v_addc_co_u32_e64 v49, s[0:1], v17, v49, s[0:1]
	v_add_f32_e32 v24, v24, v50
	global_store_dword v[48:49], v43, off
.LBB92_14:                              ;   in Loop: Header=BB92_12 Depth=1
	s_or_b64 exec, exec, s[4:5]
	s_waitcnt lgkmcnt(1)
	v_ashrrev_i32_e32 v19, 31, v47
	s_waitcnt lgkmcnt(0)
	v_lshrrev_b32_e32 v17, 28, v19
	v_add_u32_e32 v17, v47, v17
	v_ashrrev_i32_e32 v17, 4, v17
	v_lshrrev_b32_e32 v21, 27, v17
	v_add_u32_e32 v21, v17, v21
	v_and_b32_e32 v21, 0xffffffe0, v21
	v_sub_u32_e32 v21, v17, v21
	v_cmp_eq_u32_e64 s[0:1], v23, v21
	s_and_saveexec_b64 s[2:3], s[0:1]
	s_cbranch_execz .LBB92_11
; %bb.15:                               ;   in Loop: Header=BB92_12 Depth=1
	v_lshrrev_b32_e32 v19, 23, v19
	v_add_u32_e32 v19, v47, v19
	v_lshlrev_b32_e32 v17, 4, v17
	v_ashrrev_i32_e32 v19, 9, v19
	v_sub_u32_e32 v17, v47, v17
	v_lshl_add_u32 v17, v19, 4, v17
	v_cmp_ne_u32_e64 s[0:1], 15, v17
	v_cndmask_b32_e64 v3, v46, v3, s[0:1]
	v_cmp_ne_u32_e64 s[0:1], 14, v17
	v_cndmask_b32_e64 v2, v46, v2, s[0:1]
	;; [unrolled: 2-line block ×16, first 2 shown]
	s_branch .LBB92_11
.LBB92_16:
	s_waitcnt lgkmcnt(0)
	v_sub_f32_e32 v12, v12, v26
	s_mov_b32 s1, 0x3fb8aa3b
	v_mul_f32_e32 v16, 0x3fb8aa3b, v12
	v_fma_f32 v17, v12, s1, -v16
	v_rndne_f32_e32 v18, v16
	v_fmac_f32_e32 v17, 0x32a5705f, v12
	v_sub_f32_e32 v16, v16, v18
	v_add_f32_e32 v16, v16, v17
	v_exp_f32_e32 v16, v16
	v_cvt_i32_f32_e32 v17, v18
	v_sub_f32_e32 v13, v13, v26
	s_mov_b32 s0, 0xc2ce8ed0
	v_cmp_ngt_f32_e32 vcc, s0, v12
	v_ldexp_f32 v16, v16, v17
	v_mul_f32_e32 v17, 0x3fb8aa3b, v13
	v_fma_f32 v18, v13, s1, -v17
	v_rndne_f32_e32 v19, v17
	v_fmac_f32_e32 v18, 0x32a5705f, v13
	v_sub_f32_e32 v17, v17, v19
	v_add_f32_e32 v17, v17, v18
	v_exp_f32_e32 v17, v17
	v_cvt_i32_f32_e32 v18, v19
	s_mov_b32 s2, 0x42b17218
	v_cndmask_b32_e32 v16, 0, v16, vcc
	v_mov_b32_e32 v19, 0x7f800000
	v_cmp_nlt_f32_e32 vcc, s2, v12
	v_sub_f32_e32 v14, v14, v26
	v_cndmask_b32_e32 v12, v19, v16, vcc
	v_ldexp_f32 v16, v17, v18
	v_mul_f32_e32 v17, 0x3fb8aa3b, v14
	v_fma_f32 v18, v14, s1, -v17
	v_rndne_f32_e32 v20, v17
	v_fmac_f32_e32 v18, 0x32a5705f, v14
	v_sub_f32_e32 v17, v17, v20
	v_add_f32_e32 v17, v17, v18
	v_exp_f32_e32 v17, v17
	v_cvt_i32_f32_e32 v18, v20
	v_cmp_ngt_f32_e32 vcc, s0, v13
	v_cndmask_b32_e32 v16, 0, v16, vcc
	v_cmp_nlt_f32_e32 vcc, s2, v13
	v_sub_f32_e32 v15, v15, v26
	v_cndmask_b32_e32 v13, v19, v16, vcc
	v_mul_f32_e32 v16, 0x3fb8aa3b, v15
	v_add_f32_e32 v12, v12, v13
	v_ldexp_f32 v13, v17, v18
	v_fma_f32 v17, v15, s1, -v16
	v_rndne_f32_e32 v18, v16
	v_fmac_f32_e32 v17, 0x32a5705f, v15
	v_sub_f32_e32 v16, v16, v18
	v_add_f32_e32 v16, v16, v17
	v_exp_f32_e32 v16, v16
	v_cvt_i32_f32_e32 v17, v18
	v_cmp_ngt_f32_e32 vcc, s0, v14
	v_cndmask_b32_e32 v13, 0, v13, vcc
	v_cmp_nlt_f32_e32 vcc, s2, v14
	v_sub_f32_e32 v8, v8, v26
	v_cndmask_b32_e32 v13, v19, v13, vcc
	v_mul_f32_e32 v14, 0x3fb8aa3b, v8
	v_add_f32_e32 v12, v12, v13
	v_ldexp_f32 v13, v16, v17
	v_fma_f32 v16, v8, s1, -v14
	v_rndne_f32_e32 v17, v14
	v_fmac_f32_e32 v16, 0x32a5705f, v8
	v_sub_f32_e32 v14, v14, v17
	v_add_f32_e32 v14, v14, v16
	v_exp_f32_e32 v14, v14
	v_cvt_i32_f32_e32 v16, v17
	v_cmp_ngt_f32_e32 vcc, s0, v15
	v_cndmask_b32_e32 v13, 0, v13, vcc
	v_cmp_nlt_f32_e32 vcc, s2, v15
	v_cndmask_b32_e32 v13, v19, v13, vcc
	v_sub_f32_e32 v9, v9, v26
	v_add_f32_e32 v12, v12, v13
	v_ldexp_f32 v13, v14, v16
	v_mul_f32_e32 v14, 0x3fb8aa3b, v9
	v_fma_f32 v15, v9, s1, -v14
	v_rndne_f32_e32 v16, v14
	v_fmac_f32_e32 v15, 0x32a5705f, v9
	v_sub_f32_e32 v14, v14, v16
	v_add_f32_e32 v14, v14, v15
	v_exp_f32_e32 v14, v14
	v_cvt_i32_f32_e32 v15, v16
	v_cmp_ngt_f32_e32 vcc, s0, v8
	v_cndmask_b32_e32 v13, 0, v13, vcc
	v_cmp_nlt_f32_e32 vcc, s2, v8
	v_sub_f32_e32 v10, v10, v26
	v_cndmask_b32_e32 v8, v19, v13, vcc
	v_mul_f32_e32 v13, 0x3fb8aa3b, v10
	v_add_f32_e32 v8, v12, v8
	v_ldexp_f32 v12, v14, v15
	v_fma_f32 v14, v10, s1, -v13
	v_rndne_f32_e32 v15, v13
	v_fmac_f32_e32 v14, 0x32a5705f, v10
	v_sub_f32_e32 v13, v13, v15
	v_add_f32_e32 v13, v13, v14
	v_exp_f32_e32 v13, v13
	v_cvt_i32_f32_e32 v14, v15
	v_cmp_ngt_f32_e32 vcc, s0, v9
	v_cndmask_b32_e32 v12, 0, v12, vcc
	v_cmp_nlt_f32_e32 vcc, s2, v9
	v_sub_f32_e32 v11, v11, v26
	v_cndmask_b32_e32 v9, v19, v12, vcc
	v_mul_f32_e32 v12, 0x3fb8aa3b, v11
	v_add_f32_e32 v8, v8, v9
	v_ldexp_f32 v9, v13, v14
	v_fma_f32 v13, v11, s1, -v12
	v_rndne_f32_e32 v14, v12
	v_fmac_f32_e32 v13, 0x32a5705f, v11
	v_sub_f32_e32 v12, v12, v14
	v_add_f32_e32 v12, v12, v13
	v_exp_f32_e32 v12, v12
	v_cvt_i32_f32_e32 v13, v14
	v_cmp_ngt_f32_e32 vcc, s0, v10
	v_cndmask_b32_e32 v9, 0, v9, vcc
	v_cmp_nlt_f32_e32 vcc, s2, v10
	v_sub_f32_e32 v4, v4, v26
	v_cndmask_b32_e32 v9, v19, v9, vcc
	v_mul_f32_e32 v10, 0x3fb8aa3b, v4
	v_add_f32_e32 v8, v8, v9
	v_ldexp_f32 v9, v12, v13
	v_fma_f32 v12, v4, s1, -v10
	v_rndne_f32_e32 v13, v10
	v_fmac_f32_e32 v12, 0x32a5705f, v4
	v_sub_f32_e32 v10, v10, v13
	v_add_f32_e32 v10, v10, v12
	v_exp_f32_e32 v10, v10
	v_cvt_i32_f32_e32 v12, v13
	v_cmp_ngt_f32_e32 vcc, s0, v11
	v_cndmask_b32_e32 v9, 0, v9, vcc
	v_cmp_nlt_f32_e32 vcc, s2, v11
	v_cndmask_b32_e32 v9, v19, v9, vcc
	v_sub_f32_e32 v5, v5, v26
	v_add_f32_e32 v8, v8, v9
	v_ldexp_f32 v9, v10, v12
	v_mul_f32_e32 v10, 0x3fb8aa3b, v5
	v_fma_f32 v11, v5, s1, -v10
	v_rndne_f32_e32 v12, v10
	v_fmac_f32_e32 v11, 0x32a5705f, v5
	v_sub_f32_e32 v10, v10, v12
	v_add_f32_e32 v10, v10, v11
	v_exp_f32_e32 v10, v10
	v_cvt_i32_f32_e32 v11, v12
	v_cmp_ngt_f32_e32 vcc, s0, v4
	v_cndmask_b32_e32 v9, 0, v9, vcc
	v_cmp_nlt_f32_e32 vcc, s2, v4
	v_sub_f32_e32 v6, v6, v26
	v_cndmask_b32_e32 v4, v19, v9, vcc
	v_mul_f32_e32 v9, 0x3fb8aa3b, v6
	v_add_f32_e32 v4, v8, v4
	v_ldexp_f32 v8, v10, v11
	;; [unrolled: 60-line block ×3, first 2 shown]
	v_fma_f32 v6, v2, s1, -v5
	v_rndne_f32_e32 v7, v5
	v_fmac_f32_e32 v6, 0x32a5705f, v2
	v_sub_f32_e32 v5, v5, v7
	v_add_f32_e32 v5, v5, v6
	v_exp_f32_e32 v5, v5
	v_cvt_i32_f32_e32 v6, v7
	v_cmp_ngt_f32_e32 vcc, s0, v1
	v_cndmask_b32_e32 v4, 0, v4, vcc
	v_cmp_nlt_f32_e32 vcc, s2, v1
	v_sub_f32_e32 v3, v3, v26
	v_cndmask_b32_e32 v1, v19, v4, vcc
	v_mul_f32_e32 v4, 0x3fb8aa3b, v3
	v_add_f32_e32 v0, v0, v1
	v_ldexp_f32 v1, v5, v6
	v_fma_f32 v5, v3, s1, -v4
	v_rndne_f32_e32 v6, v4
	v_fmac_f32_e32 v5, 0x32a5705f, v3
	v_sub_f32_e32 v4, v4, v6
	v_add_f32_e32 v4, v4, v5
	v_exp_f32_e32 v4, v4
	v_cvt_i32_f32_e32 v5, v6
	v_cmp_ngt_f32_e32 vcc, s0, v2
	v_cndmask_b32_e32 v1, 0, v1, vcc
	v_cmp_nlt_f32_e32 vcc, s2, v2
	v_cndmask_b32_e32 v1, v19, v1, vcc
	v_add_f32_e32 v0, v0, v1
	v_ldexp_f32 v1, v4, v5
	v_cmp_ngt_f32_e32 vcc, s0, v3
	v_cndmask_b32_e32 v1, 0, v1, vcc
	v_cmp_nlt_f32_e32 vcc, s2, v3
	v_cndmask_b32_e32 v1, v19, v1, vcc
	v_add_f32_e32 v0, v0, v1
	v_cmp_eq_u32_e32 vcc, 0, v23
	s_nop 0
	v_mov_b32_dpp v1, v0 quad_perm:[1,0,3,2] row_mask:0xf bank_mask:0xf
	v_add_f32_e32 v0, v0, v1
	s_nop 1
	v_mov_b32_dpp v1, v0 quad_perm:[2,3,0,1] row_mask:0xf bank_mask:0xf
	v_add_f32_e32 v0, v0, v1
	s_nop 1
	v_mov_b32_dpp v1, v0 row_half_mirror row_mask:0xf bank_mask:0xf
	v_add_f32_e32 v0, v0, v1
	s_nop 1
	v_mov_b32_dpp v1, v0 row_mirror row_mask:0xf bank_mask:0xf
	v_add_f32_e32 v0, v0, v1
	s_nop 1
	v_mov_b32_dpp v1, v0 row_bcast:15 row_mask:0xa bank_mask:0xf
	v_add_f32_e32 v0, v0, v1
	ds_bpermute_b32 v0, v25, v0
	s_and_b64 exec, exec, vcc
	s_cbranch_execz .LBB92_29
; %bb.17:
	s_waitcnt lgkmcnt(0)
	v_add_f32_e32 v0, v24, v0
	v_cmp_neq_f32_e32 vcc, 0, v0
	s_and_b64 exec, exec, vcc
	s_cbranch_execz .LBB92_29
; %bb.18:
	s_andn2_b64 vcc, exec, s[16:17]
	s_cbranch_vccnz .LBB92_29
; %bb.19:
	v_div_scale_f32 v1, s[0:1], v0, v0, 1.0
	v_rcp_f32_e32 v2, v1
	v_div_scale_f32 v3, vcc, 1.0, v0, 1.0
	s_cmp_gt_u32 s8, 3
	v_fma_f32 v4, -v1, v2, 1.0
	v_fmac_f32_e32 v2, v4, v2
	v_mul_f32_e32 v4, v3, v2
	v_fma_f32 v5, -v1, v4, v3
	v_fmac_f32_e32 v4, v5, v2
	v_fma_f32 v1, -v1, v4, v3
	v_div_fmas_f32 v1, v1, v2, v4
	v_mul_lo_u32 v2, v22, s11
	v_div_fixup_f32 v0, v1, v0, 1.0
	v_ashrrev_i32_e32 v3, 31, v2
	s_cbranch_scc0 .LBB92_23
; %bb.20:
	v_lshlrev_b64 v[4:5], 2, v[2:3]
	v_mov_b32_e32 v6, s7
	v_add_co_u32_e32 v4, vcc, s6, v4
	v_addc_co_u32_e32 v5, vcc, v5, v6, vcc
	s_and_b32 s4, s8, 0x7ffffffc
	v_add_co_u32_e32 v4, vcc, 8, v4
	v_mov_b32_e32 v1, v0
	v_addc_co_u32_e32 v5, vcc, 0, v5, vcc
	s_mov_b32 s0, s4
.LBB92_21:                              ; =>This Inner Loop Header: Depth=1
	global_load_dwordx4 v[6:9], v[4:5], off offset:-8
	s_add_i32 s0, s0, -4
	s_cmp_lg_u32 s0, 0
	s_waitcnt vmcnt(0)
	v_pk_mul_f32 v[6:7], v[0:1], v[6:7]
	v_pk_mul_f32 v[8:9], v[0:1], v[8:9]
	global_store_dwordx4 v[4:5], v[6:9], off offset:-8
	v_add_co_u32_e32 v4, vcc, 16, v4
	v_addc_co_u32_e32 v5, vcc, 0, v5, vcc
	s_cbranch_scc1 .LBB92_21
; %bb.22:
	s_cmp_lg_u32 s4, s8
	s_mov_b64 s[2:3], 0
	s_cselect_b64 s[0:1], -1, 0
	s_branch .LBB92_24
.LBB92_23:
	s_mov_b64 s[2:3], -1
	s_mov_b64 s[0:1], 0
                                        ; implicit-def: $sgpr4
.LBB92_24:
	s_and_b64 vcc, exec, s[2:3]
	s_cbranch_vccz .LBB92_26
; %bb.25:
	s_mov_b64 s[0:1], -1
	s_mov_b32 s4, 0
.LBB92_26:
	s_andn2_b64 vcc, exec, s[0:1]
	s_cbranch_vccnz .LBB92_29
; %bb.27:
	v_add_co_u32_e32 v2, vcc, s4, v2
	v_addc_co_u32_e32 v3, vcc, 0, v3, vcc
	v_lshlrev_b64 v[2:3], 2, v[2:3]
	v_mov_b32_e32 v1, s7
	v_add_co_u32_e32 v2, vcc, s6, v2
	s_sub_i32 s0, s8, s4
	v_addc_co_u32_e32 v3, vcc, v1, v3, vcc
.LBB92_28:                              ; =>This Inner Loop Header: Depth=1
	global_load_dword v1, v[2:3], off
	s_add_i32 s0, s0, -1
	s_cmp_lg_u32 s0, 0
	s_waitcnt vmcnt(0)
	v_mul_f32_e32 v1, v0, v1
	global_store_dword v[2:3], v1, off
	v_add_co_u32_e32 v2, vcc, 4, v2
	v_addc_co_u32_e32 v3, vcc, 0, v3, vcc
	s_cbranch_scc1 .LBB92_28
.LBB92_29:
	s_endpgm
	.section	.rodata,"a",@progbits
	.p2align	6, 0x0
	.amdhsa_kernel _ZN4vllm3moe17topkGatingSoftmaxIfLi16ELi512ELi2ELi64ELb0ELi0ELNS0_23SharedExpertScoringFuncE0EEEvPKT_PKbPfiPiS9_iiiiii
		.amdhsa_group_segment_fixed_size 0
		.amdhsa_private_segment_fixed_size 0
		.amdhsa_kernarg_size 72
		.amdhsa_user_sgpr_count 6
		.amdhsa_user_sgpr_private_segment_buffer 1
		.amdhsa_user_sgpr_dispatch_ptr 0
		.amdhsa_user_sgpr_queue_ptr 0
		.amdhsa_user_sgpr_kernarg_segment_ptr 1
		.amdhsa_user_sgpr_dispatch_id 0
		.amdhsa_user_sgpr_flat_scratch_init 0
		.amdhsa_user_sgpr_kernarg_preload_length 0
		.amdhsa_user_sgpr_kernarg_preload_offset 0
		.amdhsa_user_sgpr_private_segment_size 0
		.amdhsa_uses_dynamic_stack 0
		.amdhsa_system_sgpr_private_segment_wavefront_offset 0
		.amdhsa_system_sgpr_workgroup_id_x 1
		.amdhsa_system_sgpr_workgroup_id_y 0
		.amdhsa_system_sgpr_workgroup_id_z 0
		.amdhsa_system_sgpr_workgroup_info 0
		.amdhsa_system_vgpr_workitem_id 1
		.amdhsa_next_free_vgpr 51
		.amdhsa_next_free_sgpr 25
		.amdhsa_accum_offset 52
		.amdhsa_reserve_vcc 1
		.amdhsa_reserve_flat_scratch 0
		.amdhsa_float_round_mode_32 0
		.amdhsa_float_round_mode_16_64 0
		.amdhsa_float_denorm_mode_32 3
		.amdhsa_float_denorm_mode_16_64 3
		.amdhsa_dx10_clamp 1
		.amdhsa_ieee_mode 1
		.amdhsa_fp16_overflow 0
		.amdhsa_tg_split 0
		.amdhsa_exception_fp_ieee_invalid_op 0
		.amdhsa_exception_fp_denorm_src 0
		.amdhsa_exception_fp_ieee_div_zero 0
		.amdhsa_exception_fp_ieee_overflow 0
		.amdhsa_exception_fp_ieee_underflow 0
		.amdhsa_exception_fp_ieee_inexact 0
		.amdhsa_exception_int_div_zero 0
	.end_amdhsa_kernel
	.section	.text._ZN4vllm3moe17topkGatingSoftmaxIfLi16ELi512ELi2ELi64ELb0ELi0ELNS0_23SharedExpertScoringFuncE0EEEvPKT_PKbPfiPiS9_iiiiii,"axG",@progbits,_ZN4vllm3moe17topkGatingSoftmaxIfLi16ELi512ELi2ELi64ELb0ELi0ELNS0_23SharedExpertScoringFuncE0EEEvPKT_PKbPfiPiS9_iiiiii,comdat
.Lfunc_end92:
	.size	_ZN4vllm3moe17topkGatingSoftmaxIfLi16ELi512ELi2ELi64ELb0ELi0ELNS0_23SharedExpertScoringFuncE0EEEvPKT_PKbPfiPiS9_iiiiii, .Lfunc_end92-_ZN4vllm3moe17topkGatingSoftmaxIfLi16ELi512ELi2ELi64ELb0ELi0ELNS0_23SharedExpertScoringFuncE0EEEvPKT_PKbPfiPiS9_iiiiii
                                        ; -- End function
	.section	.AMDGPU.csdata,"",@progbits
; Kernel info:
; codeLenInByte = 4700
; NumSgprs: 29
; NumVgprs: 51
; NumAgprs: 0
; TotalNumVgprs: 51
; ScratchSize: 0
; MemoryBound: 0
; FloatMode: 240
; IeeeMode: 1
; LDSByteSize: 0 bytes/workgroup (compile time only)
; SGPRBlocks: 3
; VGPRBlocks: 6
; NumSGPRsForWavesPerEU: 29
; NumVGPRsForWavesPerEU: 51
; AccumOffset: 52
; Occupancy: 8
; WaveLimiterHint : 0
; COMPUTE_PGM_RSRC2:SCRATCH_EN: 0
; COMPUTE_PGM_RSRC2:USER_SGPR: 6
; COMPUTE_PGM_RSRC2:TRAP_HANDLER: 0
; COMPUTE_PGM_RSRC2:TGID_X_EN: 1
; COMPUTE_PGM_RSRC2:TGID_Y_EN: 0
; COMPUTE_PGM_RSRC2:TGID_Z_EN: 0
; COMPUTE_PGM_RSRC2:TIDIG_COMP_CNT: 1
; COMPUTE_PGM_RSRC3_GFX90A:ACCUM_OFFSET: 12
; COMPUTE_PGM_RSRC3_GFX90A:TG_SPLIT: 0
	.section	.text._ZN4vllm3moe17topkGatingSoftmaxIfLi16ELi512ELi2ELi64ELb1ELi1ELNS0_23SharedExpertScoringFuncE1EEEvPKT_PKbPfiPiS9_iiiiii,"axG",@progbits,_ZN4vllm3moe17topkGatingSoftmaxIfLi16ELi512ELi2ELi64ELb1ELi1ELNS0_23SharedExpertScoringFuncE1EEEvPKT_PKbPfiPiS9_iiiiii,comdat
	.protected	_ZN4vllm3moe17topkGatingSoftmaxIfLi16ELi512ELi2ELi64ELb1ELi1ELNS0_23SharedExpertScoringFuncE1EEEvPKT_PKbPfiPiS9_iiiiii ; -- Begin function _ZN4vllm3moe17topkGatingSoftmaxIfLi16ELi512ELi2ELi64ELb1ELi1ELNS0_23SharedExpertScoringFuncE1EEEvPKT_PKbPfiPiS9_iiiiii
	.globl	_ZN4vllm3moe17topkGatingSoftmaxIfLi16ELi512ELi2ELi64ELb1ELi1ELNS0_23SharedExpertScoringFuncE1EEEvPKT_PKbPfiPiS9_iiiiii
	.p2align	8
	.type	_ZN4vllm3moe17topkGatingSoftmaxIfLi16ELi512ELi2ELi64ELb1ELi1ELNS0_23SharedExpertScoringFuncE1EEEvPKT_PKbPfiPiS9_iiiiii,@function
_ZN4vllm3moe17topkGatingSoftmaxIfLi16ELi512ELi2ELi64ELb1ELi1ELNS0_23SharedExpertScoringFuncE1EEEvPKT_PKbPfiPiS9_iiiiii: ; @_ZN4vllm3moe17topkGatingSoftmaxIfLi16ELi512ELi2ELi64ELb1ELi1ELNS0_23SharedExpertScoringFuncE1EEEvPKT_PKbPfiPiS9_iiiiii
; %bb.0:
	s_load_dword s22, s[4:5], 0x18
	v_bfe_u32 v1, v0, 10, 10
	v_and_b32_e32 v0, 0x3ff, v0
	s_lshl_b32 s23, s6, 2
	v_lshlrev_b32_e32 v41, 1, v1
	v_lshrrev_b32_e32 v42, 5, v0
	v_add3_u32 v22, s23, v41, v42
	s_waitcnt lgkmcnt(0)
	v_cmp_gt_i32_e32 vcc, s22, v22
	s_and_saveexec_b64 s[0:1], vcc
	s_cbranch_execz .LBB93_29
; %bb.1:
	s_load_dwordx4 s[0:3], s[4:5], 0x0
	s_load_dwordx2 s[16:17], s[4:5], 0x10
	s_waitcnt lgkmcnt(0)
	s_cmp_eq_u64 s[2:3], 0
	s_cbranch_scc1 .LBB93_3
; %bb.2:
	v_ashrrev_i32_e32 v1, 31, v22
	v_mov_b32_e32 v3, s3
	v_add_co_u32_e32 v2, vcc, s2, v22
	v_addc_co_u32_e32 v3, vcc, v3, v1, vcc
	global_load_ubyte v1, v[2:3], off
	s_waitcnt vmcnt(0)
	v_and_b32_e32 v1, 1, v1
	v_cmp_eq_u32_e32 vcc, 1, v1
	s_xor_b64 s[2:3], vcc, -1
	s_orn2_b64 s[18:19], s[2:3], exec
	s_branch .LBB93_4
.LBB93_3:
	s_mov_b64 s[18:19], -1
.LBB93_4:
	s_load_dwordx2 s[20:21], s[4:5], 0x40
	s_load_dwordx4 s[8:11], s[4:5], 0x30
	v_mov_b32_e32 v1, s1
	v_and_b32_e32 v23, 31, v0
	v_lshlrev_b32_e32 v0, 6, v23
	s_waitcnt lgkmcnt(0)
	v_mul_lo_u32 v2, v22, s21
	v_ashrrev_i32_e32 v3, 31, v2
	v_lshlrev_b64 v[2:3], 2, v[2:3]
	v_add_co_u32_e32 v16, vcc, s0, v2
	v_addc_co_u32_e32 v17, vcc, v1, v3, vcc
	v_add_co_u32_e32 v18, vcc, v16, v0
	v_addc_co_u32_e32 v19, vcc, 0, v17, vcc
	global_load_dwordx4 v[0:3], v[18:19], off offset:48
	global_load_dwordx4 v[4:7], v[18:19], off offset:32
	;; [unrolled: 1-line block ×3, first 2 shown]
	global_load_dwordx4 v[12:15], v[18:19], off
	v_lshlrev_b32_e32 v25, 4, v23
	v_mov_b32_e32 v24, 0
	v_cmp_eq_u32_e64 s[0:1], 0, v23
	s_and_saveexec_b64 s[2:3], s[0:1]
	s_cbranch_execz .LBB93_6
; %bb.5:
	global_load_dword v18, v[16:17], off offset:2048
	s_mov_b32 s6, 0xbfb8aa3b
	s_mov_b32 s7, 0x42ce8ed0
	;; [unrolled: 1-line block ×3, first 2 shown]
	v_mov_b32_e32 v19, 0x7f800000
	v_mul_lo_u32 v16, v22, s11
	v_add_u32_e32 v16, s8, v16
	v_mov_b32_e32 v26, s17
	s_waitcnt vmcnt(0)
	v_mul_f32_e32 v17, 0xbfb8aa3b, v18
	v_rndne_f32_e32 v20, v17
	v_fma_f32 v21, v18, s6, -v17
	v_sub_f32_e32 v17, v17, v20
	v_fmac_f32_e32 v21, 0xb2a5705f, v18
	v_add_f32_e32 v17, v17, v21
	v_cvt_i32_f32_e32 v20, v20
	v_exp_f32_e32 v21, v17
	v_cmp_nlt_f32_e32 vcc, s7, v18
	v_ashrrev_i32_e32 v17, 31, v16
	v_lshlrev_b64 v[16:17], 2, v[16:17]
	v_ldexp_f32 v20, v21, v20
	v_cndmask_b32_e32 v20, 0, v20, vcc
	v_cmp_ngt_f32_e32 vcc, s12, v18
	v_cndmask_b32_e32 v18, v19, v20, vcc
	v_add_f32_e32 v18, 1.0, v18
	v_div_scale_f32 v19, s[6:7], v18, v18, 1.0
	v_rcp_f32_e32 v20, v19
	v_div_scale_f32 v21, vcc, 1.0, v18, 1.0
	v_fma_f32 v27, -v19, v20, 1.0
	v_fmac_f32_e32 v20, v27, v20
	v_mul_f32_e32 v27, v21, v20
	v_fma_f32 v28, -v19, v27, v21
	v_fmac_f32_e32 v27, v28, v20
	v_fma_f32 v19, -v19, v27, v21
	v_div_fmas_f32 v19, v19, v20, v27
	v_add_co_u32_e32 v16, vcc, s16, v16
	v_div_fixup_f32 v18, v19, v18, 1.0
	v_addc_co_u32_e32 v17, vcc, v26, v17, vcc
	global_store_dword v[16:17], v18, off
.LBB93_6:
	s_or_b64 exec, exec, s[2:3]
	s_waitcnt vmcnt(0)
	v_cmp_lt_f32_e32 vcc, v12, v13
	v_or_b32_e32 v26, 1, v25
	v_cndmask_b32_e32 v17, v12, v13, vcc
	v_cndmask_b32_e32 v16, v25, v26, vcc
	v_cmp_lt_f32_e32 vcc, v17, v14
	v_or_b32_e32 v27, 2, v25
	v_cndmask_b32_e32 v17, v17, v14, vcc
	v_cndmask_b32_e32 v16, v16, v27, vcc
	;; [unrolled: 4-line block ×14, first 2 shown]
	v_or_b32_e32 v40, 15, v25
	v_cmp_lt_f32_e32 vcc, v17, v3
	v_cndmask_b32_e32 v16, v16, v40, vcc
	v_cndmask_b32_e32 v17, v17, v3, vcc
	s_nop 0
	v_mov_b32_dpp v18, v16 quad_perm:[1,0,3,2] row_mask:0xf bank_mask:0xf
	v_mov_b32_dpp v19, v17 quad_perm:[1,0,3,2] row_mask:0xf bank_mask:0xf
	v_cmp_eq_f32_e64 s[2:3], v17, v19
	v_cmp_lt_i32_e64 s[6:7], v18, v16
	v_cmp_lt_f32_e32 vcc, v17, v19
	s_and_b64 s[2:3], s[2:3], s[6:7]
	s_or_b64 vcc, vcc, s[2:3]
	v_cndmask_b32_e32 v17, v17, v19, vcc
	v_cndmask_b32_e32 v16, v16, v18, vcc
	s_nop 0
	v_mov_b32_dpp v19, v17 quad_perm:[2,3,0,1] row_mask:0xf bank_mask:0xf
	v_mov_b32_dpp v18, v16 quad_perm:[2,3,0,1] row_mask:0xf bank_mask:0xf
	v_cmp_eq_f32_e64 s[2:3], v17, v19
	v_cmp_lt_i32_e64 s[6:7], v18, v16
	v_cmp_lt_f32_e32 vcc, v17, v19
	s_and_b64 s[2:3], s[2:3], s[6:7]
	s_or_b64 vcc, vcc, s[2:3]
	v_cndmask_b32_e32 v17, v17, v19, vcc
	v_cndmask_b32_e32 v16, v16, v18, vcc
	s_nop 0
	v_mov_b32_dpp v19, v17 row_half_mirror row_mask:0xf bank_mask:0xf
	v_mov_b32_dpp v18, v16 row_half_mirror row_mask:0xf bank_mask:0xf
	v_cmp_eq_f32_e64 s[2:3], v17, v19
	v_cmp_lt_i32_e64 s[6:7], v18, v16
	v_cmp_lt_f32_e32 vcc, v17, v19
	s_and_b64 s[2:3], s[2:3], s[6:7]
	s_or_b64 vcc, vcc, s[2:3]
	v_cndmask_b32_e32 v17, v17, v19, vcc
	v_cndmask_b32_e32 v16, v16, v18, vcc
	s_nop 0
	v_mov_b32_dpp v19, v17 row_mirror row_mask:0xf bank_mask:0xf
	v_mov_b32_dpp v18, v16 row_mirror row_mask:0xf bank_mask:0xf
	v_cmp_eq_f32_e64 s[2:3], v17, v19
	v_cmp_lt_i32_e64 s[6:7], v18, v16
	v_cmp_lt_f32_e32 vcc, v17, v19
	s_and_b64 s[2:3], s[2:3], s[6:7]
	s_or_b64 vcc, vcc, s[2:3]
	v_cndmask_b32_e32 v17, v17, v19, vcc
	v_cndmask_b32_e32 v16, v16, v18, vcc
	s_nop 0
	v_mov_b32_dpp v19, v17 row_bcast:15 row_mask:0xa bank_mask:0xf
	v_mov_b32_dpp v18, v16 row_bcast:15 row_mask:0xa bank_mask:0xf
	v_cmp_eq_f32_e32 vcc, v17, v19
	v_cmp_lt_i32_e64 s[2:3], v18, v16
	s_and_b64 vcc, vcc, s[2:3]
	v_cmp_lt_f32_e64 s[2:3], v17, v19
	v_cndmask_b32_e32 v20, v17, v19, vcc
	s_or_b64 vcc, s[2:3], vcc
	v_cndmask_b32_e32 v16, v16, v18, vcc
	v_mbcnt_lo_u32_b32 v18, -1, 0
	v_cndmask_b32_e64 v17, v20, v19, s[2:3]
	v_mbcnt_hi_u32_b32 v18, -1, v18
	v_mov_b32_e32 v19, 0x7c
	v_lshl_or_b32 v43, v18, 2, v19
	ds_bpermute_b32 v45, v43, v16
	ds_bpermute_b32 v44, v43, v17
	s_cmp_gt_i32 s8, 0
	s_cselect_b64 s[6:7], -1, 0
	s_and_b64 vcc, exec, s[6:7]
	s_cbranch_vccz .LBB93_18
; %bb.7:
	s_load_dwordx4 s[12:15], s[4:5], 0x20
	v_mul_lo_u32 v20, v22, s11
	v_mul_lo_u32 v18, v22, s20
	;; [unrolled: 1-line block ×3, first 2 shown]
	v_mov_b32_e32 v24, 0
	s_and_saveexec_b64 s[4:5], s[0:1]
	s_cbranch_execz .LBB93_9
; %bb.8:
	s_waitcnt lgkmcnt(0)
	v_sub_f32_e32 v17, v44, v44
	v_mul_f32_e32 v19, 0x3fb8aa3b, v17
	s_mov_b32 s2, 0x3fb8aa3b
	v_rndne_f32_e32 v21, v19
	v_sub_f32_e32 v24, v19, v21
	v_fma_f32 v19, v17, s2, -v19
	v_fmac_f32_e32 v19, 0x32a5705f, v17
	v_add_f32_e32 v19, v24, v19
	v_exp_f32_e32 v19, v19
	v_cvt_i32_f32_e32 v21, v21
	v_cmp_le_i32_e32 vcc, s9, v45
	v_cmp_gt_i32_e64 s[2:3], s10, v45
	s_mov_b32 s20, 0xc2ce8ed0
	s_and_b64 s[2:3], vcc, s[2:3]
	v_ldexp_f32 v19, v19, v21
	v_cmp_ngt_f32_e32 vcc, s20, v17
	s_mov_b32 s20, 0x42b17218
	v_cndmask_b32_e32 v19, 0, v19, vcc
	v_mov_b32_e32 v21, 0x7f800000
	v_cmp_nlt_f32_e32 vcc, s20, v17
	v_cndmask_b32_e32 v24, v21, v19, vcc
	v_ashrrev_i32_e32 v21, 31, v20
	v_lshlrev_b64 v[46:47], 2, v[20:21]
	v_mov_b32_e32 v17, s17
	v_add_co_u32_e32 v46, vcc, s16, v46
	v_addc_co_u32_e32 v47, vcc, v17, v47, vcc
	v_subrev_u32_e32 v17, s9, v45
	v_mov_b32_e32 v19, 0x200
	s_and_b64 vcc, s[18:19], s[2:3]
	v_cndmask_b32_e32 v17, v19, v17, vcc
	v_ashrrev_i32_e32 v19, 31, v18
	global_store_dword v[46:47], v24, off
	v_lshlrev_b64 v[46:47], 2, v[18:19]
	v_mov_b32_e32 v19, s13
	v_add_co_u32_e32 v46, vcc, s12, v46
	v_addc_co_u32_e32 v47, vcc, v19, v47, vcc
	global_store_dword v[46:47], v17, off
	v_ashrrev_i32_e32 v17, 31, v16
	v_lshlrev_b64 v[46:47], 2, v[16:17]
	v_mov_b32_e32 v17, s15
	v_add_co_u32_e32 v46, vcc, s14, v46
	v_addc_co_u32_e32 v47, vcc, v17, v47, vcc
	global_store_dword v[46:47], v22, off
.LBB93_9:
	s_or_b64 exec, exec, s[4:5]
	s_waitcnt lgkmcnt(0)
	v_ashrrev_i32_e32 v19, 31, v45
	v_lshrrev_b32_e32 v17, 28, v19
	v_add_u32_e32 v17, v45, v17
	v_ashrrev_i32_e32 v17, 4, v17
	v_lshrrev_b32_e32 v21, 27, v17
	v_add_u32_e32 v21, v17, v21
	v_and_b32_e32 v21, 0xffffffe0, v21
	v_sub_u32_e32 v21, v17, v21
	v_cmp_eq_u32_e32 vcc, v23, v21
	s_and_saveexec_b64 s[2:3], vcc
	s_cbranch_execz .LBB93_11
; %bb.10:
	v_lshrrev_b32_e32 v19, 23, v19
	v_add_u32_e32 v19, v45, v19
	v_lshlrev_b32_e32 v17, 4, v17
	v_ashrrev_i32_e32 v19, 9, v19
	v_sub_u32_e32 v17, v45, v17
	v_lshl_add_u32 v17, v19, 4, v17
	v_mov_b32_e32 v19, 0xff800000
	v_cmp_ne_u32_e32 vcc, 15, v17
	v_cndmask_b32_e32 v3, v19, v3, vcc
	v_cmp_ne_u32_e32 vcc, 14, v17
	v_cndmask_b32_e32 v2, v19, v2, vcc
	;; [unrolled: 2-line block ×16, first 2 shown]
.LBB93_11:
	s_or_b64 exec, exec, s[2:3]
	s_cmp_eq_u32 s8, 1
	s_cbranch_scc1 .LBB93_18
; %bb.12:
	s_add_i32 s23, s23, s22
	s_add_i32 s20, s8, -1
	v_add3_u32 v41, s23, v42, v41
	v_add_u32_e32 v16, 1, v16
	v_add_u32_e32 v18, 1, v18
	v_add_u32_e32 v20, 1, v20
	s_mov_b32 s21, 0x3fb8aa3b
	s_mov_b32 s23, 0xc2ce8ed0
	;; [unrolled: 1-line block ×3, first 2 shown]
	v_mov_b32_e32 v42, 0x7f800000
	v_mov_b32_e32 v45, 0x200
	;; [unrolled: 1-line block ×3, first 2 shown]
	s_branch .LBB93_14
.LBB93_13:                              ;   in Loop: Header=BB93_14 Depth=1
	s_or_b64 exec, exec, s[2:3]
	s_add_i32 s20, s20, -1
	v_add_u32_e32 v41, s22, v41
	v_add_u32_e32 v16, 1, v16
	;; [unrolled: 1-line block ×3, first 2 shown]
	s_cmp_eq_u32 s20, 0
	v_add_u32_e32 v20, 1, v20
	s_cbranch_scc1 .LBB93_18
.LBB93_14:                              ; =>This Inner Loop Header: Depth=1
	v_cmp_gt_f32_e32 vcc, v13, v12
	v_cndmask_b32_e32 v19, v12, v13, vcc
	v_cndmask_b32_e32 v17, v25, v26, vcc
	v_cmp_gt_f32_e32 vcc, v14, v19
	v_cndmask_b32_e32 v19, v19, v14, vcc
	v_cndmask_b32_e32 v17, v17, v27, vcc
	;; [unrolled: 3-line block ×15, first 2 shown]
	s_nop 0
	v_mov_b32_dpp v21, v17 quad_perm:[1,0,3,2] row_mask:0xf bank_mask:0xf
	v_mov_b32_dpp v47, v19 quad_perm:[1,0,3,2] row_mask:0xf bank_mask:0xf
	v_cmp_eq_f32_e64 s[2:3], v19, v47
	v_cmp_lt_i32_e64 s[4:5], v21, v17
	v_cmp_lt_f32_e32 vcc, v19, v47
	s_and_b64 s[2:3], s[2:3], s[4:5]
	s_or_b64 vcc, vcc, s[2:3]
	v_cndmask_b32_e32 v19, v19, v47, vcc
	v_cndmask_b32_e32 v17, v17, v21, vcc
	s_nop 0
	v_mov_b32_dpp v47, v19 quad_perm:[2,3,0,1] row_mask:0xf bank_mask:0xf
	v_mov_b32_dpp v21, v17 quad_perm:[2,3,0,1] row_mask:0xf bank_mask:0xf
	v_cmp_eq_f32_e64 s[2:3], v19, v47
	v_cmp_lt_i32_e64 s[4:5], v21, v17
	v_cmp_lt_f32_e32 vcc, v19, v47
	s_and_b64 s[2:3], s[2:3], s[4:5]
	s_or_b64 vcc, vcc, s[2:3]
	v_cndmask_b32_e32 v19, v19, v47, vcc
	v_cndmask_b32_e32 v17, v17, v21, vcc
	s_nop 0
	v_mov_b32_dpp v47, v19 row_half_mirror row_mask:0xf bank_mask:0xf
	v_mov_b32_dpp v21, v17 row_half_mirror row_mask:0xf bank_mask:0xf
	v_cmp_eq_f32_e64 s[2:3], v19, v47
	v_cmp_lt_i32_e64 s[4:5], v21, v17
	v_cmp_lt_f32_e32 vcc, v19, v47
	s_and_b64 s[2:3], s[2:3], s[4:5]
	s_or_b64 vcc, vcc, s[2:3]
	v_cndmask_b32_e32 v19, v19, v47, vcc
	v_cndmask_b32_e32 v17, v17, v21, vcc
	s_nop 0
	v_mov_b32_dpp v47, v19 row_mirror row_mask:0xf bank_mask:0xf
	v_mov_b32_dpp v21, v17 row_mirror row_mask:0xf bank_mask:0xf
	v_cmp_eq_f32_e64 s[2:3], v19, v47
	v_cmp_lt_i32_e64 s[4:5], v21, v17
	v_cmp_lt_f32_e32 vcc, v19, v47
	s_and_b64 s[2:3], s[2:3], s[4:5]
	s_or_b64 vcc, vcc, s[2:3]
	v_cndmask_b32_e32 v19, v19, v47, vcc
	v_cndmask_b32_e32 v17, v17, v21, vcc
	s_nop 0
	v_mov_b32_dpp v47, v19 row_bcast:15 row_mask:0xa bank_mask:0xf
	v_mov_b32_dpp v21, v17 row_bcast:15 row_mask:0xa bank_mask:0xf
	v_cmp_eq_f32_e32 vcc, v19, v47
	v_cmp_lt_i32_e64 s[2:3], v21, v17
	s_and_b64 vcc, vcc, s[2:3]
	v_cmp_lt_f32_e64 s[2:3], v19, v47
	v_cndmask_b32_e32 v48, v19, v47, vcc
	s_or_b64 vcc, s[2:3], vcc
	v_cndmask_b32_e64 v19, v48, v47, s[2:3]
	v_cndmask_b32_e32 v17, v17, v21, vcc
	ds_bpermute_b32 v47, v43, v17
	ds_bpermute_b32 v17, v43, v19
	s_and_saveexec_b64 s[4:5], s[0:1]
	s_cbranch_execz .LBB93_16
; %bb.15:                               ;   in Loop: Header=BB93_14 Depth=1
	s_waitcnt lgkmcnt(0)
	v_sub_f32_e32 v17, v17, v44
	v_mul_f32_e32 v19, 0x3fb8aa3b, v17
	v_fma_f32 v21, v17, s21, -v19
	v_rndne_f32_e32 v48, v19
	v_fmac_f32_e32 v21, 0x32a5705f, v17
	v_sub_f32_e32 v19, v19, v48
	v_add_f32_e32 v19, v19, v21
	v_exp_f32_e32 v19, v19
	v_cvt_i32_f32_e32 v21, v48
	v_cmp_le_i32_e32 vcc, s9, v47
	v_cmp_gt_i32_e64 s[2:3], s10, v47
	s_and_b64 s[2:3], vcc, s[2:3]
	v_ldexp_f32 v19, v19, v21
	v_cmp_ngt_f32_e32 vcc, s23, v17
	v_ashrrev_i32_e32 v21, 31, v20
	v_cndmask_b32_e32 v19, 0, v19, vcc
	v_cmp_nlt_f32_e32 vcc, s24, v17
	v_lshlrev_b64 v[48:49], 2, v[20:21]
	v_cndmask_b32_e32 v50, v42, v19, vcc
	v_mov_b32_e32 v17, s17
	v_add_co_u32_e32 v48, vcc, s16, v48
	v_addc_co_u32_e32 v49, vcc, v17, v49, vcc
	v_ashrrev_i32_e32 v19, 31, v18
	global_store_dword v[48:49], v50, off
	v_subrev_u32_e32 v17, s9, v47
	s_and_b64 vcc, s[18:19], s[2:3]
	v_lshlrev_b64 v[48:49], 2, v[18:19]
	v_cndmask_b32_e32 v17, v45, v17, vcc
	v_mov_b32_e32 v19, s13
	v_add_co_u32_e32 v48, vcc, s12, v48
	v_addc_co_u32_e32 v49, vcc, v19, v49, vcc
	global_store_dword v[48:49], v17, off
	v_ashrrev_i32_e32 v17, 31, v16
	v_lshlrev_b64 v[48:49], 2, v[16:17]
	v_mov_b32_e32 v17, s15
	v_add_co_u32_e32 v48, vcc, s14, v48
	v_addc_co_u32_e32 v49, vcc, v17, v49, vcc
	v_add_f32_e32 v24, v24, v50
	global_store_dword v[48:49], v41, off
.LBB93_16:                              ;   in Loop: Header=BB93_14 Depth=1
	s_or_b64 exec, exec, s[4:5]
	s_waitcnt lgkmcnt(1)
	v_ashrrev_i32_e32 v19, 31, v47
	s_waitcnt lgkmcnt(0)
	v_lshrrev_b32_e32 v17, 28, v19
	v_add_u32_e32 v17, v47, v17
	v_ashrrev_i32_e32 v17, 4, v17
	v_lshrrev_b32_e32 v21, 27, v17
	v_add_u32_e32 v21, v17, v21
	v_and_b32_e32 v21, 0xffffffe0, v21
	v_sub_u32_e32 v21, v17, v21
	v_cmp_eq_u32_e32 vcc, v23, v21
	s_and_saveexec_b64 s[2:3], vcc
	s_cbranch_execz .LBB93_13
; %bb.17:                               ;   in Loop: Header=BB93_14 Depth=1
	v_lshrrev_b32_e32 v19, 23, v19
	v_add_u32_e32 v19, v47, v19
	v_lshlrev_b32_e32 v17, 4, v17
	v_ashrrev_i32_e32 v19, 9, v19
	v_sub_u32_e32 v17, v47, v17
	v_lshl_add_u32 v17, v19, 4, v17
	v_cmp_ne_u32_e32 vcc, 15, v17
	v_cndmask_b32_e32 v3, v46, v3, vcc
	v_cmp_ne_u32_e32 vcc, 14, v17
	v_cndmask_b32_e32 v2, v46, v2, vcc
	v_cmp_ne_u32_e32 vcc, 13, v17
	v_cndmask_b32_e32 v1, v46, v1, vcc
	v_cmp_ne_u32_e32 vcc, 12, v17
	v_cndmask_b32_e32 v0, v46, v0, vcc
	v_cmp_ne_u32_e32 vcc, 11, v17
	v_cndmask_b32_e32 v7, v46, v7, vcc
	v_cmp_ne_u32_e32 vcc, 10, v17
	v_cndmask_b32_e32 v6, v46, v6, vcc
	v_cmp_ne_u32_e32 vcc, 9, v17
	v_cndmask_b32_e32 v5, v46, v5, vcc
	v_cmp_ne_u32_e32 vcc, 8, v17
	v_cndmask_b32_e32 v4, v46, v4, vcc
	v_cmp_ne_u32_e32 vcc, 7, v17
	v_cndmask_b32_e32 v11, v46, v11, vcc
	v_cmp_ne_u32_e32 vcc, 6, v17
	v_cndmask_b32_e32 v10, v46, v10, vcc
	v_cmp_ne_u32_e32 vcc, 5, v17
	v_cndmask_b32_e32 v9, v46, v9, vcc
	v_cmp_ne_u32_e32 vcc, 4, v17
	v_cndmask_b32_e32 v8, v46, v8, vcc
	v_cmp_ne_u32_e32 vcc, 3, v17
	v_cndmask_b32_e32 v15, v46, v15, vcc
	v_cmp_ne_u32_e32 vcc, 2, v17
	v_cndmask_b32_e32 v14, v46, v14, vcc
	v_cmp_ne_u32_e32 vcc, 1, v17
	v_cndmask_b32_e32 v13, v46, v13, vcc
	v_cmp_ne_u32_e32 vcc, 0, v17
	v_cndmask_b32_e32 v12, v46, v12, vcc
	s_branch .LBB93_13
.LBB93_18:
	v_cmp_neq_f32_e32 vcc, 0, v24
	s_and_b64 s[0:1], s[0:1], vcc
	s_and_b64 exec, exec, s[0:1]
	s_cbranch_execz .LBB93_29
; %bb.19:
	s_andn2_b64 vcc, exec, s[6:7]
	s_cbranch_vccnz .LBB93_29
; %bb.20:
	v_div_scale_f32 v0, s[0:1], v24, v24, 1.0
	v_rcp_f32_e32 v1, v0
	v_div_scale_f32 v2, vcc, 1.0, v24, 1.0
	s_cmp_gt_u32 s8, 3
	v_fma_f32 v3, -v0, v1, 1.0
	v_fmac_f32_e32 v1, v3, v1
	v_mul_f32_e32 v3, v2, v1
	v_fma_f32 v4, -v0, v3, v2
	v_fmac_f32_e32 v3, v4, v1
	v_fma_f32 v0, -v0, v3, v2
	v_div_fmas_f32 v0, v0, v1, v3
	v_mul_lo_u32 v2, v22, s11
	v_div_fixup_f32 v0, v0, v24, 1.0
	v_ashrrev_i32_e32 v3, 31, v2
	s_cbranch_scc0 .LBB93_24
; %bb.21:
	v_lshlrev_b64 v[4:5], 2, v[2:3]
	v_mov_b32_e32 v6, s17
	v_add_co_u32_e32 v4, vcc, s16, v4
	v_addc_co_u32_e32 v5, vcc, v5, v6, vcc
	s_and_b32 s4, s8, 0x7ffffffc
	v_add_co_u32_e32 v4, vcc, 8, v4
	v_mov_b32_e32 v1, v0
	v_addc_co_u32_e32 v5, vcc, 0, v5, vcc
	s_mov_b32 s0, s4
.LBB93_22:                              ; =>This Inner Loop Header: Depth=1
	global_load_dwordx4 v[6:9], v[4:5], off offset:-8
	s_add_i32 s0, s0, -4
	s_cmp_lg_u32 s0, 0
	s_waitcnt vmcnt(0)
	v_pk_mul_f32 v[6:7], v[0:1], v[6:7]
	v_pk_mul_f32 v[8:9], v[0:1], v[8:9]
	global_store_dwordx4 v[4:5], v[6:9], off offset:-8
	v_add_co_u32_e32 v4, vcc, 16, v4
	v_addc_co_u32_e32 v5, vcc, 0, v5, vcc
	s_cbranch_scc1 .LBB93_22
; %bb.23:
	s_cmp_lg_u32 s4, s8
	s_cselect_b64 s[0:1], -1, 0
	s_branch .LBB93_26
.LBB93_24:
	s_mov_b64 s[0:1], 0
                                        ; implicit-def: $sgpr4
	s_cbranch_execz .LBB93_26
; %bb.25:
	s_mov_b64 s[0:1], -1
	s_mov_b32 s4, 0
.LBB93_26:
	s_andn2_b64 vcc, exec, s[0:1]
	s_cbranch_vccnz .LBB93_29
; %bb.27:
	v_add_co_u32_e32 v2, vcc, s4, v2
	v_addc_co_u32_e32 v3, vcc, 0, v3, vcc
	v_lshlrev_b64 v[2:3], 2, v[2:3]
	v_mov_b32_e32 v1, s17
	v_add_co_u32_e32 v2, vcc, s16, v2
	s_sub_i32 s0, s8, s4
	v_addc_co_u32_e32 v3, vcc, v1, v3, vcc
.LBB93_28:                              ; =>This Inner Loop Header: Depth=1
	global_load_dword v1, v[2:3], off
	s_add_i32 s0, s0, -1
	s_cmp_lg_u32 s0, 0
	s_waitcnt vmcnt(0)
	v_mul_f32_e32 v1, v0, v1
	global_store_dword v[2:3], v1, off
	v_add_co_u32_e32 v2, vcc, 4, v2
	v_addc_co_u32_e32 v3, vcc, 0, v3, vcc
	s_cbranch_scc1 .LBB93_28
.LBB93_29:
	s_endpgm
	.section	.rodata,"a",@progbits
	.p2align	6, 0x0
	.amdhsa_kernel _ZN4vllm3moe17topkGatingSoftmaxIfLi16ELi512ELi2ELi64ELb1ELi1ELNS0_23SharedExpertScoringFuncE1EEEvPKT_PKbPfiPiS9_iiiiii
		.amdhsa_group_segment_fixed_size 0
		.amdhsa_private_segment_fixed_size 0
		.amdhsa_kernarg_size 72
		.amdhsa_user_sgpr_count 6
		.amdhsa_user_sgpr_private_segment_buffer 1
		.amdhsa_user_sgpr_dispatch_ptr 0
		.amdhsa_user_sgpr_queue_ptr 0
		.amdhsa_user_sgpr_kernarg_segment_ptr 1
		.amdhsa_user_sgpr_dispatch_id 0
		.amdhsa_user_sgpr_flat_scratch_init 0
		.amdhsa_user_sgpr_kernarg_preload_length 0
		.amdhsa_user_sgpr_kernarg_preload_offset 0
		.amdhsa_user_sgpr_private_segment_size 0
		.amdhsa_uses_dynamic_stack 0
		.amdhsa_system_sgpr_private_segment_wavefront_offset 0
		.amdhsa_system_sgpr_workgroup_id_x 1
		.amdhsa_system_sgpr_workgroup_id_y 0
		.amdhsa_system_sgpr_workgroup_id_z 0
		.amdhsa_system_sgpr_workgroup_info 0
		.amdhsa_system_vgpr_workitem_id 1
		.amdhsa_next_free_vgpr 51
		.amdhsa_next_free_sgpr 25
		.amdhsa_accum_offset 52
		.amdhsa_reserve_vcc 1
		.amdhsa_reserve_flat_scratch 0
		.amdhsa_float_round_mode_32 0
		.amdhsa_float_round_mode_16_64 0
		.amdhsa_float_denorm_mode_32 3
		.amdhsa_float_denorm_mode_16_64 3
		.amdhsa_dx10_clamp 1
		.amdhsa_ieee_mode 1
		.amdhsa_fp16_overflow 0
		.amdhsa_tg_split 0
		.amdhsa_exception_fp_ieee_invalid_op 0
		.amdhsa_exception_fp_denorm_src 0
		.amdhsa_exception_fp_ieee_div_zero 0
		.amdhsa_exception_fp_ieee_overflow 0
		.amdhsa_exception_fp_ieee_underflow 0
		.amdhsa_exception_fp_ieee_inexact 0
		.amdhsa_exception_int_div_zero 0
	.end_amdhsa_kernel
	.section	.text._ZN4vllm3moe17topkGatingSoftmaxIfLi16ELi512ELi2ELi64ELb1ELi1ELNS0_23SharedExpertScoringFuncE1EEEvPKT_PKbPfiPiS9_iiiiii,"axG",@progbits,_ZN4vllm3moe17topkGatingSoftmaxIfLi16ELi512ELi2ELi64ELb1ELi1ELNS0_23SharedExpertScoringFuncE1EEEvPKT_PKbPfiPiS9_iiiiii,comdat
.Lfunc_end93:
	.size	_ZN4vllm3moe17topkGatingSoftmaxIfLi16ELi512ELi2ELi64ELb1ELi1ELNS0_23SharedExpertScoringFuncE1EEEvPKT_PKbPfiPiS9_iiiiii, .Lfunc_end93-_ZN4vllm3moe17topkGatingSoftmaxIfLi16ELi512ELi2ELi64ELb1ELi1ELNS0_23SharedExpertScoringFuncE1EEEvPKT_PKbPfiPiS9_iiiiii
                                        ; -- End function
	.section	.AMDGPU.csdata,"",@progbits
; Kernel info:
; codeLenInByte = 2972
; NumSgprs: 29
; NumVgprs: 51
; NumAgprs: 0
; TotalNumVgprs: 51
; ScratchSize: 0
; MemoryBound: 0
; FloatMode: 240
; IeeeMode: 1
; LDSByteSize: 0 bytes/workgroup (compile time only)
; SGPRBlocks: 3
; VGPRBlocks: 6
; NumSGPRsForWavesPerEU: 29
; NumVGPRsForWavesPerEU: 51
; AccumOffset: 52
; Occupancy: 8
; WaveLimiterHint : 0
; COMPUTE_PGM_RSRC2:SCRATCH_EN: 0
; COMPUTE_PGM_RSRC2:USER_SGPR: 6
; COMPUTE_PGM_RSRC2:TRAP_HANDLER: 0
; COMPUTE_PGM_RSRC2:TGID_X_EN: 1
; COMPUTE_PGM_RSRC2:TGID_Y_EN: 0
; COMPUTE_PGM_RSRC2:TGID_Z_EN: 0
; COMPUTE_PGM_RSRC2:TIDIG_COMP_CNT: 1
; COMPUTE_PGM_RSRC3_GFX90A:ACCUM_OFFSET: 12
; COMPUTE_PGM_RSRC3_GFX90A:TG_SPLIT: 0
	.section	.text._ZN4vllm3moe17topkGatingSoftmaxIfLi16ELi512ELi2ELi64ELb0ELi1ELNS0_23SharedExpertScoringFuncE1EEEvPKT_PKbPfiPiS9_iiiiii,"axG",@progbits,_ZN4vllm3moe17topkGatingSoftmaxIfLi16ELi512ELi2ELi64ELb0ELi1ELNS0_23SharedExpertScoringFuncE1EEEvPKT_PKbPfiPiS9_iiiiii,comdat
	.protected	_ZN4vllm3moe17topkGatingSoftmaxIfLi16ELi512ELi2ELi64ELb0ELi1ELNS0_23SharedExpertScoringFuncE1EEEvPKT_PKbPfiPiS9_iiiiii ; -- Begin function _ZN4vllm3moe17topkGatingSoftmaxIfLi16ELi512ELi2ELi64ELb0ELi1ELNS0_23SharedExpertScoringFuncE1EEEvPKT_PKbPfiPiS9_iiiiii
	.globl	_ZN4vllm3moe17topkGatingSoftmaxIfLi16ELi512ELi2ELi64ELb0ELi1ELNS0_23SharedExpertScoringFuncE1EEEvPKT_PKbPfiPiS9_iiiiii
	.p2align	8
	.type	_ZN4vllm3moe17topkGatingSoftmaxIfLi16ELi512ELi2ELi64ELb0ELi1ELNS0_23SharedExpertScoringFuncE1EEEvPKT_PKbPfiPiS9_iiiiii,@function
_ZN4vllm3moe17topkGatingSoftmaxIfLi16ELi512ELi2ELi64ELb0ELi1ELNS0_23SharedExpertScoringFuncE1EEEvPKT_PKbPfiPiS9_iiiiii: ; @_ZN4vllm3moe17topkGatingSoftmaxIfLi16ELi512ELi2ELi64ELb0ELi1ELNS0_23SharedExpertScoringFuncE1EEEvPKT_PKbPfiPiS9_iiiiii
; %bb.0:
	s_load_dword s22, s[4:5], 0x18
	v_bfe_u32 v1, v0, 10, 10
	v_and_b32_e32 v0, 0x3ff, v0
	s_lshl_b32 s23, s6, 2
	v_lshlrev_b32_e32 v43, 1, v1
	v_lshrrev_b32_e32 v44, 5, v0
	v_add3_u32 v22, s23, v43, v44
	s_waitcnt lgkmcnt(0)
	v_cmp_gt_i32_e32 vcc, s22, v22
	s_and_saveexec_b64 s[0:1], vcc
	s_cbranch_execz .LBB94_31
; %bb.1:
	s_load_dwordx4 s[0:3], s[4:5], 0x0
	s_load_dwordx2 s[16:17], s[4:5], 0x10
	s_waitcnt lgkmcnt(0)
	s_cmp_eq_u64 s[2:3], 0
	s_cbranch_scc1 .LBB94_3
; %bb.2:
	v_ashrrev_i32_e32 v1, 31, v22
	v_mov_b32_e32 v3, s3
	v_add_co_u32_e32 v2, vcc, s2, v22
	v_addc_co_u32_e32 v3, vcc, v3, v1, vcc
	global_load_ubyte v1, v[2:3], off
	s_waitcnt vmcnt(0)
	v_and_b32_e32 v1, 1, v1
	v_cmp_eq_u32_e32 vcc, 1, v1
	s_xor_b64 s[2:3], vcc, -1
	s_orn2_b64 s[18:19], s[2:3], exec
	s_branch .LBB94_4
.LBB94_3:
	s_mov_b64 s[18:19], -1
.LBB94_4:
	s_load_dwordx2 s[20:21], s[4:5], 0x40
	s_load_dwordx4 s[8:11], s[4:5], 0x30
	v_mov_b32_e32 v1, s1
	v_and_b32_e32 v26, 31, v0
	v_lshlrev_b32_e32 v0, 6, v26
	s_waitcnt lgkmcnt(0)
	v_mul_lo_u32 v2, v22, s21
	v_ashrrev_i32_e32 v3, 31, v2
	v_lshlrev_b64 v[2:3], 2, v[2:3]
	v_add_co_u32_e32 v16, vcc, s0, v2
	v_addc_co_u32_e32 v17, vcc, v1, v3, vcc
	v_add_co_u32_e32 v18, vcc, v16, v0
	v_addc_co_u32_e32 v19, vcc, 0, v17, vcc
	global_load_dwordx4 v[0:3], v[18:19], off offset:48
	global_load_dwordx4 v[4:7], v[18:19], off offset:32
	;; [unrolled: 1-line block ×3, first 2 shown]
	global_load_dwordx4 v[12:15], v[18:19], off
	v_lshlrev_b32_e32 v27, 4, v26
	v_mov_b32_e32 v23, 0
	v_cmp_eq_u32_e64 s[0:1], 0, v26
	s_and_saveexec_b64 s[2:3], s[0:1]
	s_cbranch_execz .LBB94_6
; %bb.5:
	global_load_dword v18, v[16:17], off offset:2048
	s_mov_b32 s6, 0xbfb8aa3b
	s_mov_b32 s7, 0x42ce8ed0
	;; [unrolled: 1-line block ×3, first 2 shown]
	v_mov_b32_e32 v19, 0x7f800000
	v_mul_lo_u32 v16, v22, s11
	v_add_u32_e32 v16, s8, v16
	v_mov_b32_e32 v24, s17
	s_waitcnt vmcnt(0)
	v_mul_f32_e32 v17, 0xbfb8aa3b, v18
	v_rndne_f32_e32 v20, v17
	v_fma_f32 v21, v18, s6, -v17
	v_sub_f32_e32 v17, v17, v20
	v_fmac_f32_e32 v21, 0xb2a5705f, v18
	v_add_f32_e32 v17, v17, v21
	v_cvt_i32_f32_e32 v20, v20
	v_exp_f32_e32 v21, v17
	v_cmp_nlt_f32_e32 vcc, s7, v18
	v_ashrrev_i32_e32 v17, 31, v16
	v_lshlrev_b64 v[16:17], 2, v[16:17]
	v_ldexp_f32 v20, v21, v20
	v_cndmask_b32_e32 v20, 0, v20, vcc
	v_cmp_ngt_f32_e32 vcc, s12, v18
	v_cndmask_b32_e32 v18, v19, v20, vcc
	v_add_f32_e32 v18, 1.0, v18
	v_div_scale_f32 v19, s[6:7], v18, v18, 1.0
	v_rcp_f32_e32 v20, v19
	v_div_scale_f32 v21, vcc, 1.0, v18, 1.0
	v_fma_f32 v25, -v19, v20, 1.0
	v_fmac_f32_e32 v20, v25, v20
	v_mul_f32_e32 v25, v21, v20
	v_fma_f32 v28, -v19, v25, v21
	v_fmac_f32_e32 v25, v28, v20
	v_fma_f32 v19, -v19, v25, v21
	v_div_fmas_f32 v19, v19, v20, v25
	v_add_co_u32_e32 v16, vcc, s16, v16
	v_div_fixup_f32 v18, v19, v18, 1.0
	v_addc_co_u32_e32 v17, vcc, v24, v17, vcc
	global_store_dword v[16:17], v18, off
.LBB94_6:
	s_or_b64 exec, exec, s[2:3]
	s_waitcnt vmcnt(0)
	v_cmp_lt_f32_e32 vcc, v12, v13
	v_or_b32_e32 v28, 1, v27
	v_cndmask_b32_e32 v17, v12, v13, vcc
	v_cndmask_b32_e32 v16, v27, v28, vcc
	v_cmp_lt_f32_e32 vcc, v17, v14
	v_or_b32_e32 v29, 2, v27
	v_cndmask_b32_e32 v17, v17, v14, vcc
	v_cndmask_b32_e32 v16, v16, v29, vcc
	;; [unrolled: 4-line block ×14, first 2 shown]
	v_or_b32_e32 v42, 15, v27
	v_cmp_lt_f32_e32 vcc, v17, v3
	v_cndmask_b32_e32 v16, v16, v42, vcc
	v_cndmask_b32_e32 v17, v17, v3, vcc
	s_nop 0
	v_mov_b32_dpp v18, v16 quad_perm:[1,0,3,2] row_mask:0xf bank_mask:0xf
	v_mov_b32_dpp v19, v17 quad_perm:[1,0,3,2] row_mask:0xf bank_mask:0xf
	v_cmp_eq_f32_e64 s[2:3], v17, v19
	v_cmp_lt_i32_e64 s[6:7], v18, v16
	v_cmp_lt_f32_e32 vcc, v17, v19
	s_and_b64 s[2:3], s[2:3], s[6:7]
	s_or_b64 vcc, vcc, s[2:3]
	v_cndmask_b32_e32 v17, v17, v19, vcc
	v_cndmask_b32_e32 v16, v16, v18, vcc
	s_nop 0
	v_mov_b32_dpp v19, v17 quad_perm:[2,3,0,1] row_mask:0xf bank_mask:0xf
	v_mov_b32_dpp v18, v16 quad_perm:[2,3,0,1] row_mask:0xf bank_mask:0xf
	v_cmp_eq_f32_e64 s[2:3], v17, v19
	v_cmp_lt_i32_e64 s[6:7], v18, v16
	v_cmp_lt_f32_e32 vcc, v17, v19
	s_and_b64 s[2:3], s[2:3], s[6:7]
	s_or_b64 vcc, vcc, s[2:3]
	v_cndmask_b32_e32 v17, v17, v19, vcc
	v_cndmask_b32_e32 v16, v16, v18, vcc
	s_nop 0
	v_mov_b32_dpp v19, v17 row_half_mirror row_mask:0xf bank_mask:0xf
	v_mov_b32_dpp v18, v16 row_half_mirror row_mask:0xf bank_mask:0xf
	v_cmp_eq_f32_e64 s[2:3], v17, v19
	v_cmp_lt_i32_e64 s[6:7], v18, v16
	v_cmp_lt_f32_e32 vcc, v17, v19
	s_and_b64 s[2:3], s[2:3], s[6:7]
	s_or_b64 vcc, vcc, s[2:3]
	v_cndmask_b32_e32 v17, v17, v19, vcc
	v_cndmask_b32_e32 v16, v16, v18, vcc
	s_nop 0
	v_mov_b32_dpp v19, v17 row_mirror row_mask:0xf bank_mask:0xf
	v_mov_b32_dpp v18, v16 row_mirror row_mask:0xf bank_mask:0xf
	v_cmp_eq_f32_e64 s[2:3], v17, v19
	v_cmp_lt_i32_e64 s[6:7], v18, v16
	v_cmp_lt_f32_e32 vcc, v17, v19
	s_and_b64 s[2:3], s[2:3], s[6:7]
	s_or_b64 vcc, vcc, s[2:3]
	v_cndmask_b32_e32 v17, v17, v19, vcc
	v_cndmask_b32_e32 v16, v16, v18, vcc
	s_nop 0
	v_mov_b32_dpp v19, v17 row_bcast:15 row_mask:0xa bank_mask:0xf
	v_mov_b32_dpp v18, v16 row_bcast:15 row_mask:0xa bank_mask:0xf
	v_cmp_eq_f32_e32 vcc, v17, v19
	v_cmp_lt_i32_e64 s[2:3], v18, v16
	s_and_b64 vcc, vcc, s[2:3]
	v_cmp_lt_f32_e64 s[2:3], v17, v19
	v_cndmask_b32_e32 v20, v17, v19, vcc
	s_or_b64 vcc, s[2:3], vcc
	v_cndmask_b32_e32 v16, v16, v18, vcc
	v_mbcnt_lo_u32_b32 v18, -1, 0
	v_cndmask_b32_e64 v17, v20, v19, s[2:3]
	v_mbcnt_hi_u32_b32 v18, -1, v18
	v_mov_b32_e32 v19, 0x7c
	v_lshl_or_b32 v24, v18, 2, v19
	ds_bpermute_b32 v45, v24, v16
	ds_bpermute_b32 v25, v24, v17
	s_cmp_gt_i32 s8, 0
	s_cselect_b64 s[6:7], -1, 0
	s_and_b64 vcc, exec, s[6:7]
	s_cbranch_vccz .LBB94_18
; %bb.7:
	s_load_dwordx4 s[12:15], s[4:5], 0x20
	v_mul_lo_u32 v20, v22, s11
	v_mul_lo_u32 v18, v22, s20
	;; [unrolled: 1-line block ×3, first 2 shown]
	v_mov_b32_e32 v23, 0
	s_and_saveexec_b64 s[4:5], s[0:1]
	s_cbranch_execz .LBB94_9
; %bb.8:
	s_waitcnt lgkmcnt(0)
	v_sub_f32_e32 v17, v25, v25
	v_mul_f32_e32 v19, 0x3fb8aa3b, v17
	s_mov_b32 s2, 0x3fb8aa3b
	v_rndne_f32_e32 v21, v19
	v_sub_f32_e32 v23, v19, v21
	v_fma_f32 v19, v17, s2, -v19
	v_fmac_f32_e32 v19, 0x32a5705f, v17
	v_add_f32_e32 v19, v23, v19
	v_exp_f32_e32 v19, v19
	v_cvt_i32_f32_e32 v21, v21
	v_cmp_le_i32_e32 vcc, s9, v45
	v_cmp_gt_i32_e64 s[2:3], s10, v45
	s_mov_b32 s20, 0xc2ce8ed0
	s_and_b64 s[2:3], vcc, s[2:3]
	v_ldexp_f32 v19, v19, v21
	v_cmp_ngt_f32_e32 vcc, s20, v17
	s_mov_b32 s20, 0x42b17218
	v_cndmask_b32_e32 v19, 0, v19, vcc
	v_mov_b32_e32 v21, 0x7f800000
	v_cmp_nlt_f32_e32 vcc, s20, v17
	v_cndmask_b32_e32 v23, v21, v19, vcc
	v_ashrrev_i32_e32 v21, 31, v20
	v_lshlrev_b64 v[46:47], 2, v[20:21]
	v_mov_b32_e32 v17, s17
	v_add_co_u32_e32 v46, vcc, s16, v46
	v_addc_co_u32_e32 v47, vcc, v17, v47, vcc
	v_subrev_u32_e32 v17, s9, v45
	v_mov_b32_e32 v19, 0x200
	s_and_b64 vcc, s[18:19], s[2:3]
	v_cndmask_b32_e32 v17, v19, v17, vcc
	v_ashrrev_i32_e32 v19, 31, v18
	global_store_dword v[46:47], v23, off
	v_lshlrev_b64 v[46:47], 2, v[18:19]
	v_mov_b32_e32 v19, s13
	v_add_co_u32_e32 v46, vcc, s12, v46
	v_addc_co_u32_e32 v47, vcc, v19, v47, vcc
	global_store_dword v[46:47], v17, off
	v_ashrrev_i32_e32 v17, 31, v16
	v_lshlrev_b64 v[46:47], 2, v[16:17]
	v_mov_b32_e32 v17, s15
	v_add_co_u32_e32 v46, vcc, s14, v46
	v_addc_co_u32_e32 v47, vcc, v17, v47, vcc
	global_store_dword v[46:47], v22, off
.LBB94_9:
	s_or_b64 exec, exec, s[4:5]
	s_waitcnt lgkmcnt(0)
	v_ashrrev_i32_e32 v19, 31, v45
	v_lshrrev_b32_e32 v17, 28, v19
	v_add_u32_e32 v17, v45, v17
	v_ashrrev_i32_e32 v17, 4, v17
	v_lshrrev_b32_e32 v21, 27, v17
	v_add_u32_e32 v21, v17, v21
	v_and_b32_e32 v21, 0xffffffe0, v21
	v_sub_u32_e32 v21, v17, v21
	v_cmp_eq_u32_e32 vcc, v26, v21
	s_and_saveexec_b64 s[2:3], vcc
	s_cbranch_execz .LBB94_11
; %bb.10:
	v_lshrrev_b32_e32 v19, 23, v19
	v_add_u32_e32 v19, v45, v19
	v_lshlrev_b32_e32 v17, 4, v17
	v_ashrrev_i32_e32 v19, 9, v19
	v_sub_u32_e32 v17, v45, v17
	v_lshl_add_u32 v17, v19, 4, v17
	v_mov_b32_e32 v19, 0xff800000
	v_cmp_ne_u32_e32 vcc, 15, v17
	v_cndmask_b32_e32 v3, v19, v3, vcc
	v_cmp_ne_u32_e32 vcc, 14, v17
	v_cndmask_b32_e32 v2, v19, v2, vcc
	v_cmp_ne_u32_e32 vcc, 13, v17
	v_cndmask_b32_e32 v1, v19, v1, vcc
	v_cmp_ne_u32_e32 vcc, 12, v17
	v_cndmask_b32_e32 v0, v19, v0, vcc
	v_cmp_ne_u32_e32 vcc, 11, v17
	v_cndmask_b32_e32 v7, v19, v7, vcc
	v_cmp_ne_u32_e32 vcc, 10, v17
	v_cndmask_b32_e32 v6, v19, v6, vcc
	v_cmp_ne_u32_e32 vcc, 9, v17
	v_cndmask_b32_e32 v5, v19, v5, vcc
	v_cmp_ne_u32_e32 vcc, 8, v17
	v_cndmask_b32_e32 v4, v19, v4, vcc
	v_cmp_ne_u32_e32 vcc, 7, v17
	v_cndmask_b32_e32 v11, v19, v11, vcc
	v_cmp_ne_u32_e32 vcc, 6, v17
	v_cndmask_b32_e32 v10, v19, v10, vcc
	v_cmp_ne_u32_e32 vcc, 5, v17
	v_cndmask_b32_e32 v9, v19, v9, vcc
	v_cmp_ne_u32_e32 vcc, 4, v17
	v_cndmask_b32_e32 v8, v19, v8, vcc
	v_cmp_ne_u32_e32 vcc, 3, v17
	v_cndmask_b32_e32 v15, v19, v15, vcc
	v_cmp_ne_u32_e32 vcc, 2, v17
	v_cndmask_b32_e32 v14, v19, v14, vcc
	v_cmp_ne_u32_e32 vcc, 1, v17
	v_cndmask_b32_e32 v13, v19, v13, vcc
	v_cmp_ne_u32_e32 vcc, 0, v17
	v_cndmask_b32_e32 v12, v19, v12, vcc
.LBB94_11:
	s_or_b64 exec, exec, s[2:3]
	s_cmp_eq_u32 s8, 1
	s_cbranch_scc1 .LBB94_18
; %bb.12:
	s_add_i32 s23, s23, s22
	s_add_i32 s20, s8, -1
	v_add3_u32 v43, s23, v44, v43
	v_add_u32_e32 v16, 1, v16
	v_add_u32_e32 v18, 1, v18
	;; [unrolled: 1-line block ×3, first 2 shown]
	s_mov_b32 s21, 0x3fb8aa3b
	s_mov_b32 s23, 0xc2ce8ed0
	;; [unrolled: 1-line block ×3, first 2 shown]
	v_mov_b32_e32 v44, 0x7f800000
	v_mov_b32_e32 v45, 0x200
	v_mov_b32_e32 v46, 0xff800000
	s_branch .LBB94_14
.LBB94_13:                              ;   in Loop: Header=BB94_14 Depth=1
	s_or_b64 exec, exec, s[2:3]
	s_add_i32 s20, s20, -1
	v_add_u32_e32 v43, s22, v43
	v_add_u32_e32 v16, 1, v16
	;; [unrolled: 1-line block ×3, first 2 shown]
	s_cmp_eq_u32 s20, 0
	v_add_u32_e32 v20, 1, v20
	s_cbranch_scc1 .LBB94_18
.LBB94_14:                              ; =>This Inner Loop Header: Depth=1
	v_cmp_gt_f32_e32 vcc, v13, v12
	v_cndmask_b32_e32 v19, v12, v13, vcc
	v_cndmask_b32_e32 v17, v27, v28, vcc
	v_cmp_gt_f32_e32 vcc, v14, v19
	v_cndmask_b32_e32 v19, v19, v14, vcc
	v_cndmask_b32_e32 v17, v17, v29, vcc
	;; [unrolled: 3-line block ×15, first 2 shown]
	s_nop 0
	v_mov_b32_dpp v21, v17 quad_perm:[1,0,3,2] row_mask:0xf bank_mask:0xf
	v_mov_b32_dpp v47, v19 quad_perm:[1,0,3,2] row_mask:0xf bank_mask:0xf
	v_cmp_eq_f32_e64 s[2:3], v19, v47
	v_cmp_lt_i32_e64 s[4:5], v21, v17
	v_cmp_lt_f32_e32 vcc, v19, v47
	s_and_b64 s[2:3], s[2:3], s[4:5]
	s_or_b64 vcc, vcc, s[2:3]
	v_cndmask_b32_e32 v19, v19, v47, vcc
	v_cndmask_b32_e32 v17, v17, v21, vcc
	s_nop 0
	v_mov_b32_dpp v47, v19 quad_perm:[2,3,0,1] row_mask:0xf bank_mask:0xf
	v_mov_b32_dpp v21, v17 quad_perm:[2,3,0,1] row_mask:0xf bank_mask:0xf
	v_cmp_eq_f32_e64 s[2:3], v19, v47
	v_cmp_lt_i32_e64 s[4:5], v21, v17
	v_cmp_lt_f32_e32 vcc, v19, v47
	s_and_b64 s[2:3], s[2:3], s[4:5]
	s_or_b64 vcc, vcc, s[2:3]
	v_cndmask_b32_e32 v19, v19, v47, vcc
	v_cndmask_b32_e32 v17, v17, v21, vcc
	s_nop 0
	v_mov_b32_dpp v47, v19 row_half_mirror row_mask:0xf bank_mask:0xf
	v_mov_b32_dpp v21, v17 row_half_mirror row_mask:0xf bank_mask:0xf
	v_cmp_eq_f32_e64 s[2:3], v19, v47
	v_cmp_lt_i32_e64 s[4:5], v21, v17
	v_cmp_lt_f32_e32 vcc, v19, v47
	s_and_b64 s[2:3], s[2:3], s[4:5]
	s_or_b64 vcc, vcc, s[2:3]
	v_cndmask_b32_e32 v19, v19, v47, vcc
	v_cndmask_b32_e32 v17, v17, v21, vcc
	s_nop 0
	v_mov_b32_dpp v47, v19 row_mirror row_mask:0xf bank_mask:0xf
	v_mov_b32_dpp v21, v17 row_mirror row_mask:0xf bank_mask:0xf
	v_cmp_eq_f32_e64 s[2:3], v19, v47
	v_cmp_lt_i32_e64 s[4:5], v21, v17
	v_cmp_lt_f32_e32 vcc, v19, v47
	s_and_b64 s[2:3], s[2:3], s[4:5]
	s_or_b64 vcc, vcc, s[2:3]
	v_cndmask_b32_e32 v19, v19, v47, vcc
	v_cndmask_b32_e32 v17, v17, v21, vcc
	s_nop 0
	v_mov_b32_dpp v47, v19 row_bcast:15 row_mask:0xa bank_mask:0xf
	v_mov_b32_dpp v21, v17 row_bcast:15 row_mask:0xa bank_mask:0xf
	v_cmp_eq_f32_e32 vcc, v19, v47
	v_cmp_lt_i32_e64 s[2:3], v21, v17
	s_and_b64 vcc, vcc, s[2:3]
	v_cmp_lt_f32_e64 s[2:3], v19, v47
	v_cndmask_b32_e32 v48, v19, v47, vcc
	s_or_b64 vcc, s[2:3], vcc
	v_cndmask_b32_e64 v19, v48, v47, s[2:3]
	v_cndmask_b32_e32 v17, v17, v21, vcc
	ds_bpermute_b32 v47, v24, v17
	ds_bpermute_b32 v17, v24, v19
	s_and_saveexec_b64 s[4:5], s[0:1]
	s_cbranch_execz .LBB94_16
; %bb.15:                               ;   in Loop: Header=BB94_14 Depth=1
	s_waitcnt lgkmcnt(0)
	v_sub_f32_e32 v17, v17, v25
	v_mul_f32_e32 v19, 0x3fb8aa3b, v17
	v_fma_f32 v21, v17, s21, -v19
	v_rndne_f32_e32 v48, v19
	v_fmac_f32_e32 v21, 0x32a5705f, v17
	v_sub_f32_e32 v19, v19, v48
	v_add_f32_e32 v19, v19, v21
	v_exp_f32_e32 v19, v19
	v_cvt_i32_f32_e32 v21, v48
	v_cmp_le_i32_e32 vcc, s9, v47
	v_cmp_gt_i32_e64 s[2:3], s10, v47
	s_and_b64 s[2:3], vcc, s[2:3]
	v_ldexp_f32 v19, v19, v21
	v_cmp_ngt_f32_e32 vcc, s23, v17
	v_ashrrev_i32_e32 v21, 31, v20
	v_cndmask_b32_e32 v19, 0, v19, vcc
	v_cmp_nlt_f32_e32 vcc, s24, v17
	v_lshlrev_b64 v[48:49], 2, v[20:21]
	v_cndmask_b32_e32 v50, v44, v19, vcc
	v_mov_b32_e32 v17, s17
	v_add_co_u32_e32 v48, vcc, s16, v48
	v_addc_co_u32_e32 v49, vcc, v17, v49, vcc
	v_ashrrev_i32_e32 v19, 31, v18
	global_store_dword v[48:49], v50, off
	v_subrev_u32_e32 v17, s9, v47
	s_and_b64 vcc, s[18:19], s[2:3]
	v_lshlrev_b64 v[48:49], 2, v[18:19]
	v_cndmask_b32_e32 v17, v45, v17, vcc
	v_mov_b32_e32 v19, s13
	v_add_co_u32_e32 v48, vcc, s12, v48
	v_addc_co_u32_e32 v49, vcc, v19, v49, vcc
	global_store_dword v[48:49], v17, off
	v_ashrrev_i32_e32 v17, 31, v16
	v_lshlrev_b64 v[48:49], 2, v[16:17]
	v_mov_b32_e32 v17, s15
	v_add_co_u32_e32 v48, vcc, s14, v48
	v_addc_co_u32_e32 v49, vcc, v17, v49, vcc
	v_add_f32_e32 v23, v23, v50
	global_store_dword v[48:49], v43, off
.LBB94_16:                              ;   in Loop: Header=BB94_14 Depth=1
	s_or_b64 exec, exec, s[4:5]
	s_waitcnt lgkmcnt(1)
	v_ashrrev_i32_e32 v19, 31, v47
	s_waitcnt lgkmcnt(0)
	v_lshrrev_b32_e32 v17, 28, v19
	v_add_u32_e32 v17, v47, v17
	v_ashrrev_i32_e32 v17, 4, v17
	v_lshrrev_b32_e32 v21, 27, v17
	v_add_u32_e32 v21, v17, v21
	v_and_b32_e32 v21, 0xffffffe0, v21
	v_sub_u32_e32 v21, v17, v21
	v_cmp_eq_u32_e32 vcc, v26, v21
	s_and_saveexec_b64 s[2:3], vcc
	s_cbranch_execz .LBB94_13
; %bb.17:                               ;   in Loop: Header=BB94_14 Depth=1
	v_lshrrev_b32_e32 v19, 23, v19
	v_add_u32_e32 v19, v47, v19
	v_lshlrev_b32_e32 v17, 4, v17
	v_ashrrev_i32_e32 v19, 9, v19
	v_sub_u32_e32 v17, v47, v17
	v_lshl_add_u32 v17, v19, 4, v17
	v_cmp_ne_u32_e32 vcc, 15, v17
	v_cndmask_b32_e32 v3, v46, v3, vcc
	v_cmp_ne_u32_e32 vcc, 14, v17
	v_cndmask_b32_e32 v2, v46, v2, vcc
	;; [unrolled: 2-line block ×16, first 2 shown]
	s_branch .LBB94_13
.LBB94_18:
	s_waitcnt lgkmcnt(0)
	v_sub_f32_e32 v12, v12, v25
	s_mov_b32 s3, 0x3fb8aa3b
	v_mul_f32_e32 v16, 0x3fb8aa3b, v12
	v_fma_f32 v17, v12, s3, -v16
	v_rndne_f32_e32 v18, v16
	v_fmac_f32_e32 v17, 0x32a5705f, v12
	v_sub_f32_e32 v16, v16, v18
	v_add_f32_e32 v16, v16, v17
	v_exp_f32_e32 v16, v16
	v_cvt_i32_f32_e32 v17, v18
	v_sub_f32_e32 v13, v13, v25
	s_mov_b32 s2, 0xc2ce8ed0
	v_cmp_ngt_f32_e32 vcc, s2, v12
	v_ldexp_f32 v16, v16, v17
	v_mul_f32_e32 v17, 0x3fb8aa3b, v13
	v_fma_f32 v18, v13, s3, -v17
	v_rndne_f32_e32 v19, v17
	v_fmac_f32_e32 v18, 0x32a5705f, v13
	v_sub_f32_e32 v17, v17, v19
	v_add_f32_e32 v17, v17, v18
	v_exp_f32_e32 v17, v17
	v_cvt_i32_f32_e32 v18, v19
	s_mov_b32 s4, 0x42b17218
	v_cndmask_b32_e32 v16, 0, v16, vcc
	v_mov_b32_e32 v19, 0x7f800000
	v_cmp_nlt_f32_e32 vcc, s4, v12
	v_sub_f32_e32 v14, v14, v25
	v_cndmask_b32_e32 v12, v19, v16, vcc
	v_ldexp_f32 v16, v17, v18
	v_mul_f32_e32 v17, 0x3fb8aa3b, v14
	v_fma_f32 v18, v14, s3, -v17
	v_rndne_f32_e32 v20, v17
	v_fmac_f32_e32 v18, 0x32a5705f, v14
	v_sub_f32_e32 v17, v17, v20
	v_add_f32_e32 v17, v17, v18
	v_exp_f32_e32 v17, v17
	v_cvt_i32_f32_e32 v18, v20
	v_cmp_ngt_f32_e32 vcc, s2, v13
	v_cndmask_b32_e32 v16, 0, v16, vcc
	v_cmp_nlt_f32_e32 vcc, s4, v13
	v_sub_f32_e32 v15, v15, v25
	v_cndmask_b32_e32 v13, v19, v16, vcc
	v_mul_f32_e32 v16, 0x3fb8aa3b, v15
	v_add_f32_e32 v12, v12, v13
	v_ldexp_f32 v13, v17, v18
	v_fma_f32 v17, v15, s3, -v16
	v_rndne_f32_e32 v18, v16
	v_fmac_f32_e32 v17, 0x32a5705f, v15
	v_sub_f32_e32 v16, v16, v18
	v_add_f32_e32 v16, v16, v17
	v_exp_f32_e32 v16, v16
	v_cvt_i32_f32_e32 v17, v18
	v_cmp_ngt_f32_e32 vcc, s2, v14
	v_cndmask_b32_e32 v13, 0, v13, vcc
	v_cmp_nlt_f32_e32 vcc, s4, v14
	v_sub_f32_e32 v8, v8, v25
	v_cndmask_b32_e32 v13, v19, v13, vcc
	v_mul_f32_e32 v14, 0x3fb8aa3b, v8
	v_add_f32_e32 v12, v12, v13
	v_ldexp_f32 v13, v16, v17
	v_fma_f32 v16, v8, s3, -v14
	v_rndne_f32_e32 v17, v14
	v_fmac_f32_e32 v16, 0x32a5705f, v8
	v_sub_f32_e32 v14, v14, v17
	v_add_f32_e32 v14, v14, v16
	v_exp_f32_e32 v14, v14
	v_cvt_i32_f32_e32 v16, v17
	v_cmp_ngt_f32_e32 vcc, s2, v15
	v_cndmask_b32_e32 v13, 0, v13, vcc
	v_cmp_nlt_f32_e32 vcc, s4, v15
	v_cndmask_b32_e32 v13, v19, v13, vcc
	v_sub_f32_e32 v9, v9, v25
	v_add_f32_e32 v12, v12, v13
	v_ldexp_f32 v13, v14, v16
	v_mul_f32_e32 v14, 0x3fb8aa3b, v9
	v_fma_f32 v15, v9, s3, -v14
	v_rndne_f32_e32 v16, v14
	v_fmac_f32_e32 v15, 0x32a5705f, v9
	v_sub_f32_e32 v14, v14, v16
	v_add_f32_e32 v14, v14, v15
	v_exp_f32_e32 v14, v14
	v_cvt_i32_f32_e32 v15, v16
	v_cmp_ngt_f32_e32 vcc, s2, v8
	v_cndmask_b32_e32 v13, 0, v13, vcc
	v_cmp_nlt_f32_e32 vcc, s4, v8
	v_sub_f32_e32 v10, v10, v25
	v_cndmask_b32_e32 v8, v19, v13, vcc
	v_mul_f32_e32 v13, 0x3fb8aa3b, v10
	v_add_f32_e32 v8, v12, v8
	v_ldexp_f32 v12, v14, v15
	v_fma_f32 v14, v10, s3, -v13
	v_rndne_f32_e32 v15, v13
	v_fmac_f32_e32 v14, 0x32a5705f, v10
	v_sub_f32_e32 v13, v13, v15
	v_add_f32_e32 v13, v13, v14
	v_exp_f32_e32 v13, v13
	v_cvt_i32_f32_e32 v14, v15
	v_cmp_ngt_f32_e32 vcc, s2, v9
	v_cndmask_b32_e32 v12, 0, v12, vcc
	v_cmp_nlt_f32_e32 vcc, s4, v9
	v_sub_f32_e32 v11, v11, v25
	v_cndmask_b32_e32 v9, v19, v12, vcc
	v_mul_f32_e32 v12, 0x3fb8aa3b, v11
	v_add_f32_e32 v8, v8, v9
	v_ldexp_f32 v9, v13, v14
	v_fma_f32 v13, v11, s3, -v12
	v_rndne_f32_e32 v14, v12
	v_fmac_f32_e32 v13, 0x32a5705f, v11
	v_sub_f32_e32 v12, v12, v14
	v_add_f32_e32 v12, v12, v13
	v_exp_f32_e32 v12, v12
	v_cvt_i32_f32_e32 v13, v14
	v_cmp_ngt_f32_e32 vcc, s2, v10
	v_cndmask_b32_e32 v9, 0, v9, vcc
	v_cmp_nlt_f32_e32 vcc, s4, v10
	v_sub_f32_e32 v4, v4, v25
	v_cndmask_b32_e32 v9, v19, v9, vcc
	v_mul_f32_e32 v10, 0x3fb8aa3b, v4
	v_add_f32_e32 v8, v8, v9
	v_ldexp_f32 v9, v12, v13
	v_fma_f32 v12, v4, s3, -v10
	v_rndne_f32_e32 v13, v10
	v_fmac_f32_e32 v12, 0x32a5705f, v4
	v_sub_f32_e32 v10, v10, v13
	v_add_f32_e32 v10, v10, v12
	v_exp_f32_e32 v10, v10
	v_cvt_i32_f32_e32 v12, v13
	v_cmp_ngt_f32_e32 vcc, s2, v11
	v_cndmask_b32_e32 v9, 0, v9, vcc
	v_cmp_nlt_f32_e32 vcc, s4, v11
	v_cndmask_b32_e32 v9, v19, v9, vcc
	v_sub_f32_e32 v5, v5, v25
	v_add_f32_e32 v8, v8, v9
	v_ldexp_f32 v9, v10, v12
	v_mul_f32_e32 v10, 0x3fb8aa3b, v5
	v_fma_f32 v11, v5, s3, -v10
	v_rndne_f32_e32 v12, v10
	v_fmac_f32_e32 v11, 0x32a5705f, v5
	v_sub_f32_e32 v10, v10, v12
	v_add_f32_e32 v10, v10, v11
	v_exp_f32_e32 v10, v10
	v_cvt_i32_f32_e32 v11, v12
	v_cmp_ngt_f32_e32 vcc, s2, v4
	v_cndmask_b32_e32 v9, 0, v9, vcc
	v_cmp_nlt_f32_e32 vcc, s4, v4
	v_sub_f32_e32 v6, v6, v25
	v_cndmask_b32_e32 v4, v19, v9, vcc
	v_mul_f32_e32 v9, 0x3fb8aa3b, v6
	v_add_f32_e32 v4, v8, v4
	v_ldexp_f32 v8, v10, v11
	v_fma_f32 v10, v6, s3, -v9
	v_rndne_f32_e32 v11, v9
	v_fmac_f32_e32 v10, 0x32a5705f, v6
	v_sub_f32_e32 v9, v9, v11
	v_add_f32_e32 v9, v9, v10
	v_exp_f32_e32 v9, v9
	v_cvt_i32_f32_e32 v10, v11
	v_cmp_ngt_f32_e32 vcc, s2, v5
	v_cndmask_b32_e32 v8, 0, v8, vcc
	v_cmp_nlt_f32_e32 vcc, s4, v5
	v_sub_f32_e32 v7, v7, v25
	v_cndmask_b32_e32 v5, v19, v8, vcc
	v_mul_f32_e32 v8, 0x3fb8aa3b, v7
	v_add_f32_e32 v4, v4, v5
	v_ldexp_f32 v5, v9, v10
	v_fma_f32 v9, v7, s3, -v8
	v_rndne_f32_e32 v10, v8
	v_fmac_f32_e32 v9, 0x32a5705f, v7
	v_sub_f32_e32 v8, v8, v10
	v_add_f32_e32 v8, v8, v9
	v_exp_f32_e32 v8, v8
	v_cvt_i32_f32_e32 v9, v10
	v_cmp_ngt_f32_e32 vcc, s2, v6
	v_cndmask_b32_e32 v5, 0, v5, vcc
	v_cmp_nlt_f32_e32 vcc, s4, v6
	v_sub_f32_e32 v0, v0, v25
	v_cndmask_b32_e32 v5, v19, v5, vcc
	v_mul_f32_e32 v6, 0x3fb8aa3b, v0
	v_add_f32_e32 v4, v4, v5
	v_ldexp_f32 v5, v8, v9
	v_fma_f32 v8, v0, s3, -v6
	v_rndne_f32_e32 v9, v6
	v_fmac_f32_e32 v8, 0x32a5705f, v0
	v_sub_f32_e32 v6, v6, v9
	v_add_f32_e32 v6, v6, v8
	v_exp_f32_e32 v6, v6
	v_cvt_i32_f32_e32 v8, v9
	v_cmp_ngt_f32_e32 vcc, s2, v7
	v_cndmask_b32_e32 v5, 0, v5, vcc
	v_cmp_nlt_f32_e32 vcc, s4, v7
	v_cndmask_b32_e32 v5, v19, v5, vcc
	v_sub_f32_e32 v1, v1, v25
	v_add_f32_e32 v4, v4, v5
	v_ldexp_f32 v5, v6, v8
	v_mul_f32_e32 v6, 0x3fb8aa3b, v1
	v_fma_f32 v7, v1, s3, -v6
	v_rndne_f32_e32 v8, v6
	v_fmac_f32_e32 v7, 0x32a5705f, v1
	v_sub_f32_e32 v6, v6, v8
	v_add_f32_e32 v6, v6, v7
	v_exp_f32_e32 v6, v6
	v_cvt_i32_f32_e32 v7, v8
	v_cmp_ngt_f32_e32 vcc, s2, v0
	v_cndmask_b32_e32 v5, 0, v5, vcc
	v_cmp_nlt_f32_e32 vcc, s4, v0
	v_sub_f32_e32 v2, v2, v25
	v_cndmask_b32_e32 v0, v19, v5, vcc
	v_mul_f32_e32 v5, 0x3fb8aa3b, v2
	v_add_f32_e32 v0, v4, v0
	v_ldexp_f32 v4, v6, v7
	v_fma_f32 v6, v2, s3, -v5
	v_rndne_f32_e32 v7, v5
	v_fmac_f32_e32 v6, 0x32a5705f, v2
	v_sub_f32_e32 v5, v5, v7
	v_add_f32_e32 v5, v5, v6
	v_exp_f32_e32 v5, v5
	v_cvt_i32_f32_e32 v6, v7
	v_cmp_ngt_f32_e32 vcc, s2, v1
	v_cndmask_b32_e32 v4, 0, v4, vcc
	v_cmp_nlt_f32_e32 vcc, s4, v1
	v_sub_f32_e32 v3, v3, v25
	v_cndmask_b32_e32 v1, v19, v4, vcc
	v_mul_f32_e32 v4, 0x3fb8aa3b, v3
	v_add_f32_e32 v0, v0, v1
	v_ldexp_f32 v1, v5, v6
	v_fma_f32 v5, v3, s3, -v4
	v_rndne_f32_e32 v6, v4
	v_fmac_f32_e32 v5, 0x32a5705f, v3
	v_sub_f32_e32 v4, v4, v6
	v_add_f32_e32 v4, v4, v5
	v_exp_f32_e32 v4, v4
	v_cvt_i32_f32_e32 v5, v6
	v_cmp_ngt_f32_e32 vcc, s2, v2
	v_cndmask_b32_e32 v1, 0, v1, vcc
	v_cmp_nlt_f32_e32 vcc, s4, v2
	v_cndmask_b32_e32 v1, v19, v1, vcc
	v_add_f32_e32 v0, v0, v1
	v_ldexp_f32 v1, v4, v5
	v_cmp_ngt_f32_e32 vcc, s2, v3
	v_cndmask_b32_e32 v1, 0, v1, vcc
	v_cmp_nlt_f32_e32 vcc, s4, v3
	v_cndmask_b32_e32 v1, v19, v1, vcc
	v_add_f32_e32 v0, v0, v1
	s_nop 1
	v_mov_b32_dpp v1, v0 quad_perm:[1,0,3,2] row_mask:0xf bank_mask:0xf
	v_add_f32_e32 v0, v0, v1
	s_nop 1
	v_mov_b32_dpp v1, v0 quad_perm:[2,3,0,1] row_mask:0xf bank_mask:0xf
	v_add_f32_e32 v0, v0, v1
	s_nop 1
	v_mov_b32_dpp v1, v0 row_half_mirror row_mask:0xf bank_mask:0xf
	v_add_f32_e32 v0, v0, v1
	s_nop 1
	v_mov_b32_dpp v1, v0 row_mirror row_mask:0xf bank_mask:0xf
	v_add_f32_e32 v0, v0, v1
	s_nop 1
	v_mov_b32_dpp v1, v0 row_bcast:15 row_mask:0xa bank_mask:0xf
	v_add_f32_e32 v0, v0, v1
	ds_bpermute_b32 v0, v24, v0
	s_and_b64 exec, exec, s[0:1]
	s_cbranch_execz .LBB94_31
; %bb.19:
	s_waitcnt lgkmcnt(0)
	v_add_f32_e32 v0, v23, v0
	v_cmp_neq_f32_e32 vcc, 0, v0
	s_and_b64 exec, exec, vcc
	s_cbranch_execz .LBB94_31
; %bb.20:
	s_andn2_b64 vcc, exec, s[6:7]
	s_cbranch_vccnz .LBB94_31
; %bb.21:
	v_div_scale_f32 v1, s[0:1], v0, v0, 1.0
	v_rcp_f32_e32 v2, v1
	v_div_scale_f32 v3, vcc, 1.0, v0, 1.0
	s_cmp_gt_u32 s8, 3
	v_fma_f32 v4, -v1, v2, 1.0
	v_fmac_f32_e32 v2, v4, v2
	v_mul_f32_e32 v4, v3, v2
	v_fma_f32 v5, -v1, v4, v3
	v_fmac_f32_e32 v4, v5, v2
	v_fma_f32 v1, -v1, v4, v3
	v_div_fmas_f32 v1, v1, v2, v4
	v_mul_lo_u32 v2, v22, s11
	v_div_fixup_f32 v0, v1, v0, 1.0
	v_ashrrev_i32_e32 v3, 31, v2
	s_cbranch_scc0 .LBB94_25
; %bb.22:
	v_lshlrev_b64 v[4:5], 2, v[2:3]
	v_mov_b32_e32 v6, s17
	v_add_co_u32_e32 v4, vcc, s16, v4
	v_addc_co_u32_e32 v5, vcc, v5, v6, vcc
	s_and_b32 s4, s8, 0x7ffffffc
	v_add_co_u32_e32 v4, vcc, 8, v4
	v_mov_b32_e32 v1, v0
	v_addc_co_u32_e32 v5, vcc, 0, v5, vcc
	s_mov_b32 s0, s4
.LBB94_23:                              ; =>This Inner Loop Header: Depth=1
	global_load_dwordx4 v[6:9], v[4:5], off offset:-8
	s_add_i32 s0, s0, -4
	s_cmp_lg_u32 s0, 0
	s_waitcnt vmcnt(0)
	v_pk_mul_f32 v[6:7], v[0:1], v[6:7]
	v_pk_mul_f32 v[8:9], v[0:1], v[8:9]
	global_store_dwordx4 v[4:5], v[6:9], off offset:-8
	v_add_co_u32_e32 v4, vcc, 16, v4
	v_addc_co_u32_e32 v5, vcc, 0, v5, vcc
	s_cbranch_scc1 .LBB94_23
; %bb.24:
	s_cmp_lg_u32 s4, s8
	s_mov_b64 s[2:3], 0
	s_cselect_b64 s[0:1], -1, 0
	s_branch .LBB94_26
.LBB94_25:
	s_mov_b64 s[2:3], -1
	s_mov_b64 s[0:1], 0
                                        ; implicit-def: $sgpr4
.LBB94_26:
	s_and_b64 vcc, exec, s[2:3]
	s_cbranch_vccz .LBB94_28
; %bb.27:
	s_mov_b64 s[0:1], -1
	s_mov_b32 s4, 0
.LBB94_28:
	s_andn2_b64 vcc, exec, s[0:1]
	s_cbranch_vccnz .LBB94_31
; %bb.29:
	v_add_co_u32_e32 v2, vcc, s4, v2
	v_addc_co_u32_e32 v3, vcc, 0, v3, vcc
	v_lshlrev_b64 v[2:3], 2, v[2:3]
	v_mov_b32_e32 v1, s17
	v_add_co_u32_e32 v2, vcc, s16, v2
	s_sub_i32 s0, s8, s4
	v_addc_co_u32_e32 v3, vcc, v1, v3, vcc
.LBB94_30:                              ; =>This Inner Loop Header: Depth=1
	global_load_dword v1, v[2:3], off
	s_add_i32 s0, s0, -1
	s_cmp_lg_u32 s0, 0
	s_waitcnt vmcnt(0)
	v_mul_f32_e32 v1, v0, v1
	global_store_dword v[2:3], v1, off
	v_add_co_u32_e32 v2, vcc, 4, v2
	v_addc_co_u32_e32 v3, vcc, 0, v3, vcc
	s_cbranch_scc1 .LBB94_30
.LBB94_31:
	s_endpgm
	.section	.rodata,"a",@progbits
	.p2align	6, 0x0
	.amdhsa_kernel _ZN4vllm3moe17topkGatingSoftmaxIfLi16ELi512ELi2ELi64ELb0ELi1ELNS0_23SharedExpertScoringFuncE1EEEvPKT_PKbPfiPiS9_iiiiii
		.amdhsa_group_segment_fixed_size 0
		.amdhsa_private_segment_fixed_size 0
		.amdhsa_kernarg_size 72
		.amdhsa_user_sgpr_count 6
		.amdhsa_user_sgpr_private_segment_buffer 1
		.amdhsa_user_sgpr_dispatch_ptr 0
		.amdhsa_user_sgpr_queue_ptr 0
		.amdhsa_user_sgpr_kernarg_segment_ptr 1
		.amdhsa_user_sgpr_dispatch_id 0
		.amdhsa_user_sgpr_flat_scratch_init 0
		.amdhsa_user_sgpr_kernarg_preload_length 0
		.amdhsa_user_sgpr_kernarg_preload_offset 0
		.amdhsa_user_sgpr_private_segment_size 0
		.amdhsa_uses_dynamic_stack 0
		.amdhsa_system_sgpr_private_segment_wavefront_offset 0
		.amdhsa_system_sgpr_workgroup_id_x 1
		.amdhsa_system_sgpr_workgroup_id_y 0
		.amdhsa_system_sgpr_workgroup_id_z 0
		.amdhsa_system_sgpr_workgroup_info 0
		.amdhsa_system_vgpr_workitem_id 1
		.amdhsa_next_free_vgpr 51
		.amdhsa_next_free_sgpr 25
		.amdhsa_accum_offset 52
		.amdhsa_reserve_vcc 1
		.amdhsa_reserve_flat_scratch 0
		.amdhsa_float_round_mode_32 0
		.amdhsa_float_round_mode_16_64 0
		.amdhsa_float_denorm_mode_32 3
		.amdhsa_float_denorm_mode_16_64 3
		.amdhsa_dx10_clamp 1
		.amdhsa_ieee_mode 1
		.amdhsa_fp16_overflow 0
		.amdhsa_tg_split 0
		.amdhsa_exception_fp_ieee_invalid_op 0
		.amdhsa_exception_fp_denorm_src 0
		.amdhsa_exception_fp_ieee_div_zero 0
		.amdhsa_exception_fp_ieee_overflow 0
		.amdhsa_exception_fp_ieee_underflow 0
		.amdhsa_exception_fp_ieee_inexact 0
		.amdhsa_exception_int_div_zero 0
	.end_amdhsa_kernel
	.section	.text._ZN4vllm3moe17topkGatingSoftmaxIfLi16ELi512ELi2ELi64ELb0ELi1ELNS0_23SharedExpertScoringFuncE1EEEvPKT_PKbPfiPiS9_iiiiii,"axG",@progbits,_ZN4vllm3moe17topkGatingSoftmaxIfLi16ELi512ELi2ELi64ELb0ELi1ELNS0_23SharedExpertScoringFuncE1EEEvPKT_PKbPfiPiS9_iiiiii,comdat
.Lfunc_end94:
	.size	_ZN4vllm3moe17topkGatingSoftmaxIfLi16ELi512ELi2ELi64ELb0ELi1ELNS0_23SharedExpertScoringFuncE1EEEvPKT_PKbPfiPiS9_iiiiii, .Lfunc_end94-_ZN4vllm3moe17topkGatingSoftmaxIfLi16ELi512ELi2ELi64ELb0ELi1ELNS0_23SharedExpertScoringFuncE1EEEvPKT_PKbPfiPiS9_iiiiii
                                        ; -- End function
	.section	.AMDGPU.csdata,"",@progbits
; Kernel info:
; codeLenInByte = 4332
; NumSgprs: 29
; NumVgprs: 51
; NumAgprs: 0
; TotalNumVgprs: 51
; ScratchSize: 0
; MemoryBound: 0
; FloatMode: 240
; IeeeMode: 1
; LDSByteSize: 0 bytes/workgroup (compile time only)
; SGPRBlocks: 3
; VGPRBlocks: 6
; NumSGPRsForWavesPerEU: 29
; NumVGPRsForWavesPerEU: 51
; AccumOffset: 52
; Occupancy: 8
; WaveLimiterHint : 0
; COMPUTE_PGM_RSRC2:SCRATCH_EN: 0
; COMPUTE_PGM_RSRC2:USER_SGPR: 6
; COMPUTE_PGM_RSRC2:TRAP_HANDLER: 0
; COMPUTE_PGM_RSRC2:TGID_X_EN: 1
; COMPUTE_PGM_RSRC2:TGID_Y_EN: 0
; COMPUTE_PGM_RSRC2:TGID_Z_EN: 0
; COMPUTE_PGM_RSRC2:TIDIG_COMP_CNT: 1
; COMPUTE_PGM_RSRC3_GFX90A:ACCUM_OFFSET: 12
; COMPUTE_PGM_RSRC3_GFX90A:TG_SPLIT: 0
	.section	.text._ZN4vllm3moe17topkGatingSoftmaxIfLi16ELi512ELi2ELi64ELb1ELi2ELNS0_23SharedExpertScoringFuncE1EEEvPKT_PKbPfiPiS9_iiiiii,"axG",@progbits,_ZN4vllm3moe17topkGatingSoftmaxIfLi16ELi512ELi2ELi64ELb1ELi2ELNS0_23SharedExpertScoringFuncE1EEEvPKT_PKbPfiPiS9_iiiiii,comdat
	.protected	_ZN4vllm3moe17topkGatingSoftmaxIfLi16ELi512ELi2ELi64ELb1ELi2ELNS0_23SharedExpertScoringFuncE1EEEvPKT_PKbPfiPiS9_iiiiii ; -- Begin function _ZN4vllm3moe17topkGatingSoftmaxIfLi16ELi512ELi2ELi64ELb1ELi2ELNS0_23SharedExpertScoringFuncE1EEEvPKT_PKbPfiPiS9_iiiiii
	.globl	_ZN4vllm3moe17topkGatingSoftmaxIfLi16ELi512ELi2ELi64ELb1ELi2ELNS0_23SharedExpertScoringFuncE1EEEvPKT_PKbPfiPiS9_iiiiii
	.p2align	8
	.type	_ZN4vllm3moe17topkGatingSoftmaxIfLi16ELi512ELi2ELi64ELb1ELi2ELNS0_23SharedExpertScoringFuncE1EEEvPKT_PKbPfiPiS9_iiiiii,@function
_ZN4vllm3moe17topkGatingSoftmaxIfLi16ELi512ELi2ELi64ELb1ELi2ELNS0_23SharedExpertScoringFuncE1EEEvPKT_PKbPfiPiS9_iiiiii: ; @_ZN4vllm3moe17topkGatingSoftmaxIfLi16ELi512ELi2ELi64ELb1ELi2ELNS0_23SharedExpertScoringFuncE1EEEvPKT_PKbPfiPiS9_iiiiii
; %bb.0:
	s_load_dword s22, s[4:5], 0x18
	v_bfe_u32 v1, v0, 10, 10
	v_and_b32_e32 v0, 0x3ff, v0
	s_lshl_b32 s23, s6, 2
	v_lshlrev_b32_e32 v41, 1, v1
	v_lshrrev_b32_e32 v42, 5, v0
	v_add3_u32 v22, s23, v41, v42
	s_waitcnt lgkmcnt(0)
	v_cmp_gt_i32_e32 vcc, s22, v22
	s_and_saveexec_b64 s[0:1], vcc
	s_cbranch_execz .LBB95_29
; %bb.1:
	s_load_dwordx4 s[0:3], s[4:5], 0x0
	s_load_dwordx2 s[6:7], s[4:5], 0x10
	s_waitcnt lgkmcnt(0)
	s_cmp_eq_u64 s[2:3], 0
	s_cbranch_scc1 .LBB95_3
; %bb.2:
	v_ashrrev_i32_e32 v1, 31, v22
	v_mov_b32_e32 v3, s3
	v_add_co_u32_e32 v2, vcc, s2, v22
	v_addc_co_u32_e32 v3, vcc, v3, v1, vcc
	global_load_ubyte v1, v[2:3], off
	s_waitcnt vmcnt(0)
	v_and_b32_e32 v1, 1, v1
	v_cmp_eq_u32_e32 vcc, 1, v1
	s_xor_b64 s[2:3], vcc, -1
	s_orn2_b64 s[16:17], s[2:3], exec
	s_branch .LBB95_4
.LBB95_3:
	s_mov_b64 s[16:17], -1
.LBB95_4:
	s_load_dwordx2 s[20:21], s[4:5], 0x40
	s_load_dwordx4 s[8:11], s[4:5], 0x30
	v_mov_b32_e32 v1, s1
	v_and_b32_e32 v23, 31, v0
	v_lshlrev_b32_e32 v0, 6, v23
	s_waitcnt lgkmcnt(0)
	v_mul_lo_u32 v2, v22, s21
	v_ashrrev_i32_e32 v3, 31, v2
	v_lshlrev_b64 v[2:3], 2, v[2:3]
	v_add_co_u32_e32 v16, vcc, s0, v2
	v_addc_co_u32_e32 v17, vcc, v1, v3, vcc
	v_add_co_u32_e32 v18, vcc, v16, v0
	v_addc_co_u32_e32 v19, vcc, 0, v17, vcc
	global_load_dwordx4 v[0:3], v[18:19], off offset:48
	global_load_dwordx4 v[4:7], v[18:19], off offset:32
	;; [unrolled: 1-line block ×3, first 2 shown]
	global_load_dwordx4 v[12:15], v[18:19], off
	v_lshlrev_b32_e32 v25, 4, v23
	v_mov_b32_e32 v24, 0
	v_cmp_gt_u32_e32 vcc, 2, v23
	s_and_saveexec_b64 s[0:1], vcc
	s_cbranch_execz .LBB95_6
; %bb.5:
	v_lshlrev_b32_e32 v18, 2, v23
	v_add_co_u32_e32 v16, vcc, v16, v18
	v_addc_co_u32_e32 v17, vcc, 0, v17, vcc
	global_load_dword v18, v[16:17], off offset:2048
	s_mov_b32 s2, 0xbfb8aa3b
	s_mov_b32 s3, 0x42ce8ed0
	s_mov_b32 s12, 0xc2b17218
	v_mov_b32_e32 v19, 0x7f800000
	v_mul_lo_u32 v16, v22, s11
	v_add3_u32 v16, v16, s8, v23
	v_mov_b32_e32 v26, s7
	s_waitcnt vmcnt(0)
	v_mul_f32_e32 v17, 0xbfb8aa3b, v18
	v_fma_f32 v20, v18, s2, -v17
	v_rndne_f32_e32 v21, v17
	v_fmac_f32_e32 v20, 0xb2a5705f, v18
	v_sub_f32_e32 v17, v17, v21
	v_add_f32_e32 v17, v17, v20
	v_cvt_i32_f32_e32 v21, v21
	v_exp_f32_e32 v20, v17
	v_cmp_nlt_f32_e32 vcc, s3, v18
	v_ashrrev_i32_e32 v17, 31, v16
	v_lshlrev_b64 v[16:17], 2, v[16:17]
	v_ldexp_f32 v20, v20, v21
	v_cndmask_b32_e32 v20, 0, v20, vcc
	v_cmp_ngt_f32_e32 vcc, s12, v18
	v_cndmask_b32_e32 v18, v19, v20, vcc
	v_add_f32_e32 v18, 1.0, v18
	v_div_scale_f32 v19, s[2:3], v18, v18, 1.0
	v_rcp_f32_e32 v20, v19
	v_div_scale_f32 v21, vcc, 1.0, v18, 1.0
	v_fma_f32 v27, -v19, v20, 1.0
	v_fmac_f32_e32 v20, v27, v20
	v_mul_f32_e32 v27, v21, v20
	v_fma_f32 v28, -v19, v27, v21
	v_fmac_f32_e32 v27, v28, v20
	v_fma_f32 v19, -v19, v27, v21
	v_div_fmas_f32 v19, v19, v20, v27
	v_add_co_u32_e32 v16, vcc, s6, v16
	v_div_fixup_f32 v18, v19, v18, 1.0
	v_addc_co_u32_e32 v17, vcc, v26, v17, vcc
	global_store_dword v[16:17], v18, off
.LBB95_6:
	s_or_b64 exec, exec, s[0:1]
	s_waitcnt vmcnt(0)
	v_cmp_lt_f32_e32 vcc, v12, v13
	v_or_b32_e32 v26, 1, v25
	v_cndmask_b32_e32 v17, v12, v13, vcc
	v_cndmask_b32_e32 v16, v25, v26, vcc
	v_cmp_lt_f32_e32 vcc, v17, v14
	v_or_b32_e32 v27, 2, v25
	v_cndmask_b32_e32 v17, v17, v14, vcc
	v_cndmask_b32_e32 v16, v16, v27, vcc
	;; [unrolled: 4-line block ×14, first 2 shown]
	v_or_b32_e32 v40, 15, v25
	v_cmp_lt_f32_e32 vcc, v17, v3
	v_cndmask_b32_e32 v16, v16, v40, vcc
	v_cndmask_b32_e32 v17, v17, v3, vcc
	s_nop 0
	v_mov_b32_dpp v18, v16 quad_perm:[1,0,3,2] row_mask:0xf bank_mask:0xf
	v_mov_b32_dpp v19, v17 quad_perm:[1,0,3,2] row_mask:0xf bank_mask:0xf
	v_cmp_eq_f32_e64 s[0:1], v17, v19
	v_cmp_lt_i32_e64 s[2:3], v18, v16
	v_cmp_lt_f32_e32 vcc, v17, v19
	s_and_b64 s[0:1], s[0:1], s[2:3]
	s_or_b64 vcc, vcc, s[0:1]
	v_cndmask_b32_e32 v17, v17, v19, vcc
	v_cndmask_b32_e32 v16, v16, v18, vcc
	s_nop 0
	v_mov_b32_dpp v19, v17 quad_perm:[2,3,0,1] row_mask:0xf bank_mask:0xf
	v_mov_b32_dpp v18, v16 quad_perm:[2,3,0,1] row_mask:0xf bank_mask:0xf
	v_cmp_eq_f32_e64 s[0:1], v17, v19
	v_cmp_lt_i32_e64 s[2:3], v18, v16
	v_cmp_lt_f32_e32 vcc, v17, v19
	s_and_b64 s[0:1], s[0:1], s[2:3]
	s_or_b64 vcc, vcc, s[0:1]
	v_cndmask_b32_e32 v17, v17, v19, vcc
	v_cndmask_b32_e32 v16, v16, v18, vcc
	s_nop 0
	v_mov_b32_dpp v19, v17 row_half_mirror row_mask:0xf bank_mask:0xf
	v_mov_b32_dpp v18, v16 row_half_mirror row_mask:0xf bank_mask:0xf
	v_cmp_eq_f32_e64 s[0:1], v17, v19
	v_cmp_lt_i32_e64 s[2:3], v18, v16
	v_cmp_lt_f32_e32 vcc, v17, v19
	s_and_b64 s[0:1], s[0:1], s[2:3]
	s_or_b64 vcc, vcc, s[0:1]
	v_cndmask_b32_e32 v17, v17, v19, vcc
	v_cndmask_b32_e32 v16, v16, v18, vcc
	s_nop 0
	v_mov_b32_dpp v19, v17 row_mirror row_mask:0xf bank_mask:0xf
	v_mov_b32_dpp v18, v16 row_mirror row_mask:0xf bank_mask:0xf
	v_cmp_eq_f32_e64 s[0:1], v17, v19
	v_cmp_lt_i32_e64 s[2:3], v18, v16
	v_cmp_lt_f32_e32 vcc, v17, v19
	s_and_b64 s[0:1], s[0:1], s[2:3]
	s_or_b64 vcc, vcc, s[0:1]
	v_cndmask_b32_e32 v17, v17, v19, vcc
	v_cndmask_b32_e32 v16, v16, v18, vcc
	s_nop 0
	v_mov_b32_dpp v19, v17 row_bcast:15 row_mask:0xa bank_mask:0xf
	v_mov_b32_dpp v18, v16 row_bcast:15 row_mask:0xa bank_mask:0xf
	v_cmp_eq_f32_e32 vcc, v17, v19
	v_cmp_lt_i32_e64 s[0:1], v18, v16
	s_and_b64 vcc, vcc, s[0:1]
	v_cmp_lt_f32_e64 s[0:1], v17, v19
	v_cndmask_b32_e32 v20, v17, v19, vcc
	s_or_b64 vcc, s[0:1], vcc
	v_cndmask_b32_e32 v16, v16, v18, vcc
	v_mbcnt_lo_u32_b32 v18, -1, 0
	v_cndmask_b32_e64 v17, v20, v19, s[0:1]
	v_mbcnt_hi_u32_b32 v18, -1, v18
	v_mov_b32_e32 v19, 0x7c
	v_lshl_or_b32 v43, v18, 2, v19
	ds_bpermute_b32 v45, v43, v16
	ds_bpermute_b32 v44, v43, v17
	s_cmp_gt_i32 s8, 0
	s_cselect_b64 s[18:19], -1, 0
	s_cmp_lt_i32 s8, 1
	v_cmp_eq_u32_e32 vcc, 0, v23
	s_cbranch_scc1 .LBB95_18
; %bb.7:
	s_load_dwordx4 s[12:15], s[4:5], 0x20
	v_mul_lo_u32 v20, v22, s11
	v_mul_lo_u32 v18, v22, s20
	;; [unrolled: 1-line block ×3, first 2 shown]
	v_mov_b32_e32 v24, 0
	s_and_saveexec_b64 s[4:5], vcc
	s_cbranch_execz .LBB95_9
; %bb.8:
	s_waitcnt lgkmcnt(0)
	v_sub_f32_e32 v17, v44, v44
	v_mul_f32_e32 v19, 0x3fb8aa3b, v17
	s_mov_b32 s0, 0x3fb8aa3b
	v_rndne_f32_e32 v21, v19
	v_sub_f32_e32 v24, v19, v21
	v_fma_f32 v19, v17, s0, -v19
	v_fmac_f32_e32 v19, 0x32a5705f, v17
	v_add_f32_e32 v19, v24, v19
	v_exp_f32_e32 v19, v19
	v_cvt_i32_f32_e32 v21, v21
	v_cmp_le_i32_e64 s[0:1], s9, v45
	v_cmp_gt_i32_e64 s[2:3], s10, v45
	s_and_b64 s[2:3], s[0:1], s[2:3]
	s_mov_b32 s0, 0xc2ce8ed0
	v_ldexp_f32 v19, v19, v21
	v_cmp_ngt_f32_e64 s[0:1], s0, v17
	v_cndmask_b32_e64 v19, 0, v19, s[0:1]
	s_mov_b32 s0, 0x42b17218
	v_mov_b32_e32 v21, 0x7f800000
	v_cmp_nlt_f32_e64 s[0:1], s0, v17
	v_cndmask_b32_e64 v24, v21, v19, s[0:1]
	v_ashrrev_i32_e32 v21, 31, v20
	v_lshlrev_b64 v[46:47], 2, v[20:21]
	v_mov_b32_e32 v17, s7
	v_add_co_u32_e64 v46, s[0:1], s6, v46
	v_addc_co_u32_e64 v47, s[0:1], v17, v47, s[0:1]
	v_subrev_u32_e32 v17, s9, v45
	v_mov_b32_e32 v19, 0x200
	s_and_b64 s[0:1], s[16:17], s[2:3]
	v_cndmask_b32_e64 v17, v19, v17, s[0:1]
	v_ashrrev_i32_e32 v19, 31, v18
	global_store_dword v[46:47], v24, off
	v_lshlrev_b64 v[46:47], 2, v[18:19]
	v_mov_b32_e32 v19, s13
	v_add_co_u32_e64 v46, s[0:1], s12, v46
	v_addc_co_u32_e64 v47, s[0:1], v19, v47, s[0:1]
	global_store_dword v[46:47], v17, off
	v_ashrrev_i32_e32 v17, 31, v16
	v_lshlrev_b64 v[46:47], 2, v[16:17]
	v_mov_b32_e32 v17, s15
	v_add_co_u32_e64 v46, s[0:1], s14, v46
	v_addc_co_u32_e64 v47, s[0:1], v17, v47, s[0:1]
	global_store_dword v[46:47], v22, off
.LBB95_9:
	s_or_b64 exec, exec, s[4:5]
	s_waitcnt lgkmcnt(0)
	v_ashrrev_i32_e32 v19, 31, v45
	v_lshrrev_b32_e32 v17, 28, v19
	v_add_u32_e32 v17, v45, v17
	v_ashrrev_i32_e32 v17, 4, v17
	v_lshrrev_b32_e32 v21, 27, v17
	v_add_u32_e32 v21, v17, v21
	v_and_b32_e32 v21, 0xffffffe0, v21
	v_sub_u32_e32 v21, v17, v21
	v_cmp_eq_u32_e64 s[0:1], v23, v21
	s_and_saveexec_b64 s[2:3], s[0:1]
	s_cbranch_execz .LBB95_11
; %bb.10:
	v_lshrrev_b32_e32 v19, 23, v19
	v_add_u32_e32 v19, v45, v19
	v_lshlrev_b32_e32 v17, 4, v17
	v_ashrrev_i32_e32 v19, 9, v19
	v_sub_u32_e32 v17, v45, v17
	v_lshl_add_u32 v17, v19, 4, v17
	v_mov_b32_e32 v19, 0xff800000
	v_cmp_ne_u32_e64 s[0:1], 15, v17
	v_cndmask_b32_e64 v3, v19, v3, s[0:1]
	v_cmp_ne_u32_e64 s[0:1], 14, v17
	v_cndmask_b32_e64 v2, v19, v2, s[0:1]
	;; [unrolled: 2-line block ×16, first 2 shown]
.LBB95_11:
	s_or_b64 exec, exec, s[2:3]
	s_cmp_eq_u32 s8, 1
	s_cbranch_scc1 .LBB95_18
; %bb.12:
	s_add_i32 s23, s23, s22
	s_add_i32 s20, s8, -1
	v_add3_u32 v41, s23, v42, v41
	v_add_u32_e32 v16, 1, v16
	v_add_u32_e32 v18, 1, v18
	;; [unrolled: 1-line block ×3, first 2 shown]
	s_mov_b32 s21, 0x3fb8aa3b
	s_mov_b32 s23, 0xc2ce8ed0
	;; [unrolled: 1-line block ×3, first 2 shown]
	v_mov_b32_e32 v42, 0x7f800000
	v_mov_b32_e32 v45, 0x200
	;; [unrolled: 1-line block ×3, first 2 shown]
	s_branch .LBB95_14
.LBB95_13:                              ;   in Loop: Header=BB95_14 Depth=1
	s_or_b64 exec, exec, s[2:3]
	s_add_i32 s20, s20, -1
	v_add_u32_e32 v41, s22, v41
	v_add_u32_e32 v16, 1, v16
	;; [unrolled: 1-line block ×3, first 2 shown]
	s_cmp_eq_u32 s20, 0
	v_add_u32_e32 v20, 1, v20
	s_cbranch_scc1 .LBB95_18
.LBB95_14:                              ; =>This Inner Loop Header: Depth=1
	v_cmp_gt_f32_e64 s[0:1], v13, v12
	v_cndmask_b32_e64 v19, v12, v13, s[0:1]
	v_cndmask_b32_e64 v17, v25, v26, s[0:1]
	v_cmp_gt_f32_e64 s[0:1], v14, v19
	v_cndmask_b32_e64 v19, v19, v14, s[0:1]
	v_cndmask_b32_e64 v17, v17, v27, s[0:1]
	;; [unrolled: 3-line block ×15, first 2 shown]
	s_nop 0
	v_mov_b32_dpp v21, v17 quad_perm:[1,0,3,2] row_mask:0xf bank_mask:0xf
	v_mov_b32_dpp v47, v19 quad_perm:[1,0,3,2] row_mask:0xf bank_mask:0xf
	v_cmp_eq_f32_e64 s[2:3], v19, v47
	v_cmp_lt_i32_e64 s[4:5], v21, v17
	v_cmp_lt_f32_e64 s[0:1], v19, v47
	s_and_b64 s[2:3], s[2:3], s[4:5]
	s_or_b64 s[0:1], s[0:1], s[2:3]
	v_cndmask_b32_e64 v19, v19, v47, s[0:1]
	v_cndmask_b32_e64 v17, v17, v21, s[0:1]
	s_nop 0
	v_mov_b32_dpp v47, v19 quad_perm:[2,3,0,1] row_mask:0xf bank_mask:0xf
	v_mov_b32_dpp v21, v17 quad_perm:[2,3,0,1] row_mask:0xf bank_mask:0xf
	v_cmp_eq_f32_e64 s[2:3], v19, v47
	v_cmp_lt_i32_e64 s[4:5], v21, v17
	v_cmp_lt_f32_e64 s[0:1], v19, v47
	s_and_b64 s[2:3], s[2:3], s[4:5]
	s_or_b64 s[0:1], s[0:1], s[2:3]
	v_cndmask_b32_e64 v19, v19, v47, s[0:1]
	v_cndmask_b32_e64 v17, v17, v21, s[0:1]
	s_nop 0
	v_mov_b32_dpp v47, v19 row_half_mirror row_mask:0xf bank_mask:0xf
	v_mov_b32_dpp v21, v17 row_half_mirror row_mask:0xf bank_mask:0xf
	v_cmp_eq_f32_e64 s[2:3], v19, v47
	v_cmp_lt_i32_e64 s[4:5], v21, v17
	v_cmp_lt_f32_e64 s[0:1], v19, v47
	s_and_b64 s[2:3], s[2:3], s[4:5]
	s_or_b64 s[0:1], s[0:1], s[2:3]
	v_cndmask_b32_e64 v19, v19, v47, s[0:1]
	v_cndmask_b32_e64 v17, v17, v21, s[0:1]
	s_nop 0
	v_mov_b32_dpp v47, v19 row_mirror row_mask:0xf bank_mask:0xf
	v_mov_b32_dpp v21, v17 row_mirror row_mask:0xf bank_mask:0xf
	v_cmp_eq_f32_e64 s[2:3], v19, v47
	v_cmp_lt_i32_e64 s[4:5], v21, v17
	v_cmp_lt_f32_e64 s[0:1], v19, v47
	s_and_b64 s[2:3], s[2:3], s[4:5]
	s_or_b64 s[0:1], s[0:1], s[2:3]
	v_cndmask_b32_e64 v19, v19, v47, s[0:1]
	v_cndmask_b32_e64 v17, v17, v21, s[0:1]
	s_nop 0
	v_mov_b32_dpp v47, v19 row_bcast:15 row_mask:0xa bank_mask:0xf
	v_mov_b32_dpp v21, v17 row_bcast:15 row_mask:0xa bank_mask:0xf
	v_cmp_eq_f32_e64 s[0:1], v19, v47
	v_cmp_lt_i32_e64 s[2:3], v21, v17
	s_and_b64 s[0:1], s[0:1], s[2:3]
	v_cmp_lt_f32_e64 s[2:3], v19, v47
	v_cndmask_b32_e64 v48, v19, v47, s[0:1]
	s_or_b64 s[0:1], s[2:3], s[0:1]
	v_cndmask_b32_e64 v19, v48, v47, s[2:3]
	v_cndmask_b32_e64 v17, v17, v21, s[0:1]
	ds_bpermute_b32 v47, v43, v17
	ds_bpermute_b32 v17, v43, v19
	s_and_saveexec_b64 s[4:5], vcc
	s_cbranch_execz .LBB95_16
; %bb.15:                               ;   in Loop: Header=BB95_14 Depth=1
	s_waitcnt lgkmcnt(0)
	v_sub_f32_e32 v17, v17, v44
	v_mul_f32_e32 v19, 0x3fb8aa3b, v17
	v_fma_f32 v21, v17, s21, -v19
	v_rndne_f32_e32 v48, v19
	v_fmac_f32_e32 v21, 0x32a5705f, v17
	v_sub_f32_e32 v19, v19, v48
	v_add_f32_e32 v19, v19, v21
	v_exp_f32_e32 v19, v19
	v_cvt_i32_f32_e32 v21, v48
	v_cmp_le_i32_e64 s[0:1], s9, v47
	v_cmp_gt_i32_e64 s[2:3], s10, v47
	s_and_b64 s[2:3], s[0:1], s[2:3]
	v_ldexp_f32 v19, v19, v21
	v_cmp_ngt_f32_e64 s[0:1], s23, v17
	v_ashrrev_i32_e32 v21, 31, v20
	v_cndmask_b32_e64 v19, 0, v19, s[0:1]
	v_cmp_nlt_f32_e64 s[0:1], s24, v17
	v_lshlrev_b64 v[48:49], 2, v[20:21]
	v_cndmask_b32_e64 v50, v42, v19, s[0:1]
	v_mov_b32_e32 v17, s7
	v_add_co_u32_e64 v48, s[0:1], s6, v48
	v_addc_co_u32_e64 v49, s[0:1], v17, v49, s[0:1]
	v_ashrrev_i32_e32 v19, 31, v18
	global_store_dword v[48:49], v50, off
	v_subrev_u32_e32 v17, s9, v47
	s_and_b64 s[0:1], s[16:17], s[2:3]
	v_lshlrev_b64 v[48:49], 2, v[18:19]
	v_cndmask_b32_e64 v17, v45, v17, s[0:1]
	v_mov_b32_e32 v19, s13
	v_add_co_u32_e64 v48, s[0:1], s12, v48
	v_addc_co_u32_e64 v49, s[0:1], v19, v49, s[0:1]
	global_store_dword v[48:49], v17, off
	v_ashrrev_i32_e32 v17, 31, v16
	v_lshlrev_b64 v[48:49], 2, v[16:17]
	v_mov_b32_e32 v17, s15
	v_add_co_u32_e64 v48, s[0:1], s14, v48
	v_addc_co_u32_e64 v49, s[0:1], v17, v49, s[0:1]
	v_add_f32_e32 v24, v24, v50
	global_store_dword v[48:49], v41, off
.LBB95_16:                              ;   in Loop: Header=BB95_14 Depth=1
	s_or_b64 exec, exec, s[4:5]
	s_waitcnt lgkmcnt(1)
	v_ashrrev_i32_e32 v19, 31, v47
	s_waitcnt lgkmcnt(0)
	v_lshrrev_b32_e32 v17, 28, v19
	v_add_u32_e32 v17, v47, v17
	v_ashrrev_i32_e32 v17, 4, v17
	v_lshrrev_b32_e32 v21, 27, v17
	v_add_u32_e32 v21, v17, v21
	v_and_b32_e32 v21, 0xffffffe0, v21
	v_sub_u32_e32 v21, v17, v21
	v_cmp_eq_u32_e64 s[0:1], v23, v21
	s_and_saveexec_b64 s[2:3], s[0:1]
	s_cbranch_execz .LBB95_13
; %bb.17:                               ;   in Loop: Header=BB95_14 Depth=1
	v_lshrrev_b32_e32 v19, 23, v19
	v_add_u32_e32 v19, v47, v19
	v_lshlrev_b32_e32 v17, 4, v17
	v_ashrrev_i32_e32 v19, 9, v19
	v_sub_u32_e32 v17, v47, v17
	v_lshl_add_u32 v17, v19, 4, v17
	v_cmp_ne_u32_e64 s[0:1], 15, v17
	v_cndmask_b32_e64 v3, v46, v3, s[0:1]
	v_cmp_ne_u32_e64 s[0:1], 14, v17
	v_cndmask_b32_e64 v2, v46, v2, s[0:1]
	;; [unrolled: 2-line block ×16, first 2 shown]
	s_branch .LBB95_13
.LBB95_18:
	v_cmp_eq_u32_e32 vcc, 0, v23
	v_cmp_neq_f32_e64 s[0:1], 0, v24
	s_and_b64 s[0:1], vcc, s[0:1]
	s_and_b64 exec, exec, s[0:1]
	s_cbranch_execz .LBB95_29
; %bb.19:
	s_andn2_b64 vcc, exec, s[18:19]
	s_cbranch_vccnz .LBB95_29
; %bb.20:
	v_div_scale_f32 v0, s[0:1], v24, v24, 1.0
	v_rcp_f32_e32 v1, v0
	v_div_scale_f32 v2, vcc, 1.0, v24, 1.0
	s_cmp_gt_u32 s8, 3
	v_fma_f32 v3, -v0, v1, 1.0
	v_fmac_f32_e32 v1, v3, v1
	v_mul_f32_e32 v3, v2, v1
	v_fma_f32 v4, -v0, v3, v2
	v_fmac_f32_e32 v3, v4, v1
	v_fma_f32 v0, -v0, v3, v2
	v_div_fmas_f32 v0, v0, v1, v3
	v_mul_lo_u32 v2, v22, s11
	v_div_fixup_f32 v0, v0, v24, 1.0
	v_ashrrev_i32_e32 v3, 31, v2
	s_cbranch_scc0 .LBB95_24
; %bb.21:
	v_lshlrev_b64 v[4:5], 2, v[2:3]
	v_mov_b32_e32 v6, s7
	v_add_co_u32_e32 v4, vcc, s6, v4
	v_addc_co_u32_e32 v5, vcc, v5, v6, vcc
	s_and_b32 s4, s8, 0x7ffffffc
	v_add_co_u32_e32 v4, vcc, 8, v4
	v_mov_b32_e32 v1, v0
	v_addc_co_u32_e32 v5, vcc, 0, v5, vcc
	s_mov_b32 s0, s4
.LBB95_22:                              ; =>This Inner Loop Header: Depth=1
	global_load_dwordx4 v[6:9], v[4:5], off offset:-8
	s_add_i32 s0, s0, -4
	s_cmp_lg_u32 s0, 0
	s_waitcnt vmcnt(0)
	v_pk_mul_f32 v[6:7], v[0:1], v[6:7]
	v_pk_mul_f32 v[8:9], v[0:1], v[8:9]
	global_store_dwordx4 v[4:5], v[6:9], off offset:-8
	v_add_co_u32_e32 v4, vcc, 16, v4
	v_addc_co_u32_e32 v5, vcc, 0, v5, vcc
	s_cbranch_scc1 .LBB95_22
; %bb.23:
	s_cmp_lg_u32 s4, s8
	s_cselect_b64 s[0:1], -1, 0
	s_branch .LBB95_26
.LBB95_24:
	s_mov_b64 s[0:1], 0
                                        ; implicit-def: $sgpr4
	s_cbranch_execz .LBB95_26
; %bb.25:
	s_mov_b64 s[0:1], -1
	s_mov_b32 s4, 0
.LBB95_26:
	s_andn2_b64 vcc, exec, s[0:1]
	s_cbranch_vccnz .LBB95_29
; %bb.27:
	v_add_co_u32_e32 v2, vcc, s4, v2
	v_addc_co_u32_e32 v3, vcc, 0, v3, vcc
	v_lshlrev_b64 v[2:3], 2, v[2:3]
	v_mov_b32_e32 v1, s7
	v_add_co_u32_e32 v2, vcc, s6, v2
	s_sub_i32 s0, s8, s4
	v_addc_co_u32_e32 v3, vcc, v1, v3, vcc
.LBB95_28:                              ; =>This Inner Loop Header: Depth=1
	global_load_dword v1, v[2:3], off
	s_add_i32 s0, s0, -1
	s_cmp_lg_u32 s0, 0
	s_waitcnt vmcnt(0)
	v_mul_f32_e32 v1, v0, v1
	global_store_dword v[2:3], v1, off
	v_add_co_u32_e32 v2, vcc, 4, v2
	v_addc_co_u32_e32 v3, vcc, 0, v3, vcc
	s_cbranch_scc1 .LBB95_28
.LBB95_29:
	s_endpgm
	.section	.rodata,"a",@progbits
	.p2align	6, 0x0
	.amdhsa_kernel _ZN4vllm3moe17topkGatingSoftmaxIfLi16ELi512ELi2ELi64ELb1ELi2ELNS0_23SharedExpertScoringFuncE1EEEvPKT_PKbPfiPiS9_iiiiii
		.amdhsa_group_segment_fixed_size 0
		.amdhsa_private_segment_fixed_size 0
		.amdhsa_kernarg_size 72
		.amdhsa_user_sgpr_count 6
		.amdhsa_user_sgpr_private_segment_buffer 1
		.amdhsa_user_sgpr_dispatch_ptr 0
		.amdhsa_user_sgpr_queue_ptr 0
		.amdhsa_user_sgpr_kernarg_segment_ptr 1
		.amdhsa_user_sgpr_dispatch_id 0
		.amdhsa_user_sgpr_flat_scratch_init 0
		.amdhsa_user_sgpr_kernarg_preload_length 0
		.amdhsa_user_sgpr_kernarg_preload_offset 0
		.amdhsa_user_sgpr_private_segment_size 0
		.amdhsa_uses_dynamic_stack 0
		.amdhsa_system_sgpr_private_segment_wavefront_offset 0
		.amdhsa_system_sgpr_workgroup_id_x 1
		.amdhsa_system_sgpr_workgroup_id_y 0
		.amdhsa_system_sgpr_workgroup_id_z 0
		.amdhsa_system_sgpr_workgroup_info 0
		.amdhsa_system_vgpr_workitem_id 1
		.amdhsa_next_free_vgpr 51
		.amdhsa_next_free_sgpr 25
		.amdhsa_accum_offset 52
		.amdhsa_reserve_vcc 1
		.amdhsa_reserve_flat_scratch 0
		.amdhsa_float_round_mode_32 0
		.amdhsa_float_round_mode_16_64 0
		.amdhsa_float_denorm_mode_32 3
		.amdhsa_float_denorm_mode_16_64 3
		.amdhsa_dx10_clamp 1
		.amdhsa_ieee_mode 1
		.amdhsa_fp16_overflow 0
		.amdhsa_tg_split 0
		.amdhsa_exception_fp_ieee_invalid_op 0
		.amdhsa_exception_fp_denorm_src 0
		.amdhsa_exception_fp_ieee_div_zero 0
		.amdhsa_exception_fp_ieee_overflow 0
		.amdhsa_exception_fp_ieee_underflow 0
		.amdhsa_exception_fp_ieee_inexact 0
		.amdhsa_exception_int_div_zero 0
	.end_amdhsa_kernel
	.section	.text._ZN4vllm3moe17topkGatingSoftmaxIfLi16ELi512ELi2ELi64ELb1ELi2ELNS0_23SharedExpertScoringFuncE1EEEvPKT_PKbPfiPiS9_iiiiii,"axG",@progbits,_ZN4vllm3moe17topkGatingSoftmaxIfLi16ELi512ELi2ELi64ELb1ELi2ELNS0_23SharedExpertScoringFuncE1EEEvPKT_PKbPfiPiS9_iiiiii,comdat
.Lfunc_end95:
	.size	_ZN4vllm3moe17topkGatingSoftmaxIfLi16ELi512ELi2ELi64ELb1ELi2ELNS0_23SharedExpertScoringFuncE1EEEvPKT_PKbPfiPiS9_iiiiii, .Lfunc_end95-_ZN4vllm3moe17topkGatingSoftmaxIfLi16ELi512ELi2ELi64ELb1ELi2ELNS0_23SharedExpertScoringFuncE1EEEvPKT_PKbPfiPiS9_iiiiii
                                        ; -- End function
	.section	.AMDGPU.csdata,"",@progbits
; Kernel info:
; codeLenInByte = 3596
; NumSgprs: 29
; NumVgprs: 51
; NumAgprs: 0
; TotalNumVgprs: 51
; ScratchSize: 0
; MemoryBound: 0
; FloatMode: 240
; IeeeMode: 1
; LDSByteSize: 0 bytes/workgroup (compile time only)
; SGPRBlocks: 3
; VGPRBlocks: 6
; NumSGPRsForWavesPerEU: 29
; NumVGPRsForWavesPerEU: 51
; AccumOffset: 52
; Occupancy: 8
; WaveLimiterHint : 0
; COMPUTE_PGM_RSRC2:SCRATCH_EN: 0
; COMPUTE_PGM_RSRC2:USER_SGPR: 6
; COMPUTE_PGM_RSRC2:TRAP_HANDLER: 0
; COMPUTE_PGM_RSRC2:TGID_X_EN: 1
; COMPUTE_PGM_RSRC2:TGID_Y_EN: 0
; COMPUTE_PGM_RSRC2:TGID_Z_EN: 0
; COMPUTE_PGM_RSRC2:TIDIG_COMP_CNT: 1
; COMPUTE_PGM_RSRC3_GFX90A:ACCUM_OFFSET: 12
; COMPUTE_PGM_RSRC3_GFX90A:TG_SPLIT: 0
	.section	.text._ZN4vllm3moe17topkGatingSoftmaxIfLi16ELi512ELi2ELi64ELb0ELi2ELNS0_23SharedExpertScoringFuncE1EEEvPKT_PKbPfiPiS9_iiiiii,"axG",@progbits,_ZN4vllm3moe17topkGatingSoftmaxIfLi16ELi512ELi2ELi64ELb0ELi2ELNS0_23SharedExpertScoringFuncE1EEEvPKT_PKbPfiPiS9_iiiiii,comdat
	.protected	_ZN4vllm3moe17topkGatingSoftmaxIfLi16ELi512ELi2ELi64ELb0ELi2ELNS0_23SharedExpertScoringFuncE1EEEvPKT_PKbPfiPiS9_iiiiii ; -- Begin function _ZN4vllm3moe17topkGatingSoftmaxIfLi16ELi512ELi2ELi64ELb0ELi2ELNS0_23SharedExpertScoringFuncE1EEEvPKT_PKbPfiPiS9_iiiiii
	.globl	_ZN4vllm3moe17topkGatingSoftmaxIfLi16ELi512ELi2ELi64ELb0ELi2ELNS0_23SharedExpertScoringFuncE1EEEvPKT_PKbPfiPiS9_iiiiii
	.p2align	8
	.type	_ZN4vllm3moe17topkGatingSoftmaxIfLi16ELi512ELi2ELi64ELb0ELi2ELNS0_23SharedExpertScoringFuncE1EEEvPKT_PKbPfiPiS9_iiiiii,@function
_ZN4vllm3moe17topkGatingSoftmaxIfLi16ELi512ELi2ELi64ELb0ELi2ELNS0_23SharedExpertScoringFuncE1EEEvPKT_PKbPfiPiS9_iiiiii: ; @_ZN4vllm3moe17topkGatingSoftmaxIfLi16ELi512ELi2ELi64ELb0ELi2ELNS0_23SharedExpertScoringFuncE1EEEvPKT_PKbPfiPiS9_iiiiii
; %bb.0:
	s_load_dword s22, s[4:5], 0x18
	v_bfe_u32 v1, v0, 10, 10
	v_and_b32_e32 v0, 0x3ff, v0
	s_lshl_b32 s23, s6, 2
	v_lshlrev_b32_e32 v43, 1, v1
	v_lshrrev_b32_e32 v44, 5, v0
	v_add3_u32 v22, s23, v43, v44
	s_waitcnt lgkmcnt(0)
	v_cmp_gt_i32_e32 vcc, s22, v22
	s_and_saveexec_b64 s[0:1], vcc
	s_cbranch_execz .LBB96_31
; %bb.1:
	s_load_dwordx4 s[0:3], s[4:5], 0x0
	s_load_dwordx2 s[6:7], s[4:5], 0x10
	s_waitcnt lgkmcnt(0)
	s_cmp_eq_u64 s[2:3], 0
	s_cbranch_scc1 .LBB96_3
; %bb.2:
	v_ashrrev_i32_e32 v1, 31, v22
	v_mov_b32_e32 v3, s3
	v_add_co_u32_e32 v2, vcc, s2, v22
	v_addc_co_u32_e32 v3, vcc, v3, v1, vcc
	global_load_ubyte v1, v[2:3], off
	s_waitcnt vmcnt(0)
	v_and_b32_e32 v1, 1, v1
	v_cmp_eq_u32_e32 vcc, 1, v1
	s_xor_b64 s[2:3], vcc, -1
	s_orn2_b64 s[18:19], s[2:3], exec
	s_branch .LBB96_4
.LBB96_3:
	s_mov_b64 s[18:19], -1
.LBB96_4:
	s_load_dwordx2 s[20:21], s[4:5], 0x40
	s_load_dwordx4 s[8:11], s[4:5], 0x30
	v_mov_b32_e32 v1, s1
	v_and_b32_e32 v23, 31, v0
	v_lshlrev_b32_e32 v0, 6, v23
	s_waitcnt lgkmcnt(0)
	v_mul_lo_u32 v2, v22, s21
	v_ashrrev_i32_e32 v3, 31, v2
	v_lshlrev_b64 v[2:3], 2, v[2:3]
	v_add_co_u32_e32 v16, vcc, s0, v2
	v_addc_co_u32_e32 v17, vcc, v1, v3, vcc
	v_add_co_u32_e32 v18, vcc, v16, v0
	v_addc_co_u32_e32 v19, vcc, 0, v17, vcc
	global_load_dwordx4 v[0:3], v[18:19], off offset:48
	global_load_dwordx4 v[4:7], v[18:19], off offset:32
	;; [unrolled: 1-line block ×3, first 2 shown]
	global_load_dwordx4 v[12:15], v[18:19], off
	v_lshlrev_b32_e32 v27, 4, v23
	v_mov_b32_e32 v24, 0
	v_cmp_gt_u32_e32 vcc, 2, v23
	s_and_saveexec_b64 s[0:1], vcc
	s_cbranch_execz .LBB96_6
; %bb.5:
	v_lshlrev_b32_e32 v18, 2, v23
	v_add_co_u32_e32 v16, vcc, v16, v18
	v_addc_co_u32_e32 v17, vcc, 0, v17, vcc
	global_load_dword v18, v[16:17], off offset:2048
	s_mov_b32 s2, 0xbfb8aa3b
	s_mov_b32 s3, 0x42ce8ed0
	;; [unrolled: 1-line block ×3, first 2 shown]
	v_mov_b32_e32 v19, 0x7f800000
	v_mul_lo_u32 v16, v22, s11
	v_add3_u32 v16, v16, s8, v23
	v_mov_b32_e32 v25, s7
	s_waitcnt vmcnt(0)
	v_mul_f32_e32 v17, 0xbfb8aa3b, v18
	v_fma_f32 v20, v18, s2, -v17
	v_rndne_f32_e32 v21, v17
	v_fmac_f32_e32 v20, 0xb2a5705f, v18
	v_sub_f32_e32 v17, v17, v21
	v_add_f32_e32 v17, v17, v20
	v_cvt_i32_f32_e32 v21, v21
	v_exp_f32_e32 v20, v17
	v_cmp_nlt_f32_e32 vcc, s3, v18
	v_ashrrev_i32_e32 v17, 31, v16
	v_lshlrev_b64 v[16:17], 2, v[16:17]
	v_ldexp_f32 v20, v20, v21
	v_cndmask_b32_e32 v20, 0, v20, vcc
	v_cmp_ngt_f32_e32 vcc, s12, v18
	v_cndmask_b32_e32 v18, v19, v20, vcc
	v_add_f32_e32 v18, 1.0, v18
	v_div_scale_f32 v19, s[2:3], v18, v18, 1.0
	v_rcp_f32_e32 v20, v19
	v_div_scale_f32 v21, vcc, 1.0, v18, 1.0
	v_fma_f32 v26, -v19, v20, 1.0
	v_fmac_f32_e32 v20, v26, v20
	v_mul_f32_e32 v26, v21, v20
	v_fma_f32 v28, -v19, v26, v21
	v_fmac_f32_e32 v26, v28, v20
	v_fma_f32 v19, -v19, v26, v21
	v_div_fmas_f32 v19, v19, v20, v26
	v_add_co_u32_e32 v16, vcc, s6, v16
	v_div_fixup_f32 v18, v19, v18, 1.0
	v_addc_co_u32_e32 v17, vcc, v25, v17, vcc
	global_store_dword v[16:17], v18, off
.LBB96_6:
	s_or_b64 exec, exec, s[0:1]
	s_waitcnt vmcnt(0)
	v_cmp_lt_f32_e32 vcc, v12, v13
	v_or_b32_e32 v28, 1, v27
	v_cndmask_b32_e32 v17, v12, v13, vcc
	v_cndmask_b32_e32 v16, v27, v28, vcc
	v_cmp_lt_f32_e32 vcc, v17, v14
	v_or_b32_e32 v29, 2, v27
	v_cndmask_b32_e32 v17, v17, v14, vcc
	v_cndmask_b32_e32 v16, v16, v29, vcc
	v_cmp_lt_f32_e32 vcc, v17, v15
	v_or_b32_e32 v30, 3, v27
	v_cndmask_b32_e32 v17, v17, v15, vcc
	v_cndmask_b32_e32 v16, v16, v30, vcc
	v_cmp_lt_f32_e32 vcc, v17, v8
	v_or_b32_e32 v31, 4, v27
	v_cndmask_b32_e32 v17, v17, v8, vcc
	v_cndmask_b32_e32 v16, v16, v31, vcc
	v_cmp_lt_f32_e32 vcc, v17, v9
	v_or_b32_e32 v32, 5, v27
	v_cndmask_b32_e32 v17, v17, v9, vcc
	v_cndmask_b32_e32 v16, v16, v32, vcc
	v_cmp_lt_f32_e32 vcc, v17, v10
	v_or_b32_e32 v33, 6, v27
	v_cndmask_b32_e32 v17, v17, v10, vcc
	v_cndmask_b32_e32 v16, v16, v33, vcc
	v_cmp_lt_f32_e32 vcc, v17, v11
	v_or_b32_e32 v34, 7, v27
	v_cndmask_b32_e32 v17, v17, v11, vcc
	v_cndmask_b32_e32 v16, v16, v34, vcc
	v_cmp_lt_f32_e32 vcc, v17, v4
	v_or_b32_e32 v35, 8, v27
	v_cndmask_b32_e32 v17, v17, v4, vcc
	v_cndmask_b32_e32 v16, v16, v35, vcc
	v_cmp_lt_f32_e32 vcc, v17, v5
	v_or_b32_e32 v36, 9, v27
	v_cndmask_b32_e32 v17, v17, v5, vcc
	v_cndmask_b32_e32 v16, v16, v36, vcc
	v_cmp_lt_f32_e32 vcc, v17, v6
	v_or_b32_e32 v37, 10, v27
	v_cndmask_b32_e32 v17, v17, v6, vcc
	v_cndmask_b32_e32 v16, v16, v37, vcc
	v_cmp_lt_f32_e32 vcc, v17, v7
	v_or_b32_e32 v38, 11, v27
	v_cndmask_b32_e32 v17, v17, v7, vcc
	v_cndmask_b32_e32 v16, v16, v38, vcc
	v_cmp_lt_f32_e32 vcc, v17, v0
	v_or_b32_e32 v39, 12, v27
	v_cndmask_b32_e32 v17, v17, v0, vcc
	v_cndmask_b32_e32 v16, v16, v39, vcc
	v_cmp_lt_f32_e32 vcc, v17, v1
	v_or_b32_e32 v40, 13, v27
	v_cndmask_b32_e32 v17, v17, v1, vcc
	v_cndmask_b32_e32 v16, v16, v40, vcc
	v_cmp_lt_f32_e32 vcc, v17, v2
	v_or_b32_e32 v41, 14, v27
	v_cndmask_b32_e32 v17, v17, v2, vcc
	v_cndmask_b32_e32 v16, v16, v41, vcc
	v_or_b32_e32 v42, 15, v27
	v_cmp_lt_f32_e32 vcc, v17, v3
	v_cndmask_b32_e32 v16, v16, v42, vcc
	v_cndmask_b32_e32 v17, v17, v3, vcc
	s_nop 0
	v_mov_b32_dpp v18, v16 quad_perm:[1,0,3,2] row_mask:0xf bank_mask:0xf
	v_mov_b32_dpp v19, v17 quad_perm:[1,0,3,2] row_mask:0xf bank_mask:0xf
	v_cmp_eq_f32_e64 s[0:1], v17, v19
	v_cmp_lt_i32_e64 s[2:3], v18, v16
	v_cmp_lt_f32_e32 vcc, v17, v19
	s_and_b64 s[0:1], s[0:1], s[2:3]
	s_or_b64 vcc, vcc, s[0:1]
	v_cndmask_b32_e32 v17, v17, v19, vcc
	v_cndmask_b32_e32 v16, v16, v18, vcc
	s_nop 0
	v_mov_b32_dpp v19, v17 quad_perm:[2,3,0,1] row_mask:0xf bank_mask:0xf
	v_mov_b32_dpp v18, v16 quad_perm:[2,3,0,1] row_mask:0xf bank_mask:0xf
	v_cmp_eq_f32_e64 s[0:1], v17, v19
	v_cmp_lt_i32_e64 s[2:3], v18, v16
	v_cmp_lt_f32_e32 vcc, v17, v19
	s_and_b64 s[0:1], s[0:1], s[2:3]
	s_or_b64 vcc, vcc, s[0:1]
	v_cndmask_b32_e32 v17, v17, v19, vcc
	v_cndmask_b32_e32 v16, v16, v18, vcc
	s_nop 0
	v_mov_b32_dpp v19, v17 row_half_mirror row_mask:0xf bank_mask:0xf
	v_mov_b32_dpp v18, v16 row_half_mirror row_mask:0xf bank_mask:0xf
	v_cmp_eq_f32_e64 s[0:1], v17, v19
	v_cmp_lt_i32_e64 s[2:3], v18, v16
	v_cmp_lt_f32_e32 vcc, v17, v19
	s_and_b64 s[0:1], s[0:1], s[2:3]
	s_or_b64 vcc, vcc, s[0:1]
	v_cndmask_b32_e32 v17, v17, v19, vcc
	v_cndmask_b32_e32 v16, v16, v18, vcc
	s_nop 0
	v_mov_b32_dpp v19, v17 row_mirror row_mask:0xf bank_mask:0xf
	v_mov_b32_dpp v18, v16 row_mirror row_mask:0xf bank_mask:0xf
	v_cmp_eq_f32_e64 s[0:1], v17, v19
	v_cmp_lt_i32_e64 s[2:3], v18, v16
	v_cmp_lt_f32_e32 vcc, v17, v19
	s_and_b64 s[0:1], s[0:1], s[2:3]
	s_or_b64 vcc, vcc, s[0:1]
	v_cndmask_b32_e32 v17, v17, v19, vcc
	v_cndmask_b32_e32 v16, v16, v18, vcc
	s_nop 0
	v_mov_b32_dpp v19, v17 row_bcast:15 row_mask:0xa bank_mask:0xf
	v_mov_b32_dpp v18, v16 row_bcast:15 row_mask:0xa bank_mask:0xf
	v_cmp_eq_f32_e32 vcc, v17, v19
	v_cmp_lt_i32_e64 s[0:1], v18, v16
	s_and_b64 vcc, vcc, s[0:1]
	v_cmp_lt_f32_e64 s[0:1], v17, v19
	v_cndmask_b32_e32 v20, v17, v19, vcc
	s_or_b64 vcc, s[0:1], vcc
	v_cndmask_b32_e32 v16, v16, v18, vcc
	v_mbcnt_lo_u32_b32 v18, -1, 0
	v_cndmask_b32_e64 v17, v20, v19, s[0:1]
	v_mbcnt_hi_u32_b32 v18, -1, v18
	v_mov_b32_e32 v19, 0x7c
	v_lshl_or_b32 v25, v18, 2, v19
	ds_bpermute_b32 v45, v25, v16
	ds_bpermute_b32 v26, v25, v17
	s_cmp_gt_i32 s8, 0
	s_cselect_b64 s[16:17], -1, 0
	s_cmp_lt_i32 s8, 1
	v_cmp_eq_u32_e32 vcc, 0, v23
	s_cbranch_scc1 .LBB96_18
; %bb.7:
	s_load_dwordx4 s[12:15], s[4:5], 0x20
	v_mul_lo_u32 v20, v22, s11
	v_mul_lo_u32 v18, v22, s20
	;; [unrolled: 1-line block ×3, first 2 shown]
	v_mov_b32_e32 v24, 0
	s_and_saveexec_b64 s[4:5], vcc
	s_cbranch_execz .LBB96_9
; %bb.8:
	s_waitcnt lgkmcnt(0)
	v_sub_f32_e32 v17, v26, v26
	v_mul_f32_e32 v19, 0x3fb8aa3b, v17
	s_mov_b32 s0, 0x3fb8aa3b
	v_rndne_f32_e32 v21, v19
	v_sub_f32_e32 v24, v19, v21
	v_fma_f32 v19, v17, s0, -v19
	v_fmac_f32_e32 v19, 0x32a5705f, v17
	v_add_f32_e32 v19, v24, v19
	v_exp_f32_e32 v19, v19
	v_cvt_i32_f32_e32 v21, v21
	v_cmp_le_i32_e64 s[0:1], s9, v45
	v_cmp_gt_i32_e64 s[2:3], s10, v45
	s_and_b64 s[2:3], s[0:1], s[2:3]
	s_mov_b32 s0, 0xc2ce8ed0
	v_ldexp_f32 v19, v19, v21
	v_cmp_ngt_f32_e64 s[0:1], s0, v17
	v_cndmask_b32_e64 v19, 0, v19, s[0:1]
	s_mov_b32 s0, 0x42b17218
	v_mov_b32_e32 v21, 0x7f800000
	v_cmp_nlt_f32_e64 s[0:1], s0, v17
	v_cndmask_b32_e64 v24, v21, v19, s[0:1]
	v_ashrrev_i32_e32 v21, 31, v20
	v_lshlrev_b64 v[46:47], 2, v[20:21]
	v_mov_b32_e32 v17, s7
	v_add_co_u32_e64 v46, s[0:1], s6, v46
	v_addc_co_u32_e64 v47, s[0:1], v17, v47, s[0:1]
	v_subrev_u32_e32 v17, s9, v45
	v_mov_b32_e32 v19, 0x200
	s_and_b64 s[0:1], s[18:19], s[2:3]
	v_cndmask_b32_e64 v17, v19, v17, s[0:1]
	v_ashrrev_i32_e32 v19, 31, v18
	global_store_dword v[46:47], v24, off
	v_lshlrev_b64 v[46:47], 2, v[18:19]
	v_mov_b32_e32 v19, s13
	v_add_co_u32_e64 v46, s[0:1], s12, v46
	v_addc_co_u32_e64 v47, s[0:1], v19, v47, s[0:1]
	global_store_dword v[46:47], v17, off
	v_ashrrev_i32_e32 v17, 31, v16
	v_lshlrev_b64 v[46:47], 2, v[16:17]
	v_mov_b32_e32 v17, s15
	v_add_co_u32_e64 v46, s[0:1], s14, v46
	v_addc_co_u32_e64 v47, s[0:1], v17, v47, s[0:1]
	global_store_dword v[46:47], v22, off
.LBB96_9:
	s_or_b64 exec, exec, s[4:5]
	s_waitcnt lgkmcnt(0)
	v_ashrrev_i32_e32 v19, 31, v45
	v_lshrrev_b32_e32 v17, 28, v19
	v_add_u32_e32 v17, v45, v17
	v_ashrrev_i32_e32 v17, 4, v17
	v_lshrrev_b32_e32 v21, 27, v17
	v_add_u32_e32 v21, v17, v21
	v_and_b32_e32 v21, 0xffffffe0, v21
	v_sub_u32_e32 v21, v17, v21
	v_cmp_eq_u32_e64 s[0:1], v23, v21
	s_and_saveexec_b64 s[2:3], s[0:1]
	s_cbranch_execz .LBB96_11
; %bb.10:
	v_lshrrev_b32_e32 v19, 23, v19
	v_add_u32_e32 v19, v45, v19
	v_lshlrev_b32_e32 v17, 4, v17
	v_ashrrev_i32_e32 v19, 9, v19
	v_sub_u32_e32 v17, v45, v17
	v_lshl_add_u32 v17, v19, 4, v17
	v_mov_b32_e32 v19, 0xff800000
	v_cmp_ne_u32_e64 s[0:1], 15, v17
	v_cndmask_b32_e64 v3, v19, v3, s[0:1]
	v_cmp_ne_u32_e64 s[0:1], 14, v17
	v_cndmask_b32_e64 v2, v19, v2, s[0:1]
	;; [unrolled: 2-line block ×16, first 2 shown]
.LBB96_11:
	s_or_b64 exec, exec, s[2:3]
	s_cmp_eq_u32 s8, 1
	s_cbranch_scc1 .LBB96_18
; %bb.12:
	s_add_i32 s23, s23, s22
	s_add_i32 s20, s8, -1
	v_add3_u32 v43, s23, v44, v43
	v_add_u32_e32 v16, 1, v16
	v_add_u32_e32 v18, 1, v18
	;; [unrolled: 1-line block ×3, first 2 shown]
	s_mov_b32 s21, 0x3fb8aa3b
	s_mov_b32 s23, 0xc2ce8ed0
	;; [unrolled: 1-line block ×3, first 2 shown]
	v_mov_b32_e32 v44, 0x7f800000
	v_mov_b32_e32 v45, 0x200
	;; [unrolled: 1-line block ×3, first 2 shown]
	s_branch .LBB96_14
.LBB96_13:                              ;   in Loop: Header=BB96_14 Depth=1
	s_or_b64 exec, exec, s[2:3]
	s_add_i32 s20, s20, -1
	v_add_u32_e32 v43, s22, v43
	v_add_u32_e32 v16, 1, v16
	;; [unrolled: 1-line block ×3, first 2 shown]
	s_cmp_eq_u32 s20, 0
	v_add_u32_e32 v20, 1, v20
	s_cbranch_scc1 .LBB96_18
.LBB96_14:                              ; =>This Inner Loop Header: Depth=1
	v_cmp_gt_f32_e64 s[0:1], v13, v12
	v_cndmask_b32_e64 v19, v12, v13, s[0:1]
	v_cndmask_b32_e64 v17, v27, v28, s[0:1]
	v_cmp_gt_f32_e64 s[0:1], v14, v19
	v_cndmask_b32_e64 v19, v19, v14, s[0:1]
	v_cndmask_b32_e64 v17, v17, v29, s[0:1]
	;; [unrolled: 3-line block ×15, first 2 shown]
	s_nop 0
	v_mov_b32_dpp v21, v17 quad_perm:[1,0,3,2] row_mask:0xf bank_mask:0xf
	v_mov_b32_dpp v47, v19 quad_perm:[1,0,3,2] row_mask:0xf bank_mask:0xf
	v_cmp_eq_f32_e64 s[2:3], v19, v47
	v_cmp_lt_i32_e64 s[4:5], v21, v17
	v_cmp_lt_f32_e64 s[0:1], v19, v47
	s_and_b64 s[2:3], s[2:3], s[4:5]
	s_or_b64 s[0:1], s[0:1], s[2:3]
	v_cndmask_b32_e64 v19, v19, v47, s[0:1]
	v_cndmask_b32_e64 v17, v17, v21, s[0:1]
	s_nop 0
	v_mov_b32_dpp v47, v19 quad_perm:[2,3,0,1] row_mask:0xf bank_mask:0xf
	v_mov_b32_dpp v21, v17 quad_perm:[2,3,0,1] row_mask:0xf bank_mask:0xf
	v_cmp_eq_f32_e64 s[2:3], v19, v47
	v_cmp_lt_i32_e64 s[4:5], v21, v17
	v_cmp_lt_f32_e64 s[0:1], v19, v47
	s_and_b64 s[2:3], s[2:3], s[4:5]
	s_or_b64 s[0:1], s[0:1], s[2:3]
	v_cndmask_b32_e64 v19, v19, v47, s[0:1]
	v_cndmask_b32_e64 v17, v17, v21, s[0:1]
	s_nop 0
	v_mov_b32_dpp v47, v19 row_half_mirror row_mask:0xf bank_mask:0xf
	v_mov_b32_dpp v21, v17 row_half_mirror row_mask:0xf bank_mask:0xf
	v_cmp_eq_f32_e64 s[2:3], v19, v47
	v_cmp_lt_i32_e64 s[4:5], v21, v17
	v_cmp_lt_f32_e64 s[0:1], v19, v47
	s_and_b64 s[2:3], s[2:3], s[4:5]
	s_or_b64 s[0:1], s[0:1], s[2:3]
	v_cndmask_b32_e64 v19, v19, v47, s[0:1]
	v_cndmask_b32_e64 v17, v17, v21, s[0:1]
	s_nop 0
	v_mov_b32_dpp v47, v19 row_mirror row_mask:0xf bank_mask:0xf
	v_mov_b32_dpp v21, v17 row_mirror row_mask:0xf bank_mask:0xf
	v_cmp_eq_f32_e64 s[2:3], v19, v47
	v_cmp_lt_i32_e64 s[4:5], v21, v17
	v_cmp_lt_f32_e64 s[0:1], v19, v47
	s_and_b64 s[2:3], s[2:3], s[4:5]
	s_or_b64 s[0:1], s[0:1], s[2:3]
	v_cndmask_b32_e64 v19, v19, v47, s[0:1]
	v_cndmask_b32_e64 v17, v17, v21, s[0:1]
	s_nop 0
	v_mov_b32_dpp v47, v19 row_bcast:15 row_mask:0xa bank_mask:0xf
	v_mov_b32_dpp v21, v17 row_bcast:15 row_mask:0xa bank_mask:0xf
	v_cmp_eq_f32_e64 s[0:1], v19, v47
	v_cmp_lt_i32_e64 s[2:3], v21, v17
	s_and_b64 s[0:1], s[0:1], s[2:3]
	v_cmp_lt_f32_e64 s[2:3], v19, v47
	v_cndmask_b32_e64 v48, v19, v47, s[0:1]
	s_or_b64 s[0:1], s[2:3], s[0:1]
	v_cndmask_b32_e64 v19, v48, v47, s[2:3]
	v_cndmask_b32_e64 v17, v17, v21, s[0:1]
	ds_bpermute_b32 v47, v25, v17
	ds_bpermute_b32 v17, v25, v19
	s_and_saveexec_b64 s[4:5], vcc
	s_cbranch_execz .LBB96_16
; %bb.15:                               ;   in Loop: Header=BB96_14 Depth=1
	s_waitcnt lgkmcnt(0)
	v_sub_f32_e32 v17, v17, v26
	v_mul_f32_e32 v19, 0x3fb8aa3b, v17
	v_fma_f32 v21, v17, s21, -v19
	v_rndne_f32_e32 v48, v19
	v_fmac_f32_e32 v21, 0x32a5705f, v17
	v_sub_f32_e32 v19, v19, v48
	v_add_f32_e32 v19, v19, v21
	v_exp_f32_e32 v19, v19
	v_cvt_i32_f32_e32 v21, v48
	v_cmp_le_i32_e64 s[0:1], s9, v47
	v_cmp_gt_i32_e64 s[2:3], s10, v47
	s_and_b64 s[2:3], s[0:1], s[2:3]
	v_ldexp_f32 v19, v19, v21
	v_cmp_ngt_f32_e64 s[0:1], s23, v17
	v_ashrrev_i32_e32 v21, 31, v20
	v_cndmask_b32_e64 v19, 0, v19, s[0:1]
	v_cmp_nlt_f32_e64 s[0:1], s24, v17
	v_lshlrev_b64 v[48:49], 2, v[20:21]
	v_cndmask_b32_e64 v50, v44, v19, s[0:1]
	v_mov_b32_e32 v17, s7
	v_add_co_u32_e64 v48, s[0:1], s6, v48
	v_addc_co_u32_e64 v49, s[0:1], v17, v49, s[0:1]
	v_ashrrev_i32_e32 v19, 31, v18
	global_store_dword v[48:49], v50, off
	v_subrev_u32_e32 v17, s9, v47
	s_and_b64 s[0:1], s[18:19], s[2:3]
	v_lshlrev_b64 v[48:49], 2, v[18:19]
	v_cndmask_b32_e64 v17, v45, v17, s[0:1]
	v_mov_b32_e32 v19, s13
	v_add_co_u32_e64 v48, s[0:1], s12, v48
	v_addc_co_u32_e64 v49, s[0:1], v19, v49, s[0:1]
	global_store_dword v[48:49], v17, off
	v_ashrrev_i32_e32 v17, 31, v16
	v_lshlrev_b64 v[48:49], 2, v[16:17]
	v_mov_b32_e32 v17, s15
	v_add_co_u32_e64 v48, s[0:1], s14, v48
	v_addc_co_u32_e64 v49, s[0:1], v17, v49, s[0:1]
	v_add_f32_e32 v24, v24, v50
	global_store_dword v[48:49], v43, off
.LBB96_16:                              ;   in Loop: Header=BB96_14 Depth=1
	s_or_b64 exec, exec, s[4:5]
	s_waitcnt lgkmcnt(1)
	v_ashrrev_i32_e32 v19, 31, v47
	s_waitcnt lgkmcnt(0)
	v_lshrrev_b32_e32 v17, 28, v19
	v_add_u32_e32 v17, v47, v17
	v_ashrrev_i32_e32 v17, 4, v17
	v_lshrrev_b32_e32 v21, 27, v17
	v_add_u32_e32 v21, v17, v21
	v_and_b32_e32 v21, 0xffffffe0, v21
	v_sub_u32_e32 v21, v17, v21
	v_cmp_eq_u32_e64 s[0:1], v23, v21
	s_and_saveexec_b64 s[2:3], s[0:1]
	s_cbranch_execz .LBB96_13
; %bb.17:                               ;   in Loop: Header=BB96_14 Depth=1
	v_lshrrev_b32_e32 v19, 23, v19
	v_add_u32_e32 v19, v47, v19
	v_lshlrev_b32_e32 v17, 4, v17
	v_ashrrev_i32_e32 v19, 9, v19
	v_sub_u32_e32 v17, v47, v17
	v_lshl_add_u32 v17, v19, 4, v17
	v_cmp_ne_u32_e64 s[0:1], 15, v17
	v_cndmask_b32_e64 v3, v46, v3, s[0:1]
	v_cmp_ne_u32_e64 s[0:1], 14, v17
	v_cndmask_b32_e64 v2, v46, v2, s[0:1]
	;; [unrolled: 2-line block ×16, first 2 shown]
	s_branch .LBB96_13
.LBB96_18:
	s_waitcnt lgkmcnt(0)
	v_sub_f32_e32 v12, v12, v26
	s_mov_b32 s1, 0x3fb8aa3b
	v_mul_f32_e32 v16, 0x3fb8aa3b, v12
	v_fma_f32 v17, v12, s1, -v16
	v_rndne_f32_e32 v18, v16
	v_fmac_f32_e32 v17, 0x32a5705f, v12
	v_sub_f32_e32 v16, v16, v18
	v_add_f32_e32 v16, v16, v17
	v_exp_f32_e32 v16, v16
	v_cvt_i32_f32_e32 v17, v18
	v_sub_f32_e32 v13, v13, v26
	s_mov_b32 s0, 0xc2ce8ed0
	v_cmp_ngt_f32_e32 vcc, s0, v12
	v_ldexp_f32 v16, v16, v17
	v_mul_f32_e32 v17, 0x3fb8aa3b, v13
	v_fma_f32 v18, v13, s1, -v17
	v_rndne_f32_e32 v19, v17
	v_fmac_f32_e32 v18, 0x32a5705f, v13
	v_sub_f32_e32 v17, v17, v19
	v_add_f32_e32 v17, v17, v18
	v_exp_f32_e32 v17, v17
	v_cvt_i32_f32_e32 v18, v19
	s_mov_b32 s2, 0x42b17218
	v_cndmask_b32_e32 v16, 0, v16, vcc
	v_mov_b32_e32 v19, 0x7f800000
	v_cmp_nlt_f32_e32 vcc, s2, v12
	v_sub_f32_e32 v14, v14, v26
	v_cndmask_b32_e32 v12, v19, v16, vcc
	v_ldexp_f32 v16, v17, v18
	v_mul_f32_e32 v17, 0x3fb8aa3b, v14
	v_fma_f32 v18, v14, s1, -v17
	v_rndne_f32_e32 v20, v17
	v_fmac_f32_e32 v18, 0x32a5705f, v14
	v_sub_f32_e32 v17, v17, v20
	v_add_f32_e32 v17, v17, v18
	v_exp_f32_e32 v17, v17
	v_cvt_i32_f32_e32 v18, v20
	v_cmp_ngt_f32_e32 vcc, s0, v13
	v_cndmask_b32_e32 v16, 0, v16, vcc
	v_cmp_nlt_f32_e32 vcc, s2, v13
	v_sub_f32_e32 v15, v15, v26
	v_cndmask_b32_e32 v13, v19, v16, vcc
	v_mul_f32_e32 v16, 0x3fb8aa3b, v15
	v_add_f32_e32 v12, v12, v13
	v_ldexp_f32 v13, v17, v18
	v_fma_f32 v17, v15, s1, -v16
	v_rndne_f32_e32 v18, v16
	v_fmac_f32_e32 v17, 0x32a5705f, v15
	v_sub_f32_e32 v16, v16, v18
	v_add_f32_e32 v16, v16, v17
	v_exp_f32_e32 v16, v16
	v_cvt_i32_f32_e32 v17, v18
	v_cmp_ngt_f32_e32 vcc, s0, v14
	v_cndmask_b32_e32 v13, 0, v13, vcc
	v_cmp_nlt_f32_e32 vcc, s2, v14
	v_sub_f32_e32 v8, v8, v26
	v_cndmask_b32_e32 v13, v19, v13, vcc
	v_mul_f32_e32 v14, 0x3fb8aa3b, v8
	v_add_f32_e32 v12, v12, v13
	v_ldexp_f32 v13, v16, v17
	v_fma_f32 v16, v8, s1, -v14
	v_rndne_f32_e32 v17, v14
	v_fmac_f32_e32 v16, 0x32a5705f, v8
	v_sub_f32_e32 v14, v14, v17
	v_add_f32_e32 v14, v14, v16
	v_exp_f32_e32 v14, v14
	v_cvt_i32_f32_e32 v16, v17
	v_cmp_ngt_f32_e32 vcc, s0, v15
	v_cndmask_b32_e32 v13, 0, v13, vcc
	v_cmp_nlt_f32_e32 vcc, s2, v15
	v_cndmask_b32_e32 v13, v19, v13, vcc
	v_sub_f32_e32 v9, v9, v26
	v_add_f32_e32 v12, v12, v13
	v_ldexp_f32 v13, v14, v16
	v_mul_f32_e32 v14, 0x3fb8aa3b, v9
	v_fma_f32 v15, v9, s1, -v14
	v_rndne_f32_e32 v16, v14
	v_fmac_f32_e32 v15, 0x32a5705f, v9
	v_sub_f32_e32 v14, v14, v16
	v_add_f32_e32 v14, v14, v15
	v_exp_f32_e32 v14, v14
	v_cvt_i32_f32_e32 v15, v16
	v_cmp_ngt_f32_e32 vcc, s0, v8
	v_cndmask_b32_e32 v13, 0, v13, vcc
	v_cmp_nlt_f32_e32 vcc, s2, v8
	v_sub_f32_e32 v10, v10, v26
	v_cndmask_b32_e32 v8, v19, v13, vcc
	v_mul_f32_e32 v13, 0x3fb8aa3b, v10
	v_add_f32_e32 v8, v12, v8
	v_ldexp_f32 v12, v14, v15
	v_fma_f32 v14, v10, s1, -v13
	v_rndne_f32_e32 v15, v13
	v_fmac_f32_e32 v14, 0x32a5705f, v10
	v_sub_f32_e32 v13, v13, v15
	v_add_f32_e32 v13, v13, v14
	v_exp_f32_e32 v13, v13
	v_cvt_i32_f32_e32 v14, v15
	v_cmp_ngt_f32_e32 vcc, s0, v9
	v_cndmask_b32_e32 v12, 0, v12, vcc
	v_cmp_nlt_f32_e32 vcc, s2, v9
	v_sub_f32_e32 v11, v11, v26
	v_cndmask_b32_e32 v9, v19, v12, vcc
	v_mul_f32_e32 v12, 0x3fb8aa3b, v11
	v_add_f32_e32 v8, v8, v9
	v_ldexp_f32 v9, v13, v14
	v_fma_f32 v13, v11, s1, -v12
	v_rndne_f32_e32 v14, v12
	v_fmac_f32_e32 v13, 0x32a5705f, v11
	v_sub_f32_e32 v12, v12, v14
	v_add_f32_e32 v12, v12, v13
	v_exp_f32_e32 v12, v12
	v_cvt_i32_f32_e32 v13, v14
	v_cmp_ngt_f32_e32 vcc, s0, v10
	v_cndmask_b32_e32 v9, 0, v9, vcc
	v_cmp_nlt_f32_e32 vcc, s2, v10
	v_sub_f32_e32 v4, v4, v26
	v_cndmask_b32_e32 v9, v19, v9, vcc
	v_mul_f32_e32 v10, 0x3fb8aa3b, v4
	v_add_f32_e32 v8, v8, v9
	v_ldexp_f32 v9, v12, v13
	v_fma_f32 v12, v4, s1, -v10
	v_rndne_f32_e32 v13, v10
	v_fmac_f32_e32 v12, 0x32a5705f, v4
	v_sub_f32_e32 v10, v10, v13
	v_add_f32_e32 v10, v10, v12
	v_exp_f32_e32 v10, v10
	v_cvt_i32_f32_e32 v12, v13
	v_cmp_ngt_f32_e32 vcc, s0, v11
	v_cndmask_b32_e32 v9, 0, v9, vcc
	v_cmp_nlt_f32_e32 vcc, s2, v11
	v_cndmask_b32_e32 v9, v19, v9, vcc
	v_sub_f32_e32 v5, v5, v26
	v_add_f32_e32 v8, v8, v9
	v_ldexp_f32 v9, v10, v12
	v_mul_f32_e32 v10, 0x3fb8aa3b, v5
	v_fma_f32 v11, v5, s1, -v10
	v_rndne_f32_e32 v12, v10
	v_fmac_f32_e32 v11, 0x32a5705f, v5
	v_sub_f32_e32 v10, v10, v12
	v_add_f32_e32 v10, v10, v11
	v_exp_f32_e32 v10, v10
	v_cvt_i32_f32_e32 v11, v12
	v_cmp_ngt_f32_e32 vcc, s0, v4
	v_cndmask_b32_e32 v9, 0, v9, vcc
	v_cmp_nlt_f32_e32 vcc, s2, v4
	v_sub_f32_e32 v6, v6, v26
	v_cndmask_b32_e32 v4, v19, v9, vcc
	v_mul_f32_e32 v9, 0x3fb8aa3b, v6
	v_add_f32_e32 v4, v8, v4
	v_ldexp_f32 v8, v10, v11
	;; [unrolled: 60-line block ×3, first 2 shown]
	v_fma_f32 v6, v2, s1, -v5
	v_rndne_f32_e32 v7, v5
	v_fmac_f32_e32 v6, 0x32a5705f, v2
	v_sub_f32_e32 v5, v5, v7
	v_add_f32_e32 v5, v5, v6
	v_exp_f32_e32 v5, v5
	v_cvt_i32_f32_e32 v6, v7
	v_cmp_ngt_f32_e32 vcc, s0, v1
	v_cndmask_b32_e32 v4, 0, v4, vcc
	v_cmp_nlt_f32_e32 vcc, s2, v1
	v_sub_f32_e32 v3, v3, v26
	v_cndmask_b32_e32 v1, v19, v4, vcc
	v_mul_f32_e32 v4, 0x3fb8aa3b, v3
	v_add_f32_e32 v0, v0, v1
	v_ldexp_f32 v1, v5, v6
	v_fma_f32 v5, v3, s1, -v4
	v_rndne_f32_e32 v6, v4
	v_fmac_f32_e32 v5, 0x32a5705f, v3
	v_sub_f32_e32 v4, v4, v6
	v_add_f32_e32 v4, v4, v5
	v_exp_f32_e32 v4, v4
	v_cvt_i32_f32_e32 v5, v6
	v_cmp_ngt_f32_e32 vcc, s0, v2
	v_cndmask_b32_e32 v1, 0, v1, vcc
	v_cmp_nlt_f32_e32 vcc, s2, v2
	v_cndmask_b32_e32 v1, v19, v1, vcc
	v_add_f32_e32 v0, v0, v1
	v_ldexp_f32 v1, v4, v5
	v_cmp_ngt_f32_e32 vcc, s0, v3
	v_cndmask_b32_e32 v1, 0, v1, vcc
	v_cmp_nlt_f32_e32 vcc, s2, v3
	v_cndmask_b32_e32 v1, v19, v1, vcc
	v_add_f32_e32 v0, v0, v1
	v_cmp_eq_u32_e32 vcc, 0, v23
	s_nop 0
	v_mov_b32_dpp v1, v0 quad_perm:[1,0,3,2] row_mask:0xf bank_mask:0xf
	v_add_f32_e32 v0, v0, v1
	s_nop 1
	v_mov_b32_dpp v1, v0 quad_perm:[2,3,0,1] row_mask:0xf bank_mask:0xf
	v_add_f32_e32 v0, v0, v1
	s_nop 1
	v_mov_b32_dpp v1, v0 row_half_mirror row_mask:0xf bank_mask:0xf
	v_add_f32_e32 v0, v0, v1
	s_nop 1
	v_mov_b32_dpp v1, v0 row_mirror row_mask:0xf bank_mask:0xf
	v_add_f32_e32 v0, v0, v1
	s_nop 1
	v_mov_b32_dpp v1, v0 row_bcast:15 row_mask:0xa bank_mask:0xf
	v_add_f32_e32 v0, v0, v1
	ds_bpermute_b32 v0, v25, v0
	s_and_b64 exec, exec, vcc
	s_cbranch_execz .LBB96_31
; %bb.19:
	s_waitcnt lgkmcnt(0)
	v_add_f32_e32 v0, v24, v0
	v_cmp_neq_f32_e32 vcc, 0, v0
	s_and_b64 exec, exec, vcc
	s_cbranch_execz .LBB96_31
; %bb.20:
	s_andn2_b64 vcc, exec, s[16:17]
	s_cbranch_vccnz .LBB96_31
; %bb.21:
	v_div_scale_f32 v1, s[0:1], v0, v0, 1.0
	v_rcp_f32_e32 v2, v1
	v_div_scale_f32 v3, vcc, 1.0, v0, 1.0
	s_cmp_gt_u32 s8, 3
	v_fma_f32 v4, -v1, v2, 1.0
	v_fmac_f32_e32 v2, v4, v2
	v_mul_f32_e32 v4, v3, v2
	v_fma_f32 v5, -v1, v4, v3
	v_fmac_f32_e32 v4, v5, v2
	v_fma_f32 v1, -v1, v4, v3
	v_div_fmas_f32 v1, v1, v2, v4
	v_mul_lo_u32 v2, v22, s11
	v_div_fixup_f32 v0, v1, v0, 1.0
	v_ashrrev_i32_e32 v3, 31, v2
	s_cbranch_scc0 .LBB96_25
; %bb.22:
	v_lshlrev_b64 v[4:5], 2, v[2:3]
	v_mov_b32_e32 v6, s7
	v_add_co_u32_e32 v4, vcc, s6, v4
	v_addc_co_u32_e32 v5, vcc, v5, v6, vcc
	s_and_b32 s4, s8, 0x7ffffffc
	v_add_co_u32_e32 v4, vcc, 8, v4
	v_mov_b32_e32 v1, v0
	v_addc_co_u32_e32 v5, vcc, 0, v5, vcc
	s_mov_b32 s0, s4
.LBB96_23:                              ; =>This Inner Loop Header: Depth=1
	global_load_dwordx4 v[6:9], v[4:5], off offset:-8
	s_add_i32 s0, s0, -4
	s_cmp_lg_u32 s0, 0
	s_waitcnt vmcnt(0)
	v_pk_mul_f32 v[6:7], v[0:1], v[6:7]
	v_pk_mul_f32 v[8:9], v[0:1], v[8:9]
	global_store_dwordx4 v[4:5], v[6:9], off offset:-8
	v_add_co_u32_e32 v4, vcc, 16, v4
	v_addc_co_u32_e32 v5, vcc, 0, v5, vcc
	s_cbranch_scc1 .LBB96_23
; %bb.24:
	s_cmp_lg_u32 s4, s8
	s_mov_b64 s[2:3], 0
	s_cselect_b64 s[0:1], -1, 0
	s_branch .LBB96_26
.LBB96_25:
	s_mov_b64 s[2:3], -1
	s_mov_b64 s[0:1], 0
                                        ; implicit-def: $sgpr4
.LBB96_26:
	s_and_b64 vcc, exec, s[2:3]
	s_cbranch_vccz .LBB96_28
; %bb.27:
	s_mov_b64 s[0:1], -1
	s_mov_b32 s4, 0
.LBB96_28:
	s_andn2_b64 vcc, exec, s[0:1]
	s_cbranch_vccnz .LBB96_31
; %bb.29:
	v_add_co_u32_e32 v2, vcc, s4, v2
	v_addc_co_u32_e32 v3, vcc, 0, v3, vcc
	v_lshlrev_b64 v[2:3], 2, v[2:3]
	v_mov_b32_e32 v1, s7
	v_add_co_u32_e32 v2, vcc, s6, v2
	s_sub_i32 s0, s8, s4
	v_addc_co_u32_e32 v3, vcc, v1, v3, vcc
.LBB96_30:                              ; =>This Inner Loop Header: Depth=1
	global_load_dword v1, v[2:3], off
	s_add_i32 s0, s0, -1
	s_cmp_lg_u32 s0, 0
	s_waitcnt vmcnt(0)
	v_mul_f32_e32 v1, v0, v1
	global_store_dword v[2:3], v1, off
	v_add_co_u32_e32 v2, vcc, 4, v2
	v_addc_co_u32_e32 v3, vcc, 0, v3, vcc
	s_cbranch_scc1 .LBB96_30
.LBB96_31:
	s_endpgm
	.section	.rodata,"a",@progbits
	.p2align	6, 0x0
	.amdhsa_kernel _ZN4vllm3moe17topkGatingSoftmaxIfLi16ELi512ELi2ELi64ELb0ELi2ELNS0_23SharedExpertScoringFuncE1EEEvPKT_PKbPfiPiS9_iiiiii
		.amdhsa_group_segment_fixed_size 0
		.amdhsa_private_segment_fixed_size 0
		.amdhsa_kernarg_size 72
		.amdhsa_user_sgpr_count 6
		.amdhsa_user_sgpr_private_segment_buffer 1
		.amdhsa_user_sgpr_dispatch_ptr 0
		.amdhsa_user_sgpr_queue_ptr 0
		.amdhsa_user_sgpr_kernarg_segment_ptr 1
		.amdhsa_user_sgpr_dispatch_id 0
		.amdhsa_user_sgpr_flat_scratch_init 0
		.amdhsa_user_sgpr_kernarg_preload_length 0
		.amdhsa_user_sgpr_kernarg_preload_offset 0
		.amdhsa_user_sgpr_private_segment_size 0
		.amdhsa_uses_dynamic_stack 0
		.amdhsa_system_sgpr_private_segment_wavefront_offset 0
		.amdhsa_system_sgpr_workgroup_id_x 1
		.amdhsa_system_sgpr_workgroup_id_y 0
		.amdhsa_system_sgpr_workgroup_id_z 0
		.amdhsa_system_sgpr_workgroup_info 0
		.amdhsa_system_vgpr_workitem_id 1
		.amdhsa_next_free_vgpr 51
		.amdhsa_next_free_sgpr 25
		.amdhsa_accum_offset 52
		.amdhsa_reserve_vcc 1
		.amdhsa_reserve_flat_scratch 0
		.amdhsa_float_round_mode_32 0
		.amdhsa_float_round_mode_16_64 0
		.amdhsa_float_denorm_mode_32 3
		.amdhsa_float_denorm_mode_16_64 3
		.amdhsa_dx10_clamp 1
		.amdhsa_ieee_mode 1
		.amdhsa_fp16_overflow 0
		.amdhsa_tg_split 0
		.amdhsa_exception_fp_ieee_invalid_op 0
		.amdhsa_exception_fp_denorm_src 0
		.amdhsa_exception_fp_ieee_div_zero 0
		.amdhsa_exception_fp_ieee_overflow 0
		.amdhsa_exception_fp_ieee_underflow 0
		.amdhsa_exception_fp_ieee_inexact 0
		.amdhsa_exception_int_div_zero 0
	.end_amdhsa_kernel
	.section	.text._ZN4vllm3moe17topkGatingSoftmaxIfLi16ELi512ELi2ELi64ELb0ELi2ELNS0_23SharedExpertScoringFuncE1EEEvPKT_PKbPfiPiS9_iiiiii,"axG",@progbits,_ZN4vllm3moe17topkGatingSoftmaxIfLi16ELi512ELi2ELi64ELb0ELi2ELNS0_23SharedExpertScoringFuncE1EEEvPKT_PKbPfiPiS9_iiiiii,comdat
.Lfunc_end96:
	.size	_ZN4vllm3moe17topkGatingSoftmaxIfLi16ELi512ELi2ELi64ELb0ELi2ELNS0_23SharedExpertScoringFuncE1EEEvPKT_PKbPfiPiS9_iiiiii, .Lfunc_end96-_ZN4vllm3moe17topkGatingSoftmaxIfLi16ELi512ELi2ELi64ELb0ELi2ELNS0_23SharedExpertScoringFuncE1EEEvPKT_PKbPfiPiS9_iiiiii
                                        ; -- End function
	.section	.AMDGPU.csdata,"",@progbits
; Kernel info:
; codeLenInByte = 4952
; NumSgprs: 29
; NumVgprs: 51
; NumAgprs: 0
; TotalNumVgprs: 51
; ScratchSize: 0
; MemoryBound: 0
; FloatMode: 240
; IeeeMode: 1
; LDSByteSize: 0 bytes/workgroup (compile time only)
; SGPRBlocks: 3
; VGPRBlocks: 6
; NumSGPRsForWavesPerEU: 29
; NumVGPRsForWavesPerEU: 51
; AccumOffset: 52
; Occupancy: 8
; WaveLimiterHint : 0
; COMPUTE_PGM_RSRC2:SCRATCH_EN: 0
; COMPUTE_PGM_RSRC2:USER_SGPR: 6
; COMPUTE_PGM_RSRC2:TRAP_HANDLER: 0
; COMPUTE_PGM_RSRC2:TGID_X_EN: 1
; COMPUTE_PGM_RSRC2:TGID_Y_EN: 0
; COMPUTE_PGM_RSRC2:TGID_Z_EN: 0
; COMPUTE_PGM_RSRC2:TIDIG_COMP_CNT: 1
; COMPUTE_PGM_RSRC3_GFX90A:ACCUM_OFFSET: 12
; COMPUTE_PGM_RSRC3_GFX90A:TG_SPLIT: 0
	.section	.text._ZN4vllm3moe17topkGatingSoftmaxIfLi16ELi512ELi2ELi64ELb1ELi4ELNS0_23SharedExpertScoringFuncE1EEEvPKT_PKbPfiPiS9_iiiiii,"axG",@progbits,_ZN4vllm3moe17topkGatingSoftmaxIfLi16ELi512ELi2ELi64ELb1ELi4ELNS0_23SharedExpertScoringFuncE1EEEvPKT_PKbPfiPiS9_iiiiii,comdat
	.protected	_ZN4vllm3moe17topkGatingSoftmaxIfLi16ELi512ELi2ELi64ELb1ELi4ELNS0_23SharedExpertScoringFuncE1EEEvPKT_PKbPfiPiS9_iiiiii ; -- Begin function _ZN4vllm3moe17topkGatingSoftmaxIfLi16ELi512ELi2ELi64ELb1ELi4ELNS0_23SharedExpertScoringFuncE1EEEvPKT_PKbPfiPiS9_iiiiii
	.globl	_ZN4vllm3moe17topkGatingSoftmaxIfLi16ELi512ELi2ELi64ELb1ELi4ELNS0_23SharedExpertScoringFuncE1EEEvPKT_PKbPfiPiS9_iiiiii
	.p2align	8
	.type	_ZN4vllm3moe17topkGatingSoftmaxIfLi16ELi512ELi2ELi64ELb1ELi4ELNS0_23SharedExpertScoringFuncE1EEEvPKT_PKbPfiPiS9_iiiiii,@function
_ZN4vllm3moe17topkGatingSoftmaxIfLi16ELi512ELi2ELi64ELb1ELi4ELNS0_23SharedExpertScoringFuncE1EEEvPKT_PKbPfiPiS9_iiiiii: ; @_ZN4vllm3moe17topkGatingSoftmaxIfLi16ELi512ELi2ELi64ELb1ELi4ELNS0_23SharedExpertScoringFuncE1EEEvPKT_PKbPfiPiS9_iiiiii
; %bb.0:
	s_load_dword s22, s[4:5], 0x18
	v_bfe_u32 v1, v0, 10, 10
	v_and_b32_e32 v0, 0x3ff, v0
	s_lshl_b32 s23, s6, 2
	v_lshlrev_b32_e32 v41, 1, v1
	v_lshrrev_b32_e32 v42, 5, v0
	v_add3_u32 v22, s23, v41, v42
	s_waitcnt lgkmcnt(0)
	v_cmp_gt_i32_e32 vcc, s22, v22
	s_and_saveexec_b64 s[0:1], vcc
	s_cbranch_execz .LBB97_29
; %bb.1:
	s_load_dwordx4 s[0:3], s[4:5], 0x0
	s_load_dwordx2 s[6:7], s[4:5], 0x10
	s_waitcnt lgkmcnt(0)
	s_cmp_eq_u64 s[2:3], 0
	s_cbranch_scc1 .LBB97_3
; %bb.2:
	v_ashrrev_i32_e32 v1, 31, v22
	v_mov_b32_e32 v3, s3
	v_add_co_u32_e32 v2, vcc, s2, v22
	v_addc_co_u32_e32 v3, vcc, v3, v1, vcc
	global_load_ubyte v1, v[2:3], off
	s_waitcnt vmcnt(0)
	v_and_b32_e32 v1, 1, v1
	v_cmp_eq_u32_e32 vcc, 1, v1
	s_xor_b64 s[2:3], vcc, -1
	s_orn2_b64 s[16:17], s[2:3], exec
	s_branch .LBB97_4
.LBB97_3:
	s_mov_b64 s[16:17], -1
.LBB97_4:
	s_load_dwordx2 s[20:21], s[4:5], 0x40
	s_load_dwordx4 s[8:11], s[4:5], 0x30
	v_mov_b32_e32 v1, s1
	v_and_b32_e32 v23, 31, v0
	v_lshlrev_b32_e32 v0, 6, v23
	s_waitcnt lgkmcnt(0)
	v_mul_lo_u32 v2, v22, s21
	v_ashrrev_i32_e32 v3, 31, v2
	v_lshlrev_b64 v[2:3], 2, v[2:3]
	v_add_co_u32_e32 v16, vcc, s0, v2
	v_addc_co_u32_e32 v17, vcc, v1, v3, vcc
	v_add_co_u32_e32 v18, vcc, v16, v0
	v_addc_co_u32_e32 v19, vcc, 0, v17, vcc
	global_load_dwordx4 v[0:3], v[18:19], off offset:48
	global_load_dwordx4 v[4:7], v[18:19], off offset:32
	global_load_dwordx4 v[8:11], v[18:19], off offset:16
	global_load_dwordx4 v[12:15], v[18:19], off
	v_lshlrev_b32_e32 v25, 4, v23
	v_mov_b32_e32 v24, 0
	v_cmp_gt_u32_e32 vcc, 4, v23
	s_and_saveexec_b64 s[0:1], vcc
	s_cbranch_execz .LBB97_6
; %bb.5:
	v_lshlrev_b32_e32 v18, 2, v23
	v_add_co_u32_e32 v16, vcc, v16, v18
	v_addc_co_u32_e32 v17, vcc, 0, v17, vcc
	global_load_dword v18, v[16:17], off offset:2048
	s_mov_b32 s2, 0xbfb8aa3b
	s_mov_b32 s3, 0x42ce8ed0
	s_mov_b32 s12, 0xc2b17218
	v_mov_b32_e32 v19, 0x7f800000
	v_mul_lo_u32 v16, v22, s11
	v_add3_u32 v16, v16, s8, v23
	v_mov_b32_e32 v26, s7
	s_waitcnt vmcnt(0)
	v_mul_f32_e32 v17, 0xbfb8aa3b, v18
	v_fma_f32 v20, v18, s2, -v17
	v_rndne_f32_e32 v21, v17
	v_fmac_f32_e32 v20, 0xb2a5705f, v18
	v_sub_f32_e32 v17, v17, v21
	v_add_f32_e32 v17, v17, v20
	v_cvt_i32_f32_e32 v21, v21
	v_exp_f32_e32 v20, v17
	v_cmp_nlt_f32_e32 vcc, s3, v18
	v_ashrrev_i32_e32 v17, 31, v16
	v_lshlrev_b64 v[16:17], 2, v[16:17]
	v_ldexp_f32 v20, v20, v21
	v_cndmask_b32_e32 v20, 0, v20, vcc
	v_cmp_ngt_f32_e32 vcc, s12, v18
	v_cndmask_b32_e32 v18, v19, v20, vcc
	v_add_f32_e32 v18, 1.0, v18
	v_div_scale_f32 v19, s[2:3], v18, v18, 1.0
	v_rcp_f32_e32 v20, v19
	v_div_scale_f32 v21, vcc, 1.0, v18, 1.0
	v_fma_f32 v27, -v19, v20, 1.0
	v_fmac_f32_e32 v20, v27, v20
	v_mul_f32_e32 v27, v21, v20
	v_fma_f32 v28, -v19, v27, v21
	v_fmac_f32_e32 v27, v28, v20
	v_fma_f32 v19, -v19, v27, v21
	v_div_fmas_f32 v19, v19, v20, v27
	v_add_co_u32_e32 v16, vcc, s6, v16
	v_div_fixup_f32 v18, v19, v18, 1.0
	v_addc_co_u32_e32 v17, vcc, v26, v17, vcc
	global_store_dword v[16:17], v18, off
.LBB97_6:
	s_or_b64 exec, exec, s[0:1]
	s_waitcnt vmcnt(0)
	v_cmp_lt_f32_e32 vcc, v12, v13
	v_or_b32_e32 v26, 1, v25
	v_cndmask_b32_e32 v17, v12, v13, vcc
	v_cndmask_b32_e32 v16, v25, v26, vcc
	v_cmp_lt_f32_e32 vcc, v17, v14
	v_or_b32_e32 v27, 2, v25
	v_cndmask_b32_e32 v17, v17, v14, vcc
	v_cndmask_b32_e32 v16, v16, v27, vcc
	;; [unrolled: 4-line block ×14, first 2 shown]
	v_or_b32_e32 v40, 15, v25
	v_cmp_lt_f32_e32 vcc, v17, v3
	v_cndmask_b32_e32 v16, v16, v40, vcc
	v_cndmask_b32_e32 v17, v17, v3, vcc
	s_nop 0
	v_mov_b32_dpp v18, v16 quad_perm:[1,0,3,2] row_mask:0xf bank_mask:0xf
	v_mov_b32_dpp v19, v17 quad_perm:[1,0,3,2] row_mask:0xf bank_mask:0xf
	v_cmp_eq_f32_e64 s[0:1], v17, v19
	v_cmp_lt_i32_e64 s[2:3], v18, v16
	v_cmp_lt_f32_e32 vcc, v17, v19
	s_and_b64 s[0:1], s[0:1], s[2:3]
	s_or_b64 vcc, vcc, s[0:1]
	v_cndmask_b32_e32 v17, v17, v19, vcc
	v_cndmask_b32_e32 v16, v16, v18, vcc
	s_nop 0
	v_mov_b32_dpp v19, v17 quad_perm:[2,3,0,1] row_mask:0xf bank_mask:0xf
	v_mov_b32_dpp v18, v16 quad_perm:[2,3,0,1] row_mask:0xf bank_mask:0xf
	v_cmp_eq_f32_e64 s[0:1], v17, v19
	v_cmp_lt_i32_e64 s[2:3], v18, v16
	v_cmp_lt_f32_e32 vcc, v17, v19
	s_and_b64 s[0:1], s[0:1], s[2:3]
	s_or_b64 vcc, vcc, s[0:1]
	v_cndmask_b32_e32 v17, v17, v19, vcc
	v_cndmask_b32_e32 v16, v16, v18, vcc
	s_nop 0
	v_mov_b32_dpp v19, v17 row_half_mirror row_mask:0xf bank_mask:0xf
	v_mov_b32_dpp v18, v16 row_half_mirror row_mask:0xf bank_mask:0xf
	v_cmp_eq_f32_e64 s[0:1], v17, v19
	v_cmp_lt_i32_e64 s[2:3], v18, v16
	v_cmp_lt_f32_e32 vcc, v17, v19
	s_and_b64 s[0:1], s[0:1], s[2:3]
	s_or_b64 vcc, vcc, s[0:1]
	v_cndmask_b32_e32 v17, v17, v19, vcc
	v_cndmask_b32_e32 v16, v16, v18, vcc
	s_nop 0
	v_mov_b32_dpp v19, v17 row_mirror row_mask:0xf bank_mask:0xf
	v_mov_b32_dpp v18, v16 row_mirror row_mask:0xf bank_mask:0xf
	v_cmp_eq_f32_e64 s[0:1], v17, v19
	v_cmp_lt_i32_e64 s[2:3], v18, v16
	v_cmp_lt_f32_e32 vcc, v17, v19
	s_and_b64 s[0:1], s[0:1], s[2:3]
	s_or_b64 vcc, vcc, s[0:1]
	v_cndmask_b32_e32 v17, v17, v19, vcc
	v_cndmask_b32_e32 v16, v16, v18, vcc
	s_nop 0
	v_mov_b32_dpp v19, v17 row_bcast:15 row_mask:0xa bank_mask:0xf
	v_mov_b32_dpp v18, v16 row_bcast:15 row_mask:0xa bank_mask:0xf
	v_cmp_eq_f32_e32 vcc, v17, v19
	v_cmp_lt_i32_e64 s[0:1], v18, v16
	s_and_b64 vcc, vcc, s[0:1]
	v_cmp_lt_f32_e64 s[0:1], v17, v19
	v_cndmask_b32_e32 v20, v17, v19, vcc
	s_or_b64 vcc, s[0:1], vcc
	v_cndmask_b32_e32 v16, v16, v18, vcc
	v_mbcnt_lo_u32_b32 v18, -1, 0
	v_cndmask_b32_e64 v17, v20, v19, s[0:1]
	v_mbcnt_hi_u32_b32 v18, -1, v18
	v_mov_b32_e32 v19, 0x7c
	v_lshl_or_b32 v43, v18, 2, v19
	ds_bpermute_b32 v45, v43, v16
	ds_bpermute_b32 v44, v43, v17
	s_cmp_gt_i32 s8, 0
	s_cselect_b64 s[18:19], -1, 0
	s_cmp_lt_i32 s8, 1
	v_cmp_eq_u32_e32 vcc, 0, v23
	s_cbranch_scc1 .LBB97_18
; %bb.7:
	s_load_dwordx4 s[12:15], s[4:5], 0x20
	v_mul_lo_u32 v20, v22, s11
	v_mul_lo_u32 v18, v22, s20
	;; [unrolled: 1-line block ×3, first 2 shown]
	v_mov_b32_e32 v24, 0
	s_and_saveexec_b64 s[4:5], vcc
	s_cbranch_execz .LBB97_9
; %bb.8:
	s_waitcnt lgkmcnt(0)
	v_sub_f32_e32 v17, v44, v44
	v_mul_f32_e32 v19, 0x3fb8aa3b, v17
	s_mov_b32 s0, 0x3fb8aa3b
	v_rndne_f32_e32 v21, v19
	v_sub_f32_e32 v24, v19, v21
	v_fma_f32 v19, v17, s0, -v19
	v_fmac_f32_e32 v19, 0x32a5705f, v17
	v_add_f32_e32 v19, v24, v19
	v_exp_f32_e32 v19, v19
	v_cvt_i32_f32_e32 v21, v21
	v_cmp_le_i32_e64 s[0:1], s9, v45
	v_cmp_gt_i32_e64 s[2:3], s10, v45
	s_and_b64 s[2:3], s[0:1], s[2:3]
	s_mov_b32 s0, 0xc2ce8ed0
	v_ldexp_f32 v19, v19, v21
	v_cmp_ngt_f32_e64 s[0:1], s0, v17
	v_cndmask_b32_e64 v19, 0, v19, s[0:1]
	s_mov_b32 s0, 0x42b17218
	v_mov_b32_e32 v21, 0x7f800000
	v_cmp_nlt_f32_e64 s[0:1], s0, v17
	v_cndmask_b32_e64 v24, v21, v19, s[0:1]
	v_ashrrev_i32_e32 v21, 31, v20
	v_lshlrev_b64 v[46:47], 2, v[20:21]
	v_mov_b32_e32 v17, s7
	v_add_co_u32_e64 v46, s[0:1], s6, v46
	v_addc_co_u32_e64 v47, s[0:1], v17, v47, s[0:1]
	v_subrev_u32_e32 v17, s9, v45
	v_mov_b32_e32 v19, 0x200
	s_and_b64 s[0:1], s[16:17], s[2:3]
	v_cndmask_b32_e64 v17, v19, v17, s[0:1]
	v_ashrrev_i32_e32 v19, 31, v18
	global_store_dword v[46:47], v24, off
	v_lshlrev_b64 v[46:47], 2, v[18:19]
	v_mov_b32_e32 v19, s13
	v_add_co_u32_e64 v46, s[0:1], s12, v46
	v_addc_co_u32_e64 v47, s[0:1], v19, v47, s[0:1]
	global_store_dword v[46:47], v17, off
	v_ashrrev_i32_e32 v17, 31, v16
	v_lshlrev_b64 v[46:47], 2, v[16:17]
	v_mov_b32_e32 v17, s15
	v_add_co_u32_e64 v46, s[0:1], s14, v46
	v_addc_co_u32_e64 v47, s[0:1], v17, v47, s[0:1]
	global_store_dword v[46:47], v22, off
.LBB97_9:
	s_or_b64 exec, exec, s[4:5]
	s_waitcnt lgkmcnt(0)
	v_ashrrev_i32_e32 v19, 31, v45
	v_lshrrev_b32_e32 v17, 28, v19
	v_add_u32_e32 v17, v45, v17
	v_ashrrev_i32_e32 v17, 4, v17
	v_lshrrev_b32_e32 v21, 27, v17
	v_add_u32_e32 v21, v17, v21
	v_and_b32_e32 v21, 0xffffffe0, v21
	v_sub_u32_e32 v21, v17, v21
	v_cmp_eq_u32_e64 s[0:1], v23, v21
	s_and_saveexec_b64 s[2:3], s[0:1]
	s_cbranch_execz .LBB97_11
; %bb.10:
	v_lshrrev_b32_e32 v19, 23, v19
	v_add_u32_e32 v19, v45, v19
	v_lshlrev_b32_e32 v17, 4, v17
	v_ashrrev_i32_e32 v19, 9, v19
	v_sub_u32_e32 v17, v45, v17
	v_lshl_add_u32 v17, v19, 4, v17
	v_mov_b32_e32 v19, 0xff800000
	v_cmp_ne_u32_e64 s[0:1], 15, v17
	v_cndmask_b32_e64 v3, v19, v3, s[0:1]
	v_cmp_ne_u32_e64 s[0:1], 14, v17
	v_cndmask_b32_e64 v2, v19, v2, s[0:1]
	;; [unrolled: 2-line block ×16, first 2 shown]
.LBB97_11:
	s_or_b64 exec, exec, s[2:3]
	s_cmp_eq_u32 s8, 1
	s_cbranch_scc1 .LBB97_18
; %bb.12:
	s_add_i32 s23, s23, s22
	s_add_i32 s20, s8, -1
	v_add3_u32 v41, s23, v42, v41
	v_add_u32_e32 v16, 1, v16
	v_add_u32_e32 v18, 1, v18
	;; [unrolled: 1-line block ×3, first 2 shown]
	s_mov_b32 s21, 0x3fb8aa3b
	s_mov_b32 s23, 0xc2ce8ed0
	;; [unrolled: 1-line block ×3, first 2 shown]
	v_mov_b32_e32 v42, 0x7f800000
	v_mov_b32_e32 v45, 0x200
	;; [unrolled: 1-line block ×3, first 2 shown]
	s_branch .LBB97_14
.LBB97_13:                              ;   in Loop: Header=BB97_14 Depth=1
	s_or_b64 exec, exec, s[2:3]
	s_add_i32 s20, s20, -1
	v_add_u32_e32 v41, s22, v41
	v_add_u32_e32 v16, 1, v16
	;; [unrolled: 1-line block ×3, first 2 shown]
	s_cmp_eq_u32 s20, 0
	v_add_u32_e32 v20, 1, v20
	s_cbranch_scc1 .LBB97_18
.LBB97_14:                              ; =>This Inner Loop Header: Depth=1
	v_cmp_gt_f32_e64 s[0:1], v13, v12
	v_cndmask_b32_e64 v19, v12, v13, s[0:1]
	v_cndmask_b32_e64 v17, v25, v26, s[0:1]
	v_cmp_gt_f32_e64 s[0:1], v14, v19
	v_cndmask_b32_e64 v19, v19, v14, s[0:1]
	v_cndmask_b32_e64 v17, v17, v27, s[0:1]
	v_cmp_gt_f32_e64 s[0:1], v15, v19
	v_cndmask_b32_e64 v19, v19, v15, s[0:1]
	v_cndmask_b32_e64 v17, v17, v28, s[0:1]
	v_cmp_gt_f32_e64 s[0:1], v8, v19
	v_cndmask_b32_e64 v19, v19, v8, s[0:1]
	v_cndmask_b32_e64 v17, v17, v29, s[0:1]
	v_cmp_gt_f32_e64 s[0:1], v9, v19
	v_cndmask_b32_e64 v19, v19, v9, s[0:1]
	v_cndmask_b32_e64 v17, v17, v30, s[0:1]
	v_cmp_gt_f32_e64 s[0:1], v10, v19
	v_cndmask_b32_e64 v19, v19, v10, s[0:1]
	v_cndmask_b32_e64 v17, v17, v31, s[0:1]
	v_cmp_gt_f32_e64 s[0:1], v11, v19
	v_cndmask_b32_e64 v19, v19, v11, s[0:1]
	v_cndmask_b32_e64 v17, v17, v32, s[0:1]
	v_cmp_gt_f32_e64 s[0:1], v4, v19
	v_cndmask_b32_e64 v19, v19, v4, s[0:1]
	v_cndmask_b32_e64 v17, v17, v33, s[0:1]
	v_cmp_gt_f32_e64 s[0:1], v5, v19
	v_cndmask_b32_e64 v19, v19, v5, s[0:1]
	v_cndmask_b32_e64 v17, v17, v34, s[0:1]
	v_cmp_gt_f32_e64 s[0:1], v6, v19
	v_cndmask_b32_e64 v19, v19, v6, s[0:1]
	v_cndmask_b32_e64 v17, v17, v35, s[0:1]
	v_cmp_gt_f32_e64 s[0:1], v7, v19
	v_cndmask_b32_e64 v19, v19, v7, s[0:1]
	v_cndmask_b32_e64 v17, v17, v36, s[0:1]
	v_cmp_gt_f32_e64 s[0:1], v0, v19
	v_cndmask_b32_e64 v19, v19, v0, s[0:1]
	v_cndmask_b32_e64 v17, v17, v37, s[0:1]
	v_cmp_gt_f32_e64 s[0:1], v1, v19
	v_cndmask_b32_e64 v19, v19, v1, s[0:1]
	v_cndmask_b32_e64 v17, v17, v38, s[0:1]
	v_cmp_gt_f32_e64 s[0:1], v2, v19
	v_cndmask_b32_e64 v19, v19, v2, s[0:1]
	v_cndmask_b32_e64 v17, v17, v39, s[0:1]
	v_cmp_gt_f32_e64 s[0:1], v3, v19
	v_cndmask_b32_e64 v17, v17, v40, s[0:1]
	v_cndmask_b32_e64 v19, v19, v3, s[0:1]
	s_nop 0
	v_mov_b32_dpp v21, v17 quad_perm:[1,0,3,2] row_mask:0xf bank_mask:0xf
	v_mov_b32_dpp v47, v19 quad_perm:[1,0,3,2] row_mask:0xf bank_mask:0xf
	v_cmp_eq_f32_e64 s[2:3], v19, v47
	v_cmp_lt_i32_e64 s[4:5], v21, v17
	v_cmp_lt_f32_e64 s[0:1], v19, v47
	s_and_b64 s[2:3], s[2:3], s[4:5]
	s_or_b64 s[0:1], s[0:1], s[2:3]
	v_cndmask_b32_e64 v19, v19, v47, s[0:1]
	v_cndmask_b32_e64 v17, v17, v21, s[0:1]
	s_nop 0
	v_mov_b32_dpp v47, v19 quad_perm:[2,3,0,1] row_mask:0xf bank_mask:0xf
	v_mov_b32_dpp v21, v17 quad_perm:[2,3,0,1] row_mask:0xf bank_mask:0xf
	v_cmp_eq_f32_e64 s[2:3], v19, v47
	v_cmp_lt_i32_e64 s[4:5], v21, v17
	v_cmp_lt_f32_e64 s[0:1], v19, v47
	s_and_b64 s[2:3], s[2:3], s[4:5]
	s_or_b64 s[0:1], s[0:1], s[2:3]
	v_cndmask_b32_e64 v19, v19, v47, s[0:1]
	v_cndmask_b32_e64 v17, v17, v21, s[0:1]
	s_nop 0
	v_mov_b32_dpp v47, v19 row_half_mirror row_mask:0xf bank_mask:0xf
	v_mov_b32_dpp v21, v17 row_half_mirror row_mask:0xf bank_mask:0xf
	v_cmp_eq_f32_e64 s[2:3], v19, v47
	v_cmp_lt_i32_e64 s[4:5], v21, v17
	v_cmp_lt_f32_e64 s[0:1], v19, v47
	s_and_b64 s[2:3], s[2:3], s[4:5]
	s_or_b64 s[0:1], s[0:1], s[2:3]
	v_cndmask_b32_e64 v19, v19, v47, s[0:1]
	v_cndmask_b32_e64 v17, v17, v21, s[0:1]
	s_nop 0
	v_mov_b32_dpp v47, v19 row_mirror row_mask:0xf bank_mask:0xf
	v_mov_b32_dpp v21, v17 row_mirror row_mask:0xf bank_mask:0xf
	v_cmp_eq_f32_e64 s[2:3], v19, v47
	v_cmp_lt_i32_e64 s[4:5], v21, v17
	v_cmp_lt_f32_e64 s[0:1], v19, v47
	s_and_b64 s[2:3], s[2:3], s[4:5]
	s_or_b64 s[0:1], s[0:1], s[2:3]
	v_cndmask_b32_e64 v19, v19, v47, s[0:1]
	v_cndmask_b32_e64 v17, v17, v21, s[0:1]
	s_nop 0
	v_mov_b32_dpp v47, v19 row_bcast:15 row_mask:0xa bank_mask:0xf
	v_mov_b32_dpp v21, v17 row_bcast:15 row_mask:0xa bank_mask:0xf
	v_cmp_eq_f32_e64 s[0:1], v19, v47
	v_cmp_lt_i32_e64 s[2:3], v21, v17
	s_and_b64 s[0:1], s[0:1], s[2:3]
	v_cmp_lt_f32_e64 s[2:3], v19, v47
	v_cndmask_b32_e64 v48, v19, v47, s[0:1]
	s_or_b64 s[0:1], s[2:3], s[0:1]
	v_cndmask_b32_e64 v19, v48, v47, s[2:3]
	v_cndmask_b32_e64 v17, v17, v21, s[0:1]
	ds_bpermute_b32 v47, v43, v17
	ds_bpermute_b32 v17, v43, v19
	s_and_saveexec_b64 s[4:5], vcc
	s_cbranch_execz .LBB97_16
; %bb.15:                               ;   in Loop: Header=BB97_14 Depth=1
	s_waitcnt lgkmcnt(0)
	v_sub_f32_e32 v17, v17, v44
	v_mul_f32_e32 v19, 0x3fb8aa3b, v17
	v_fma_f32 v21, v17, s21, -v19
	v_rndne_f32_e32 v48, v19
	v_fmac_f32_e32 v21, 0x32a5705f, v17
	v_sub_f32_e32 v19, v19, v48
	v_add_f32_e32 v19, v19, v21
	v_exp_f32_e32 v19, v19
	v_cvt_i32_f32_e32 v21, v48
	v_cmp_le_i32_e64 s[0:1], s9, v47
	v_cmp_gt_i32_e64 s[2:3], s10, v47
	s_and_b64 s[2:3], s[0:1], s[2:3]
	v_ldexp_f32 v19, v19, v21
	v_cmp_ngt_f32_e64 s[0:1], s23, v17
	v_ashrrev_i32_e32 v21, 31, v20
	v_cndmask_b32_e64 v19, 0, v19, s[0:1]
	v_cmp_nlt_f32_e64 s[0:1], s24, v17
	v_lshlrev_b64 v[48:49], 2, v[20:21]
	v_cndmask_b32_e64 v50, v42, v19, s[0:1]
	v_mov_b32_e32 v17, s7
	v_add_co_u32_e64 v48, s[0:1], s6, v48
	v_addc_co_u32_e64 v49, s[0:1], v17, v49, s[0:1]
	v_ashrrev_i32_e32 v19, 31, v18
	global_store_dword v[48:49], v50, off
	v_subrev_u32_e32 v17, s9, v47
	s_and_b64 s[0:1], s[16:17], s[2:3]
	v_lshlrev_b64 v[48:49], 2, v[18:19]
	v_cndmask_b32_e64 v17, v45, v17, s[0:1]
	v_mov_b32_e32 v19, s13
	v_add_co_u32_e64 v48, s[0:1], s12, v48
	v_addc_co_u32_e64 v49, s[0:1], v19, v49, s[0:1]
	global_store_dword v[48:49], v17, off
	v_ashrrev_i32_e32 v17, 31, v16
	v_lshlrev_b64 v[48:49], 2, v[16:17]
	v_mov_b32_e32 v17, s15
	v_add_co_u32_e64 v48, s[0:1], s14, v48
	v_addc_co_u32_e64 v49, s[0:1], v17, v49, s[0:1]
	v_add_f32_e32 v24, v24, v50
	global_store_dword v[48:49], v41, off
.LBB97_16:                              ;   in Loop: Header=BB97_14 Depth=1
	s_or_b64 exec, exec, s[4:5]
	s_waitcnt lgkmcnt(1)
	v_ashrrev_i32_e32 v19, 31, v47
	s_waitcnt lgkmcnt(0)
	v_lshrrev_b32_e32 v17, 28, v19
	v_add_u32_e32 v17, v47, v17
	v_ashrrev_i32_e32 v17, 4, v17
	v_lshrrev_b32_e32 v21, 27, v17
	v_add_u32_e32 v21, v17, v21
	v_and_b32_e32 v21, 0xffffffe0, v21
	v_sub_u32_e32 v21, v17, v21
	v_cmp_eq_u32_e64 s[0:1], v23, v21
	s_and_saveexec_b64 s[2:3], s[0:1]
	s_cbranch_execz .LBB97_13
; %bb.17:                               ;   in Loop: Header=BB97_14 Depth=1
	v_lshrrev_b32_e32 v19, 23, v19
	v_add_u32_e32 v19, v47, v19
	v_lshlrev_b32_e32 v17, 4, v17
	v_ashrrev_i32_e32 v19, 9, v19
	v_sub_u32_e32 v17, v47, v17
	v_lshl_add_u32 v17, v19, 4, v17
	v_cmp_ne_u32_e64 s[0:1], 15, v17
	v_cndmask_b32_e64 v3, v46, v3, s[0:1]
	v_cmp_ne_u32_e64 s[0:1], 14, v17
	v_cndmask_b32_e64 v2, v46, v2, s[0:1]
	;; [unrolled: 2-line block ×16, first 2 shown]
	s_branch .LBB97_13
.LBB97_18:
	v_cmp_eq_u32_e32 vcc, 0, v23
	v_cmp_neq_f32_e64 s[0:1], 0, v24
	s_and_b64 s[0:1], vcc, s[0:1]
	s_and_b64 exec, exec, s[0:1]
	s_cbranch_execz .LBB97_29
; %bb.19:
	s_andn2_b64 vcc, exec, s[18:19]
	s_cbranch_vccnz .LBB97_29
; %bb.20:
	v_div_scale_f32 v0, s[0:1], v24, v24, 1.0
	v_rcp_f32_e32 v1, v0
	v_div_scale_f32 v2, vcc, 1.0, v24, 1.0
	s_cmp_gt_u32 s8, 3
	v_fma_f32 v3, -v0, v1, 1.0
	v_fmac_f32_e32 v1, v3, v1
	v_mul_f32_e32 v3, v2, v1
	v_fma_f32 v4, -v0, v3, v2
	v_fmac_f32_e32 v3, v4, v1
	v_fma_f32 v0, -v0, v3, v2
	v_div_fmas_f32 v0, v0, v1, v3
	v_mul_lo_u32 v2, v22, s11
	v_div_fixup_f32 v0, v0, v24, 1.0
	v_ashrrev_i32_e32 v3, 31, v2
	s_cbranch_scc0 .LBB97_24
; %bb.21:
	v_lshlrev_b64 v[4:5], 2, v[2:3]
	v_mov_b32_e32 v6, s7
	v_add_co_u32_e32 v4, vcc, s6, v4
	v_addc_co_u32_e32 v5, vcc, v5, v6, vcc
	s_and_b32 s4, s8, 0x7ffffffc
	v_add_co_u32_e32 v4, vcc, 8, v4
	v_mov_b32_e32 v1, v0
	v_addc_co_u32_e32 v5, vcc, 0, v5, vcc
	s_mov_b32 s0, s4
.LBB97_22:                              ; =>This Inner Loop Header: Depth=1
	global_load_dwordx4 v[6:9], v[4:5], off offset:-8
	s_add_i32 s0, s0, -4
	s_cmp_lg_u32 s0, 0
	s_waitcnt vmcnt(0)
	v_pk_mul_f32 v[6:7], v[0:1], v[6:7]
	v_pk_mul_f32 v[8:9], v[0:1], v[8:9]
	global_store_dwordx4 v[4:5], v[6:9], off offset:-8
	v_add_co_u32_e32 v4, vcc, 16, v4
	v_addc_co_u32_e32 v5, vcc, 0, v5, vcc
	s_cbranch_scc1 .LBB97_22
; %bb.23:
	s_cmp_lg_u32 s4, s8
	s_cselect_b64 s[0:1], -1, 0
	s_branch .LBB97_26
.LBB97_24:
	s_mov_b64 s[0:1], 0
                                        ; implicit-def: $sgpr4
	s_cbranch_execz .LBB97_26
; %bb.25:
	s_mov_b64 s[0:1], -1
	s_mov_b32 s4, 0
.LBB97_26:
	s_andn2_b64 vcc, exec, s[0:1]
	s_cbranch_vccnz .LBB97_29
; %bb.27:
	v_add_co_u32_e32 v2, vcc, s4, v2
	v_addc_co_u32_e32 v3, vcc, 0, v3, vcc
	v_lshlrev_b64 v[2:3], 2, v[2:3]
	v_mov_b32_e32 v1, s7
	v_add_co_u32_e32 v2, vcc, s6, v2
	s_sub_i32 s0, s8, s4
	v_addc_co_u32_e32 v3, vcc, v1, v3, vcc
.LBB97_28:                              ; =>This Inner Loop Header: Depth=1
	global_load_dword v1, v[2:3], off
	s_add_i32 s0, s0, -1
	s_cmp_lg_u32 s0, 0
	s_waitcnt vmcnt(0)
	v_mul_f32_e32 v1, v0, v1
	global_store_dword v[2:3], v1, off
	v_add_co_u32_e32 v2, vcc, 4, v2
	v_addc_co_u32_e32 v3, vcc, 0, v3, vcc
	s_cbranch_scc1 .LBB97_28
.LBB97_29:
	s_endpgm
	.section	.rodata,"a",@progbits
	.p2align	6, 0x0
	.amdhsa_kernel _ZN4vllm3moe17topkGatingSoftmaxIfLi16ELi512ELi2ELi64ELb1ELi4ELNS0_23SharedExpertScoringFuncE1EEEvPKT_PKbPfiPiS9_iiiiii
		.amdhsa_group_segment_fixed_size 0
		.amdhsa_private_segment_fixed_size 0
		.amdhsa_kernarg_size 72
		.amdhsa_user_sgpr_count 6
		.amdhsa_user_sgpr_private_segment_buffer 1
		.amdhsa_user_sgpr_dispatch_ptr 0
		.amdhsa_user_sgpr_queue_ptr 0
		.amdhsa_user_sgpr_kernarg_segment_ptr 1
		.amdhsa_user_sgpr_dispatch_id 0
		.amdhsa_user_sgpr_flat_scratch_init 0
		.amdhsa_user_sgpr_kernarg_preload_length 0
		.amdhsa_user_sgpr_kernarg_preload_offset 0
		.amdhsa_user_sgpr_private_segment_size 0
		.amdhsa_uses_dynamic_stack 0
		.amdhsa_system_sgpr_private_segment_wavefront_offset 0
		.amdhsa_system_sgpr_workgroup_id_x 1
		.amdhsa_system_sgpr_workgroup_id_y 0
		.amdhsa_system_sgpr_workgroup_id_z 0
		.amdhsa_system_sgpr_workgroup_info 0
		.amdhsa_system_vgpr_workitem_id 1
		.amdhsa_next_free_vgpr 51
		.amdhsa_next_free_sgpr 25
		.amdhsa_accum_offset 52
		.amdhsa_reserve_vcc 1
		.amdhsa_reserve_flat_scratch 0
		.amdhsa_float_round_mode_32 0
		.amdhsa_float_round_mode_16_64 0
		.amdhsa_float_denorm_mode_32 3
		.amdhsa_float_denorm_mode_16_64 3
		.amdhsa_dx10_clamp 1
		.amdhsa_ieee_mode 1
		.amdhsa_fp16_overflow 0
		.amdhsa_tg_split 0
		.amdhsa_exception_fp_ieee_invalid_op 0
		.amdhsa_exception_fp_denorm_src 0
		.amdhsa_exception_fp_ieee_div_zero 0
		.amdhsa_exception_fp_ieee_overflow 0
		.amdhsa_exception_fp_ieee_underflow 0
		.amdhsa_exception_fp_ieee_inexact 0
		.amdhsa_exception_int_div_zero 0
	.end_amdhsa_kernel
	.section	.text._ZN4vllm3moe17topkGatingSoftmaxIfLi16ELi512ELi2ELi64ELb1ELi4ELNS0_23SharedExpertScoringFuncE1EEEvPKT_PKbPfiPiS9_iiiiii,"axG",@progbits,_ZN4vllm3moe17topkGatingSoftmaxIfLi16ELi512ELi2ELi64ELb1ELi4ELNS0_23SharedExpertScoringFuncE1EEEvPKT_PKbPfiPiS9_iiiiii,comdat
.Lfunc_end97:
	.size	_ZN4vllm3moe17topkGatingSoftmaxIfLi16ELi512ELi2ELi64ELb1ELi4ELNS0_23SharedExpertScoringFuncE1EEEvPKT_PKbPfiPiS9_iiiiii, .Lfunc_end97-_ZN4vllm3moe17topkGatingSoftmaxIfLi16ELi512ELi2ELi64ELb1ELi4ELNS0_23SharedExpertScoringFuncE1EEEvPKT_PKbPfiPiS9_iiiiii
                                        ; -- End function
	.section	.AMDGPU.csdata,"",@progbits
; Kernel info:
; codeLenInByte = 3596
; NumSgprs: 29
; NumVgprs: 51
; NumAgprs: 0
; TotalNumVgprs: 51
; ScratchSize: 0
; MemoryBound: 0
; FloatMode: 240
; IeeeMode: 1
; LDSByteSize: 0 bytes/workgroup (compile time only)
; SGPRBlocks: 3
; VGPRBlocks: 6
; NumSGPRsForWavesPerEU: 29
; NumVGPRsForWavesPerEU: 51
; AccumOffset: 52
; Occupancy: 8
; WaveLimiterHint : 0
; COMPUTE_PGM_RSRC2:SCRATCH_EN: 0
; COMPUTE_PGM_RSRC2:USER_SGPR: 6
; COMPUTE_PGM_RSRC2:TRAP_HANDLER: 0
; COMPUTE_PGM_RSRC2:TGID_X_EN: 1
; COMPUTE_PGM_RSRC2:TGID_Y_EN: 0
; COMPUTE_PGM_RSRC2:TGID_Z_EN: 0
; COMPUTE_PGM_RSRC2:TIDIG_COMP_CNT: 1
; COMPUTE_PGM_RSRC3_GFX90A:ACCUM_OFFSET: 12
; COMPUTE_PGM_RSRC3_GFX90A:TG_SPLIT: 0
	.section	.text._ZN4vllm3moe17topkGatingSoftmaxIfLi16ELi512ELi2ELi64ELb0ELi4ELNS0_23SharedExpertScoringFuncE1EEEvPKT_PKbPfiPiS9_iiiiii,"axG",@progbits,_ZN4vllm3moe17topkGatingSoftmaxIfLi16ELi512ELi2ELi64ELb0ELi4ELNS0_23SharedExpertScoringFuncE1EEEvPKT_PKbPfiPiS9_iiiiii,comdat
	.protected	_ZN4vllm3moe17topkGatingSoftmaxIfLi16ELi512ELi2ELi64ELb0ELi4ELNS0_23SharedExpertScoringFuncE1EEEvPKT_PKbPfiPiS9_iiiiii ; -- Begin function _ZN4vllm3moe17topkGatingSoftmaxIfLi16ELi512ELi2ELi64ELb0ELi4ELNS0_23SharedExpertScoringFuncE1EEEvPKT_PKbPfiPiS9_iiiiii
	.globl	_ZN4vllm3moe17topkGatingSoftmaxIfLi16ELi512ELi2ELi64ELb0ELi4ELNS0_23SharedExpertScoringFuncE1EEEvPKT_PKbPfiPiS9_iiiiii
	.p2align	8
	.type	_ZN4vllm3moe17topkGatingSoftmaxIfLi16ELi512ELi2ELi64ELb0ELi4ELNS0_23SharedExpertScoringFuncE1EEEvPKT_PKbPfiPiS9_iiiiii,@function
_ZN4vllm3moe17topkGatingSoftmaxIfLi16ELi512ELi2ELi64ELb0ELi4ELNS0_23SharedExpertScoringFuncE1EEEvPKT_PKbPfiPiS9_iiiiii: ; @_ZN4vllm3moe17topkGatingSoftmaxIfLi16ELi512ELi2ELi64ELb0ELi4ELNS0_23SharedExpertScoringFuncE1EEEvPKT_PKbPfiPiS9_iiiiii
; %bb.0:
	s_load_dword s22, s[4:5], 0x18
	v_bfe_u32 v1, v0, 10, 10
	v_and_b32_e32 v0, 0x3ff, v0
	s_lshl_b32 s23, s6, 2
	v_lshlrev_b32_e32 v43, 1, v1
	v_lshrrev_b32_e32 v44, 5, v0
	v_add3_u32 v22, s23, v43, v44
	s_waitcnt lgkmcnt(0)
	v_cmp_gt_i32_e32 vcc, s22, v22
	s_and_saveexec_b64 s[0:1], vcc
	s_cbranch_execz .LBB98_31
; %bb.1:
	s_load_dwordx4 s[0:3], s[4:5], 0x0
	s_load_dwordx2 s[6:7], s[4:5], 0x10
	s_waitcnt lgkmcnt(0)
	s_cmp_eq_u64 s[2:3], 0
	s_cbranch_scc1 .LBB98_3
; %bb.2:
	v_ashrrev_i32_e32 v1, 31, v22
	v_mov_b32_e32 v3, s3
	v_add_co_u32_e32 v2, vcc, s2, v22
	v_addc_co_u32_e32 v3, vcc, v3, v1, vcc
	global_load_ubyte v1, v[2:3], off
	s_waitcnt vmcnt(0)
	v_and_b32_e32 v1, 1, v1
	v_cmp_eq_u32_e32 vcc, 1, v1
	s_xor_b64 s[2:3], vcc, -1
	s_orn2_b64 s[18:19], s[2:3], exec
	s_branch .LBB98_4
.LBB98_3:
	s_mov_b64 s[18:19], -1
.LBB98_4:
	s_load_dwordx2 s[20:21], s[4:5], 0x40
	s_load_dwordx4 s[8:11], s[4:5], 0x30
	v_mov_b32_e32 v1, s1
	v_and_b32_e32 v23, 31, v0
	v_lshlrev_b32_e32 v0, 6, v23
	s_waitcnt lgkmcnt(0)
	v_mul_lo_u32 v2, v22, s21
	v_ashrrev_i32_e32 v3, 31, v2
	v_lshlrev_b64 v[2:3], 2, v[2:3]
	v_add_co_u32_e32 v16, vcc, s0, v2
	v_addc_co_u32_e32 v17, vcc, v1, v3, vcc
	v_add_co_u32_e32 v18, vcc, v16, v0
	v_addc_co_u32_e32 v19, vcc, 0, v17, vcc
	global_load_dwordx4 v[0:3], v[18:19], off offset:48
	global_load_dwordx4 v[4:7], v[18:19], off offset:32
	;; [unrolled: 1-line block ×3, first 2 shown]
	global_load_dwordx4 v[12:15], v[18:19], off
	v_lshlrev_b32_e32 v27, 4, v23
	v_mov_b32_e32 v24, 0
	v_cmp_gt_u32_e32 vcc, 4, v23
	s_and_saveexec_b64 s[0:1], vcc
	s_cbranch_execz .LBB98_6
; %bb.5:
	v_lshlrev_b32_e32 v18, 2, v23
	v_add_co_u32_e32 v16, vcc, v16, v18
	v_addc_co_u32_e32 v17, vcc, 0, v17, vcc
	global_load_dword v18, v[16:17], off offset:2048
	s_mov_b32 s2, 0xbfb8aa3b
	s_mov_b32 s3, 0x42ce8ed0
	s_mov_b32 s12, 0xc2b17218
	v_mov_b32_e32 v19, 0x7f800000
	v_mul_lo_u32 v16, v22, s11
	v_add3_u32 v16, v16, s8, v23
	v_mov_b32_e32 v25, s7
	s_waitcnt vmcnt(0)
	v_mul_f32_e32 v17, 0xbfb8aa3b, v18
	v_fma_f32 v20, v18, s2, -v17
	v_rndne_f32_e32 v21, v17
	v_fmac_f32_e32 v20, 0xb2a5705f, v18
	v_sub_f32_e32 v17, v17, v21
	v_add_f32_e32 v17, v17, v20
	v_cvt_i32_f32_e32 v21, v21
	v_exp_f32_e32 v20, v17
	v_cmp_nlt_f32_e32 vcc, s3, v18
	v_ashrrev_i32_e32 v17, 31, v16
	v_lshlrev_b64 v[16:17], 2, v[16:17]
	v_ldexp_f32 v20, v20, v21
	v_cndmask_b32_e32 v20, 0, v20, vcc
	v_cmp_ngt_f32_e32 vcc, s12, v18
	v_cndmask_b32_e32 v18, v19, v20, vcc
	v_add_f32_e32 v18, 1.0, v18
	v_div_scale_f32 v19, s[2:3], v18, v18, 1.0
	v_rcp_f32_e32 v20, v19
	v_div_scale_f32 v21, vcc, 1.0, v18, 1.0
	v_fma_f32 v26, -v19, v20, 1.0
	v_fmac_f32_e32 v20, v26, v20
	v_mul_f32_e32 v26, v21, v20
	v_fma_f32 v28, -v19, v26, v21
	v_fmac_f32_e32 v26, v28, v20
	v_fma_f32 v19, -v19, v26, v21
	v_div_fmas_f32 v19, v19, v20, v26
	v_add_co_u32_e32 v16, vcc, s6, v16
	v_div_fixup_f32 v18, v19, v18, 1.0
	v_addc_co_u32_e32 v17, vcc, v25, v17, vcc
	global_store_dword v[16:17], v18, off
.LBB98_6:
	s_or_b64 exec, exec, s[0:1]
	s_waitcnt vmcnt(0)
	v_cmp_lt_f32_e32 vcc, v12, v13
	v_or_b32_e32 v28, 1, v27
	v_cndmask_b32_e32 v17, v12, v13, vcc
	v_cndmask_b32_e32 v16, v27, v28, vcc
	v_cmp_lt_f32_e32 vcc, v17, v14
	v_or_b32_e32 v29, 2, v27
	v_cndmask_b32_e32 v17, v17, v14, vcc
	v_cndmask_b32_e32 v16, v16, v29, vcc
	;; [unrolled: 4-line block ×14, first 2 shown]
	v_or_b32_e32 v42, 15, v27
	v_cmp_lt_f32_e32 vcc, v17, v3
	v_cndmask_b32_e32 v16, v16, v42, vcc
	v_cndmask_b32_e32 v17, v17, v3, vcc
	s_nop 0
	v_mov_b32_dpp v18, v16 quad_perm:[1,0,3,2] row_mask:0xf bank_mask:0xf
	v_mov_b32_dpp v19, v17 quad_perm:[1,0,3,2] row_mask:0xf bank_mask:0xf
	v_cmp_eq_f32_e64 s[0:1], v17, v19
	v_cmp_lt_i32_e64 s[2:3], v18, v16
	v_cmp_lt_f32_e32 vcc, v17, v19
	s_and_b64 s[0:1], s[0:1], s[2:3]
	s_or_b64 vcc, vcc, s[0:1]
	v_cndmask_b32_e32 v17, v17, v19, vcc
	v_cndmask_b32_e32 v16, v16, v18, vcc
	s_nop 0
	v_mov_b32_dpp v19, v17 quad_perm:[2,3,0,1] row_mask:0xf bank_mask:0xf
	v_mov_b32_dpp v18, v16 quad_perm:[2,3,0,1] row_mask:0xf bank_mask:0xf
	v_cmp_eq_f32_e64 s[0:1], v17, v19
	v_cmp_lt_i32_e64 s[2:3], v18, v16
	v_cmp_lt_f32_e32 vcc, v17, v19
	s_and_b64 s[0:1], s[0:1], s[2:3]
	s_or_b64 vcc, vcc, s[0:1]
	v_cndmask_b32_e32 v17, v17, v19, vcc
	v_cndmask_b32_e32 v16, v16, v18, vcc
	s_nop 0
	v_mov_b32_dpp v19, v17 row_half_mirror row_mask:0xf bank_mask:0xf
	v_mov_b32_dpp v18, v16 row_half_mirror row_mask:0xf bank_mask:0xf
	v_cmp_eq_f32_e64 s[0:1], v17, v19
	v_cmp_lt_i32_e64 s[2:3], v18, v16
	v_cmp_lt_f32_e32 vcc, v17, v19
	s_and_b64 s[0:1], s[0:1], s[2:3]
	s_or_b64 vcc, vcc, s[0:1]
	v_cndmask_b32_e32 v17, v17, v19, vcc
	v_cndmask_b32_e32 v16, v16, v18, vcc
	s_nop 0
	v_mov_b32_dpp v19, v17 row_mirror row_mask:0xf bank_mask:0xf
	v_mov_b32_dpp v18, v16 row_mirror row_mask:0xf bank_mask:0xf
	v_cmp_eq_f32_e64 s[0:1], v17, v19
	v_cmp_lt_i32_e64 s[2:3], v18, v16
	v_cmp_lt_f32_e32 vcc, v17, v19
	s_and_b64 s[0:1], s[0:1], s[2:3]
	s_or_b64 vcc, vcc, s[0:1]
	v_cndmask_b32_e32 v17, v17, v19, vcc
	v_cndmask_b32_e32 v16, v16, v18, vcc
	s_nop 0
	v_mov_b32_dpp v19, v17 row_bcast:15 row_mask:0xa bank_mask:0xf
	v_mov_b32_dpp v18, v16 row_bcast:15 row_mask:0xa bank_mask:0xf
	v_cmp_eq_f32_e32 vcc, v17, v19
	v_cmp_lt_i32_e64 s[0:1], v18, v16
	s_and_b64 vcc, vcc, s[0:1]
	v_cmp_lt_f32_e64 s[0:1], v17, v19
	v_cndmask_b32_e32 v20, v17, v19, vcc
	s_or_b64 vcc, s[0:1], vcc
	v_cndmask_b32_e32 v16, v16, v18, vcc
	v_mbcnt_lo_u32_b32 v18, -1, 0
	v_cndmask_b32_e64 v17, v20, v19, s[0:1]
	v_mbcnt_hi_u32_b32 v18, -1, v18
	v_mov_b32_e32 v19, 0x7c
	v_lshl_or_b32 v25, v18, 2, v19
	ds_bpermute_b32 v45, v25, v16
	ds_bpermute_b32 v26, v25, v17
	s_cmp_gt_i32 s8, 0
	s_cselect_b64 s[16:17], -1, 0
	s_cmp_lt_i32 s8, 1
	v_cmp_eq_u32_e32 vcc, 0, v23
	s_cbranch_scc1 .LBB98_18
; %bb.7:
	s_load_dwordx4 s[12:15], s[4:5], 0x20
	v_mul_lo_u32 v20, v22, s11
	v_mul_lo_u32 v18, v22, s20
	;; [unrolled: 1-line block ×3, first 2 shown]
	v_mov_b32_e32 v24, 0
	s_and_saveexec_b64 s[4:5], vcc
	s_cbranch_execz .LBB98_9
; %bb.8:
	s_waitcnt lgkmcnt(0)
	v_sub_f32_e32 v17, v26, v26
	v_mul_f32_e32 v19, 0x3fb8aa3b, v17
	s_mov_b32 s0, 0x3fb8aa3b
	v_rndne_f32_e32 v21, v19
	v_sub_f32_e32 v24, v19, v21
	v_fma_f32 v19, v17, s0, -v19
	v_fmac_f32_e32 v19, 0x32a5705f, v17
	v_add_f32_e32 v19, v24, v19
	v_exp_f32_e32 v19, v19
	v_cvt_i32_f32_e32 v21, v21
	v_cmp_le_i32_e64 s[0:1], s9, v45
	v_cmp_gt_i32_e64 s[2:3], s10, v45
	s_and_b64 s[2:3], s[0:1], s[2:3]
	s_mov_b32 s0, 0xc2ce8ed0
	v_ldexp_f32 v19, v19, v21
	v_cmp_ngt_f32_e64 s[0:1], s0, v17
	v_cndmask_b32_e64 v19, 0, v19, s[0:1]
	s_mov_b32 s0, 0x42b17218
	v_mov_b32_e32 v21, 0x7f800000
	v_cmp_nlt_f32_e64 s[0:1], s0, v17
	v_cndmask_b32_e64 v24, v21, v19, s[0:1]
	v_ashrrev_i32_e32 v21, 31, v20
	v_lshlrev_b64 v[46:47], 2, v[20:21]
	v_mov_b32_e32 v17, s7
	v_add_co_u32_e64 v46, s[0:1], s6, v46
	v_addc_co_u32_e64 v47, s[0:1], v17, v47, s[0:1]
	v_subrev_u32_e32 v17, s9, v45
	v_mov_b32_e32 v19, 0x200
	s_and_b64 s[0:1], s[18:19], s[2:3]
	v_cndmask_b32_e64 v17, v19, v17, s[0:1]
	v_ashrrev_i32_e32 v19, 31, v18
	global_store_dword v[46:47], v24, off
	v_lshlrev_b64 v[46:47], 2, v[18:19]
	v_mov_b32_e32 v19, s13
	v_add_co_u32_e64 v46, s[0:1], s12, v46
	v_addc_co_u32_e64 v47, s[0:1], v19, v47, s[0:1]
	global_store_dword v[46:47], v17, off
	v_ashrrev_i32_e32 v17, 31, v16
	v_lshlrev_b64 v[46:47], 2, v[16:17]
	v_mov_b32_e32 v17, s15
	v_add_co_u32_e64 v46, s[0:1], s14, v46
	v_addc_co_u32_e64 v47, s[0:1], v17, v47, s[0:1]
	global_store_dword v[46:47], v22, off
.LBB98_9:
	s_or_b64 exec, exec, s[4:5]
	s_waitcnt lgkmcnt(0)
	v_ashrrev_i32_e32 v19, 31, v45
	v_lshrrev_b32_e32 v17, 28, v19
	v_add_u32_e32 v17, v45, v17
	v_ashrrev_i32_e32 v17, 4, v17
	v_lshrrev_b32_e32 v21, 27, v17
	v_add_u32_e32 v21, v17, v21
	v_and_b32_e32 v21, 0xffffffe0, v21
	v_sub_u32_e32 v21, v17, v21
	v_cmp_eq_u32_e64 s[0:1], v23, v21
	s_and_saveexec_b64 s[2:3], s[0:1]
	s_cbranch_execz .LBB98_11
; %bb.10:
	v_lshrrev_b32_e32 v19, 23, v19
	v_add_u32_e32 v19, v45, v19
	v_lshlrev_b32_e32 v17, 4, v17
	v_ashrrev_i32_e32 v19, 9, v19
	v_sub_u32_e32 v17, v45, v17
	v_lshl_add_u32 v17, v19, 4, v17
	v_mov_b32_e32 v19, 0xff800000
	v_cmp_ne_u32_e64 s[0:1], 15, v17
	v_cndmask_b32_e64 v3, v19, v3, s[0:1]
	v_cmp_ne_u32_e64 s[0:1], 14, v17
	v_cndmask_b32_e64 v2, v19, v2, s[0:1]
	;; [unrolled: 2-line block ×16, first 2 shown]
.LBB98_11:
	s_or_b64 exec, exec, s[2:3]
	s_cmp_eq_u32 s8, 1
	s_cbranch_scc1 .LBB98_18
; %bb.12:
	s_add_i32 s23, s23, s22
	s_add_i32 s20, s8, -1
	v_add3_u32 v43, s23, v44, v43
	v_add_u32_e32 v16, 1, v16
	v_add_u32_e32 v18, 1, v18
	;; [unrolled: 1-line block ×3, first 2 shown]
	s_mov_b32 s21, 0x3fb8aa3b
	s_mov_b32 s23, 0xc2ce8ed0
	;; [unrolled: 1-line block ×3, first 2 shown]
	v_mov_b32_e32 v44, 0x7f800000
	v_mov_b32_e32 v45, 0x200
	;; [unrolled: 1-line block ×3, first 2 shown]
	s_branch .LBB98_14
.LBB98_13:                              ;   in Loop: Header=BB98_14 Depth=1
	s_or_b64 exec, exec, s[2:3]
	s_add_i32 s20, s20, -1
	v_add_u32_e32 v43, s22, v43
	v_add_u32_e32 v16, 1, v16
	;; [unrolled: 1-line block ×3, first 2 shown]
	s_cmp_eq_u32 s20, 0
	v_add_u32_e32 v20, 1, v20
	s_cbranch_scc1 .LBB98_18
.LBB98_14:                              ; =>This Inner Loop Header: Depth=1
	v_cmp_gt_f32_e64 s[0:1], v13, v12
	v_cndmask_b32_e64 v19, v12, v13, s[0:1]
	v_cndmask_b32_e64 v17, v27, v28, s[0:1]
	v_cmp_gt_f32_e64 s[0:1], v14, v19
	v_cndmask_b32_e64 v19, v19, v14, s[0:1]
	v_cndmask_b32_e64 v17, v17, v29, s[0:1]
	;; [unrolled: 3-line block ×15, first 2 shown]
	s_nop 0
	v_mov_b32_dpp v21, v17 quad_perm:[1,0,3,2] row_mask:0xf bank_mask:0xf
	v_mov_b32_dpp v47, v19 quad_perm:[1,0,3,2] row_mask:0xf bank_mask:0xf
	v_cmp_eq_f32_e64 s[2:3], v19, v47
	v_cmp_lt_i32_e64 s[4:5], v21, v17
	v_cmp_lt_f32_e64 s[0:1], v19, v47
	s_and_b64 s[2:3], s[2:3], s[4:5]
	s_or_b64 s[0:1], s[0:1], s[2:3]
	v_cndmask_b32_e64 v19, v19, v47, s[0:1]
	v_cndmask_b32_e64 v17, v17, v21, s[0:1]
	s_nop 0
	v_mov_b32_dpp v47, v19 quad_perm:[2,3,0,1] row_mask:0xf bank_mask:0xf
	v_mov_b32_dpp v21, v17 quad_perm:[2,3,0,1] row_mask:0xf bank_mask:0xf
	v_cmp_eq_f32_e64 s[2:3], v19, v47
	v_cmp_lt_i32_e64 s[4:5], v21, v17
	v_cmp_lt_f32_e64 s[0:1], v19, v47
	s_and_b64 s[2:3], s[2:3], s[4:5]
	s_or_b64 s[0:1], s[0:1], s[2:3]
	v_cndmask_b32_e64 v19, v19, v47, s[0:1]
	v_cndmask_b32_e64 v17, v17, v21, s[0:1]
	s_nop 0
	v_mov_b32_dpp v47, v19 row_half_mirror row_mask:0xf bank_mask:0xf
	v_mov_b32_dpp v21, v17 row_half_mirror row_mask:0xf bank_mask:0xf
	v_cmp_eq_f32_e64 s[2:3], v19, v47
	v_cmp_lt_i32_e64 s[4:5], v21, v17
	v_cmp_lt_f32_e64 s[0:1], v19, v47
	s_and_b64 s[2:3], s[2:3], s[4:5]
	s_or_b64 s[0:1], s[0:1], s[2:3]
	v_cndmask_b32_e64 v19, v19, v47, s[0:1]
	v_cndmask_b32_e64 v17, v17, v21, s[0:1]
	s_nop 0
	v_mov_b32_dpp v47, v19 row_mirror row_mask:0xf bank_mask:0xf
	v_mov_b32_dpp v21, v17 row_mirror row_mask:0xf bank_mask:0xf
	v_cmp_eq_f32_e64 s[2:3], v19, v47
	v_cmp_lt_i32_e64 s[4:5], v21, v17
	v_cmp_lt_f32_e64 s[0:1], v19, v47
	s_and_b64 s[2:3], s[2:3], s[4:5]
	s_or_b64 s[0:1], s[0:1], s[2:3]
	v_cndmask_b32_e64 v19, v19, v47, s[0:1]
	v_cndmask_b32_e64 v17, v17, v21, s[0:1]
	s_nop 0
	v_mov_b32_dpp v47, v19 row_bcast:15 row_mask:0xa bank_mask:0xf
	v_mov_b32_dpp v21, v17 row_bcast:15 row_mask:0xa bank_mask:0xf
	v_cmp_eq_f32_e64 s[0:1], v19, v47
	v_cmp_lt_i32_e64 s[2:3], v21, v17
	s_and_b64 s[0:1], s[0:1], s[2:3]
	v_cmp_lt_f32_e64 s[2:3], v19, v47
	v_cndmask_b32_e64 v48, v19, v47, s[0:1]
	s_or_b64 s[0:1], s[2:3], s[0:1]
	v_cndmask_b32_e64 v19, v48, v47, s[2:3]
	v_cndmask_b32_e64 v17, v17, v21, s[0:1]
	ds_bpermute_b32 v47, v25, v17
	ds_bpermute_b32 v17, v25, v19
	s_and_saveexec_b64 s[4:5], vcc
	s_cbranch_execz .LBB98_16
; %bb.15:                               ;   in Loop: Header=BB98_14 Depth=1
	s_waitcnt lgkmcnt(0)
	v_sub_f32_e32 v17, v17, v26
	v_mul_f32_e32 v19, 0x3fb8aa3b, v17
	v_fma_f32 v21, v17, s21, -v19
	v_rndne_f32_e32 v48, v19
	v_fmac_f32_e32 v21, 0x32a5705f, v17
	v_sub_f32_e32 v19, v19, v48
	v_add_f32_e32 v19, v19, v21
	v_exp_f32_e32 v19, v19
	v_cvt_i32_f32_e32 v21, v48
	v_cmp_le_i32_e64 s[0:1], s9, v47
	v_cmp_gt_i32_e64 s[2:3], s10, v47
	s_and_b64 s[2:3], s[0:1], s[2:3]
	v_ldexp_f32 v19, v19, v21
	v_cmp_ngt_f32_e64 s[0:1], s23, v17
	v_ashrrev_i32_e32 v21, 31, v20
	v_cndmask_b32_e64 v19, 0, v19, s[0:1]
	v_cmp_nlt_f32_e64 s[0:1], s24, v17
	v_lshlrev_b64 v[48:49], 2, v[20:21]
	v_cndmask_b32_e64 v50, v44, v19, s[0:1]
	v_mov_b32_e32 v17, s7
	v_add_co_u32_e64 v48, s[0:1], s6, v48
	v_addc_co_u32_e64 v49, s[0:1], v17, v49, s[0:1]
	v_ashrrev_i32_e32 v19, 31, v18
	global_store_dword v[48:49], v50, off
	v_subrev_u32_e32 v17, s9, v47
	s_and_b64 s[0:1], s[18:19], s[2:3]
	v_lshlrev_b64 v[48:49], 2, v[18:19]
	v_cndmask_b32_e64 v17, v45, v17, s[0:1]
	v_mov_b32_e32 v19, s13
	v_add_co_u32_e64 v48, s[0:1], s12, v48
	v_addc_co_u32_e64 v49, s[0:1], v19, v49, s[0:1]
	global_store_dword v[48:49], v17, off
	v_ashrrev_i32_e32 v17, 31, v16
	v_lshlrev_b64 v[48:49], 2, v[16:17]
	v_mov_b32_e32 v17, s15
	v_add_co_u32_e64 v48, s[0:1], s14, v48
	v_addc_co_u32_e64 v49, s[0:1], v17, v49, s[0:1]
	v_add_f32_e32 v24, v24, v50
	global_store_dword v[48:49], v43, off
.LBB98_16:                              ;   in Loop: Header=BB98_14 Depth=1
	s_or_b64 exec, exec, s[4:5]
	s_waitcnt lgkmcnt(1)
	v_ashrrev_i32_e32 v19, 31, v47
	s_waitcnt lgkmcnt(0)
	v_lshrrev_b32_e32 v17, 28, v19
	v_add_u32_e32 v17, v47, v17
	v_ashrrev_i32_e32 v17, 4, v17
	v_lshrrev_b32_e32 v21, 27, v17
	v_add_u32_e32 v21, v17, v21
	v_and_b32_e32 v21, 0xffffffe0, v21
	v_sub_u32_e32 v21, v17, v21
	v_cmp_eq_u32_e64 s[0:1], v23, v21
	s_and_saveexec_b64 s[2:3], s[0:1]
	s_cbranch_execz .LBB98_13
; %bb.17:                               ;   in Loop: Header=BB98_14 Depth=1
	v_lshrrev_b32_e32 v19, 23, v19
	v_add_u32_e32 v19, v47, v19
	v_lshlrev_b32_e32 v17, 4, v17
	v_ashrrev_i32_e32 v19, 9, v19
	v_sub_u32_e32 v17, v47, v17
	v_lshl_add_u32 v17, v19, 4, v17
	v_cmp_ne_u32_e64 s[0:1], 15, v17
	v_cndmask_b32_e64 v3, v46, v3, s[0:1]
	v_cmp_ne_u32_e64 s[0:1], 14, v17
	v_cndmask_b32_e64 v2, v46, v2, s[0:1]
	;; [unrolled: 2-line block ×16, first 2 shown]
	s_branch .LBB98_13
.LBB98_18:
	s_waitcnt lgkmcnt(0)
	v_sub_f32_e32 v12, v12, v26
	s_mov_b32 s1, 0x3fb8aa3b
	v_mul_f32_e32 v16, 0x3fb8aa3b, v12
	v_fma_f32 v17, v12, s1, -v16
	v_rndne_f32_e32 v18, v16
	v_fmac_f32_e32 v17, 0x32a5705f, v12
	v_sub_f32_e32 v16, v16, v18
	v_add_f32_e32 v16, v16, v17
	v_exp_f32_e32 v16, v16
	v_cvt_i32_f32_e32 v17, v18
	v_sub_f32_e32 v13, v13, v26
	s_mov_b32 s0, 0xc2ce8ed0
	v_cmp_ngt_f32_e32 vcc, s0, v12
	v_ldexp_f32 v16, v16, v17
	v_mul_f32_e32 v17, 0x3fb8aa3b, v13
	v_fma_f32 v18, v13, s1, -v17
	v_rndne_f32_e32 v19, v17
	v_fmac_f32_e32 v18, 0x32a5705f, v13
	v_sub_f32_e32 v17, v17, v19
	v_add_f32_e32 v17, v17, v18
	v_exp_f32_e32 v17, v17
	v_cvt_i32_f32_e32 v18, v19
	s_mov_b32 s2, 0x42b17218
	v_cndmask_b32_e32 v16, 0, v16, vcc
	v_mov_b32_e32 v19, 0x7f800000
	v_cmp_nlt_f32_e32 vcc, s2, v12
	v_sub_f32_e32 v14, v14, v26
	v_cndmask_b32_e32 v12, v19, v16, vcc
	v_ldexp_f32 v16, v17, v18
	v_mul_f32_e32 v17, 0x3fb8aa3b, v14
	v_fma_f32 v18, v14, s1, -v17
	v_rndne_f32_e32 v20, v17
	v_fmac_f32_e32 v18, 0x32a5705f, v14
	v_sub_f32_e32 v17, v17, v20
	v_add_f32_e32 v17, v17, v18
	v_exp_f32_e32 v17, v17
	v_cvt_i32_f32_e32 v18, v20
	v_cmp_ngt_f32_e32 vcc, s0, v13
	v_cndmask_b32_e32 v16, 0, v16, vcc
	v_cmp_nlt_f32_e32 vcc, s2, v13
	v_sub_f32_e32 v15, v15, v26
	v_cndmask_b32_e32 v13, v19, v16, vcc
	v_mul_f32_e32 v16, 0x3fb8aa3b, v15
	v_add_f32_e32 v12, v12, v13
	v_ldexp_f32 v13, v17, v18
	v_fma_f32 v17, v15, s1, -v16
	v_rndne_f32_e32 v18, v16
	v_fmac_f32_e32 v17, 0x32a5705f, v15
	v_sub_f32_e32 v16, v16, v18
	v_add_f32_e32 v16, v16, v17
	v_exp_f32_e32 v16, v16
	v_cvt_i32_f32_e32 v17, v18
	v_cmp_ngt_f32_e32 vcc, s0, v14
	v_cndmask_b32_e32 v13, 0, v13, vcc
	v_cmp_nlt_f32_e32 vcc, s2, v14
	v_sub_f32_e32 v8, v8, v26
	v_cndmask_b32_e32 v13, v19, v13, vcc
	v_mul_f32_e32 v14, 0x3fb8aa3b, v8
	v_add_f32_e32 v12, v12, v13
	v_ldexp_f32 v13, v16, v17
	v_fma_f32 v16, v8, s1, -v14
	v_rndne_f32_e32 v17, v14
	v_fmac_f32_e32 v16, 0x32a5705f, v8
	v_sub_f32_e32 v14, v14, v17
	v_add_f32_e32 v14, v14, v16
	v_exp_f32_e32 v14, v14
	v_cvt_i32_f32_e32 v16, v17
	v_cmp_ngt_f32_e32 vcc, s0, v15
	v_cndmask_b32_e32 v13, 0, v13, vcc
	v_cmp_nlt_f32_e32 vcc, s2, v15
	v_cndmask_b32_e32 v13, v19, v13, vcc
	v_sub_f32_e32 v9, v9, v26
	v_add_f32_e32 v12, v12, v13
	v_ldexp_f32 v13, v14, v16
	v_mul_f32_e32 v14, 0x3fb8aa3b, v9
	v_fma_f32 v15, v9, s1, -v14
	v_rndne_f32_e32 v16, v14
	v_fmac_f32_e32 v15, 0x32a5705f, v9
	v_sub_f32_e32 v14, v14, v16
	v_add_f32_e32 v14, v14, v15
	v_exp_f32_e32 v14, v14
	v_cvt_i32_f32_e32 v15, v16
	v_cmp_ngt_f32_e32 vcc, s0, v8
	v_cndmask_b32_e32 v13, 0, v13, vcc
	v_cmp_nlt_f32_e32 vcc, s2, v8
	v_sub_f32_e32 v10, v10, v26
	v_cndmask_b32_e32 v8, v19, v13, vcc
	v_mul_f32_e32 v13, 0x3fb8aa3b, v10
	v_add_f32_e32 v8, v12, v8
	v_ldexp_f32 v12, v14, v15
	v_fma_f32 v14, v10, s1, -v13
	v_rndne_f32_e32 v15, v13
	v_fmac_f32_e32 v14, 0x32a5705f, v10
	v_sub_f32_e32 v13, v13, v15
	v_add_f32_e32 v13, v13, v14
	v_exp_f32_e32 v13, v13
	v_cvt_i32_f32_e32 v14, v15
	v_cmp_ngt_f32_e32 vcc, s0, v9
	v_cndmask_b32_e32 v12, 0, v12, vcc
	v_cmp_nlt_f32_e32 vcc, s2, v9
	v_sub_f32_e32 v11, v11, v26
	v_cndmask_b32_e32 v9, v19, v12, vcc
	v_mul_f32_e32 v12, 0x3fb8aa3b, v11
	v_add_f32_e32 v8, v8, v9
	v_ldexp_f32 v9, v13, v14
	v_fma_f32 v13, v11, s1, -v12
	v_rndne_f32_e32 v14, v12
	v_fmac_f32_e32 v13, 0x32a5705f, v11
	v_sub_f32_e32 v12, v12, v14
	v_add_f32_e32 v12, v12, v13
	v_exp_f32_e32 v12, v12
	v_cvt_i32_f32_e32 v13, v14
	v_cmp_ngt_f32_e32 vcc, s0, v10
	v_cndmask_b32_e32 v9, 0, v9, vcc
	v_cmp_nlt_f32_e32 vcc, s2, v10
	v_sub_f32_e32 v4, v4, v26
	v_cndmask_b32_e32 v9, v19, v9, vcc
	v_mul_f32_e32 v10, 0x3fb8aa3b, v4
	v_add_f32_e32 v8, v8, v9
	v_ldexp_f32 v9, v12, v13
	v_fma_f32 v12, v4, s1, -v10
	v_rndne_f32_e32 v13, v10
	v_fmac_f32_e32 v12, 0x32a5705f, v4
	v_sub_f32_e32 v10, v10, v13
	v_add_f32_e32 v10, v10, v12
	v_exp_f32_e32 v10, v10
	v_cvt_i32_f32_e32 v12, v13
	v_cmp_ngt_f32_e32 vcc, s0, v11
	v_cndmask_b32_e32 v9, 0, v9, vcc
	v_cmp_nlt_f32_e32 vcc, s2, v11
	v_cndmask_b32_e32 v9, v19, v9, vcc
	v_sub_f32_e32 v5, v5, v26
	v_add_f32_e32 v8, v8, v9
	v_ldexp_f32 v9, v10, v12
	v_mul_f32_e32 v10, 0x3fb8aa3b, v5
	v_fma_f32 v11, v5, s1, -v10
	v_rndne_f32_e32 v12, v10
	v_fmac_f32_e32 v11, 0x32a5705f, v5
	v_sub_f32_e32 v10, v10, v12
	v_add_f32_e32 v10, v10, v11
	v_exp_f32_e32 v10, v10
	v_cvt_i32_f32_e32 v11, v12
	v_cmp_ngt_f32_e32 vcc, s0, v4
	v_cndmask_b32_e32 v9, 0, v9, vcc
	v_cmp_nlt_f32_e32 vcc, s2, v4
	v_sub_f32_e32 v6, v6, v26
	v_cndmask_b32_e32 v4, v19, v9, vcc
	v_mul_f32_e32 v9, 0x3fb8aa3b, v6
	v_add_f32_e32 v4, v8, v4
	v_ldexp_f32 v8, v10, v11
	;; [unrolled: 60-line block ×3, first 2 shown]
	v_fma_f32 v6, v2, s1, -v5
	v_rndne_f32_e32 v7, v5
	v_fmac_f32_e32 v6, 0x32a5705f, v2
	v_sub_f32_e32 v5, v5, v7
	v_add_f32_e32 v5, v5, v6
	v_exp_f32_e32 v5, v5
	v_cvt_i32_f32_e32 v6, v7
	v_cmp_ngt_f32_e32 vcc, s0, v1
	v_cndmask_b32_e32 v4, 0, v4, vcc
	v_cmp_nlt_f32_e32 vcc, s2, v1
	v_sub_f32_e32 v3, v3, v26
	v_cndmask_b32_e32 v1, v19, v4, vcc
	v_mul_f32_e32 v4, 0x3fb8aa3b, v3
	v_add_f32_e32 v0, v0, v1
	v_ldexp_f32 v1, v5, v6
	v_fma_f32 v5, v3, s1, -v4
	v_rndne_f32_e32 v6, v4
	v_fmac_f32_e32 v5, 0x32a5705f, v3
	v_sub_f32_e32 v4, v4, v6
	v_add_f32_e32 v4, v4, v5
	v_exp_f32_e32 v4, v4
	v_cvt_i32_f32_e32 v5, v6
	v_cmp_ngt_f32_e32 vcc, s0, v2
	v_cndmask_b32_e32 v1, 0, v1, vcc
	v_cmp_nlt_f32_e32 vcc, s2, v2
	v_cndmask_b32_e32 v1, v19, v1, vcc
	v_add_f32_e32 v0, v0, v1
	v_ldexp_f32 v1, v4, v5
	v_cmp_ngt_f32_e32 vcc, s0, v3
	v_cndmask_b32_e32 v1, 0, v1, vcc
	v_cmp_nlt_f32_e32 vcc, s2, v3
	v_cndmask_b32_e32 v1, v19, v1, vcc
	v_add_f32_e32 v0, v0, v1
	v_cmp_eq_u32_e32 vcc, 0, v23
	s_nop 0
	v_mov_b32_dpp v1, v0 quad_perm:[1,0,3,2] row_mask:0xf bank_mask:0xf
	v_add_f32_e32 v0, v0, v1
	s_nop 1
	v_mov_b32_dpp v1, v0 quad_perm:[2,3,0,1] row_mask:0xf bank_mask:0xf
	v_add_f32_e32 v0, v0, v1
	s_nop 1
	v_mov_b32_dpp v1, v0 row_half_mirror row_mask:0xf bank_mask:0xf
	v_add_f32_e32 v0, v0, v1
	s_nop 1
	v_mov_b32_dpp v1, v0 row_mirror row_mask:0xf bank_mask:0xf
	v_add_f32_e32 v0, v0, v1
	s_nop 1
	v_mov_b32_dpp v1, v0 row_bcast:15 row_mask:0xa bank_mask:0xf
	v_add_f32_e32 v0, v0, v1
	ds_bpermute_b32 v0, v25, v0
	s_and_b64 exec, exec, vcc
	s_cbranch_execz .LBB98_31
; %bb.19:
	s_waitcnt lgkmcnt(0)
	v_add_f32_e32 v0, v24, v0
	v_cmp_neq_f32_e32 vcc, 0, v0
	s_and_b64 exec, exec, vcc
	s_cbranch_execz .LBB98_31
; %bb.20:
	s_andn2_b64 vcc, exec, s[16:17]
	s_cbranch_vccnz .LBB98_31
; %bb.21:
	v_div_scale_f32 v1, s[0:1], v0, v0, 1.0
	v_rcp_f32_e32 v2, v1
	v_div_scale_f32 v3, vcc, 1.0, v0, 1.0
	s_cmp_gt_u32 s8, 3
	v_fma_f32 v4, -v1, v2, 1.0
	v_fmac_f32_e32 v2, v4, v2
	v_mul_f32_e32 v4, v3, v2
	v_fma_f32 v5, -v1, v4, v3
	v_fmac_f32_e32 v4, v5, v2
	v_fma_f32 v1, -v1, v4, v3
	v_div_fmas_f32 v1, v1, v2, v4
	v_mul_lo_u32 v2, v22, s11
	v_div_fixup_f32 v0, v1, v0, 1.0
	v_ashrrev_i32_e32 v3, 31, v2
	s_cbranch_scc0 .LBB98_25
; %bb.22:
	v_lshlrev_b64 v[4:5], 2, v[2:3]
	v_mov_b32_e32 v6, s7
	v_add_co_u32_e32 v4, vcc, s6, v4
	v_addc_co_u32_e32 v5, vcc, v5, v6, vcc
	s_and_b32 s4, s8, 0x7ffffffc
	v_add_co_u32_e32 v4, vcc, 8, v4
	v_mov_b32_e32 v1, v0
	v_addc_co_u32_e32 v5, vcc, 0, v5, vcc
	s_mov_b32 s0, s4
.LBB98_23:                              ; =>This Inner Loop Header: Depth=1
	global_load_dwordx4 v[6:9], v[4:5], off offset:-8
	s_add_i32 s0, s0, -4
	s_cmp_lg_u32 s0, 0
	s_waitcnt vmcnt(0)
	v_pk_mul_f32 v[6:7], v[0:1], v[6:7]
	v_pk_mul_f32 v[8:9], v[0:1], v[8:9]
	global_store_dwordx4 v[4:5], v[6:9], off offset:-8
	v_add_co_u32_e32 v4, vcc, 16, v4
	v_addc_co_u32_e32 v5, vcc, 0, v5, vcc
	s_cbranch_scc1 .LBB98_23
; %bb.24:
	s_cmp_lg_u32 s4, s8
	s_mov_b64 s[2:3], 0
	s_cselect_b64 s[0:1], -1, 0
	s_branch .LBB98_26
.LBB98_25:
	s_mov_b64 s[2:3], -1
	s_mov_b64 s[0:1], 0
                                        ; implicit-def: $sgpr4
.LBB98_26:
	s_and_b64 vcc, exec, s[2:3]
	s_cbranch_vccz .LBB98_28
; %bb.27:
	s_mov_b64 s[0:1], -1
	s_mov_b32 s4, 0
.LBB98_28:
	s_andn2_b64 vcc, exec, s[0:1]
	s_cbranch_vccnz .LBB98_31
; %bb.29:
	v_add_co_u32_e32 v2, vcc, s4, v2
	v_addc_co_u32_e32 v3, vcc, 0, v3, vcc
	v_lshlrev_b64 v[2:3], 2, v[2:3]
	v_mov_b32_e32 v1, s7
	v_add_co_u32_e32 v2, vcc, s6, v2
	s_sub_i32 s0, s8, s4
	v_addc_co_u32_e32 v3, vcc, v1, v3, vcc
.LBB98_30:                              ; =>This Inner Loop Header: Depth=1
	global_load_dword v1, v[2:3], off
	s_add_i32 s0, s0, -1
	s_cmp_lg_u32 s0, 0
	s_waitcnt vmcnt(0)
	v_mul_f32_e32 v1, v0, v1
	global_store_dword v[2:3], v1, off
	v_add_co_u32_e32 v2, vcc, 4, v2
	v_addc_co_u32_e32 v3, vcc, 0, v3, vcc
	s_cbranch_scc1 .LBB98_30
.LBB98_31:
	s_endpgm
	.section	.rodata,"a",@progbits
	.p2align	6, 0x0
	.amdhsa_kernel _ZN4vllm3moe17topkGatingSoftmaxIfLi16ELi512ELi2ELi64ELb0ELi4ELNS0_23SharedExpertScoringFuncE1EEEvPKT_PKbPfiPiS9_iiiiii
		.amdhsa_group_segment_fixed_size 0
		.amdhsa_private_segment_fixed_size 0
		.amdhsa_kernarg_size 72
		.amdhsa_user_sgpr_count 6
		.amdhsa_user_sgpr_private_segment_buffer 1
		.amdhsa_user_sgpr_dispatch_ptr 0
		.amdhsa_user_sgpr_queue_ptr 0
		.amdhsa_user_sgpr_kernarg_segment_ptr 1
		.amdhsa_user_sgpr_dispatch_id 0
		.amdhsa_user_sgpr_flat_scratch_init 0
		.amdhsa_user_sgpr_kernarg_preload_length 0
		.amdhsa_user_sgpr_kernarg_preload_offset 0
		.amdhsa_user_sgpr_private_segment_size 0
		.amdhsa_uses_dynamic_stack 0
		.amdhsa_system_sgpr_private_segment_wavefront_offset 0
		.amdhsa_system_sgpr_workgroup_id_x 1
		.amdhsa_system_sgpr_workgroup_id_y 0
		.amdhsa_system_sgpr_workgroup_id_z 0
		.amdhsa_system_sgpr_workgroup_info 0
		.amdhsa_system_vgpr_workitem_id 1
		.amdhsa_next_free_vgpr 51
		.amdhsa_next_free_sgpr 25
		.amdhsa_accum_offset 52
		.amdhsa_reserve_vcc 1
		.amdhsa_reserve_flat_scratch 0
		.amdhsa_float_round_mode_32 0
		.amdhsa_float_round_mode_16_64 0
		.amdhsa_float_denorm_mode_32 3
		.amdhsa_float_denorm_mode_16_64 3
		.amdhsa_dx10_clamp 1
		.amdhsa_ieee_mode 1
		.amdhsa_fp16_overflow 0
		.amdhsa_tg_split 0
		.amdhsa_exception_fp_ieee_invalid_op 0
		.amdhsa_exception_fp_denorm_src 0
		.amdhsa_exception_fp_ieee_div_zero 0
		.amdhsa_exception_fp_ieee_overflow 0
		.amdhsa_exception_fp_ieee_underflow 0
		.amdhsa_exception_fp_ieee_inexact 0
		.amdhsa_exception_int_div_zero 0
	.end_amdhsa_kernel
	.section	.text._ZN4vllm3moe17topkGatingSoftmaxIfLi16ELi512ELi2ELi64ELb0ELi4ELNS0_23SharedExpertScoringFuncE1EEEvPKT_PKbPfiPiS9_iiiiii,"axG",@progbits,_ZN4vllm3moe17topkGatingSoftmaxIfLi16ELi512ELi2ELi64ELb0ELi4ELNS0_23SharedExpertScoringFuncE1EEEvPKT_PKbPfiPiS9_iiiiii,comdat
.Lfunc_end98:
	.size	_ZN4vllm3moe17topkGatingSoftmaxIfLi16ELi512ELi2ELi64ELb0ELi4ELNS0_23SharedExpertScoringFuncE1EEEvPKT_PKbPfiPiS9_iiiiii, .Lfunc_end98-_ZN4vllm3moe17topkGatingSoftmaxIfLi16ELi512ELi2ELi64ELb0ELi4ELNS0_23SharedExpertScoringFuncE1EEEvPKT_PKbPfiPiS9_iiiiii
                                        ; -- End function
	.section	.AMDGPU.csdata,"",@progbits
; Kernel info:
; codeLenInByte = 4952
; NumSgprs: 29
; NumVgprs: 51
; NumAgprs: 0
; TotalNumVgprs: 51
; ScratchSize: 0
; MemoryBound: 0
; FloatMode: 240
; IeeeMode: 1
; LDSByteSize: 0 bytes/workgroup (compile time only)
; SGPRBlocks: 3
; VGPRBlocks: 6
; NumSGPRsForWavesPerEU: 29
; NumVGPRsForWavesPerEU: 51
; AccumOffset: 52
; Occupancy: 8
; WaveLimiterHint : 0
; COMPUTE_PGM_RSRC2:SCRATCH_EN: 0
; COMPUTE_PGM_RSRC2:USER_SGPR: 6
; COMPUTE_PGM_RSRC2:TRAP_HANDLER: 0
; COMPUTE_PGM_RSRC2:TGID_X_EN: 1
; COMPUTE_PGM_RSRC2:TGID_Y_EN: 0
; COMPUTE_PGM_RSRC2:TGID_Z_EN: 0
; COMPUTE_PGM_RSRC2:TIDIG_COMP_CNT: 1
; COMPUTE_PGM_RSRC3_GFX90A:ACCUM_OFFSET: 12
; COMPUTE_PGM_RSRC3_GFX90A:TG_SPLIT: 0
	.section	.text._ZN4vllm3moe17topkGatingSoftmaxIfLi16ELi512ELi2ELi64ELb1ELi8ELNS0_23SharedExpertScoringFuncE1EEEvPKT_PKbPfiPiS9_iiiiii,"axG",@progbits,_ZN4vllm3moe17topkGatingSoftmaxIfLi16ELi512ELi2ELi64ELb1ELi8ELNS0_23SharedExpertScoringFuncE1EEEvPKT_PKbPfiPiS9_iiiiii,comdat
	.protected	_ZN4vllm3moe17topkGatingSoftmaxIfLi16ELi512ELi2ELi64ELb1ELi8ELNS0_23SharedExpertScoringFuncE1EEEvPKT_PKbPfiPiS9_iiiiii ; -- Begin function _ZN4vllm3moe17topkGatingSoftmaxIfLi16ELi512ELi2ELi64ELb1ELi8ELNS0_23SharedExpertScoringFuncE1EEEvPKT_PKbPfiPiS9_iiiiii
	.globl	_ZN4vllm3moe17topkGatingSoftmaxIfLi16ELi512ELi2ELi64ELb1ELi8ELNS0_23SharedExpertScoringFuncE1EEEvPKT_PKbPfiPiS9_iiiiii
	.p2align	8
	.type	_ZN4vllm3moe17topkGatingSoftmaxIfLi16ELi512ELi2ELi64ELb1ELi8ELNS0_23SharedExpertScoringFuncE1EEEvPKT_PKbPfiPiS9_iiiiii,@function
_ZN4vllm3moe17topkGatingSoftmaxIfLi16ELi512ELi2ELi64ELb1ELi8ELNS0_23SharedExpertScoringFuncE1EEEvPKT_PKbPfiPiS9_iiiiii: ; @_ZN4vllm3moe17topkGatingSoftmaxIfLi16ELi512ELi2ELi64ELb1ELi8ELNS0_23SharedExpertScoringFuncE1EEEvPKT_PKbPfiPiS9_iiiiii
; %bb.0:
	s_load_dword s22, s[4:5], 0x18
	v_bfe_u32 v1, v0, 10, 10
	v_and_b32_e32 v0, 0x3ff, v0
	s_lshl_b32 s23, s6, 2
	v_lshlrev_b32_e32 v41, 1, v1
	v_lshrrev_b32_e32 v42, 5, v0
	v_add3_u32 v22, s23, v41, v42
	s_waitcnt lgkmcnt(0)
	v_cmp_gt_i32_e32 vcc, s22, v22
	s_and_saveexec_b64 s[0:1], vcc
	s_cbranch_execz .LBB99_29
; %bb.1:
	s_load_dwordx4 s[0:3], s[4:5], 0x0
	s_load_dwordx2 s[6:7], s[4:5], 0x10
	s_waitcnt lgkmcnt(0)
	s_cmp_eq_u64 s[2:3], 0
	s_cbranch_scc1 .LBB99_3
; %bb.2:
	v_ashrrev_i32_e32 v1, 31, v22
	v_mov_b32_e32 v3, s3
	v_add_co_u32_e32 v2, vcc, s2, v22
	v_addc_co_u32_e32 v3, vcc, v3, v1, vcc
	global_load_ubyte v1, v[2:3], off
	s_waitcnt vmcnt(0)
	v_and_b32_e32 v1, 1, v1
	v_cmp_eq_u32_e32 vcc, 1, v1
	s_xor_b64 s[2:3], vcc, -1
	s_orn2_b64 s[16:17], s[2:3], exec
	s_branch .LBB99_4
.LBB99_3:
	s_mov_b64 s[16:17], -1
.LBB99_4:
	s_load_dwordx2 s[20:21], s[4:5], 0x40
	s_load_dwordx4 s[8:11], s[4:5], 0x30
	v_mov_b32_e32 v1, s1
	v_and_b32_e32 v23, 31, v0
	v_lshlrev_b32_e32 v0, 6, v23
	s_waitcnt lgkmcnt(0)
	v_mul_lo_u32 v2, v22, s21
	v_ashrrev_i32_e32 v3, 31, v2
	v_lshlrev_b64 v[2:3], 2, v[2:3]
	v_add_co_u32_e32 v16, vcc, s0, v2
	v_addc_co_u32_e32 v17, vcc, v1, v3, vcc
	v_add_co_u32_e32 v18, vcc, v16, v0
	v_addc_co_u32_e32 v19, vcc, 0, v17, vcc
	global_load_dwordx4 v[0:3], v[18:19], off offset:48
	global_load_dwordx4 v[4:7], v[18:19], off offset:32
	;; [unrolled: 1-line block ×3, first 2 shown]
	global_load_dwordx4 v[12:15], v[18:19], off
	v_lshlrev_b32_e32 v25, 4, v23
	v_mov_b32_e32 v24, 0
	v_cmp_gt_u32_e32 vcc, 8, v23
	s_and_saveexec_b64 s[0:1], vcc
	s_cbranch_execz .LBB99_6
; %bb.5:
	v_lshlrev_b32_e32 v18, 2, v23
	v_add_co_u32_e32 v16, vcc, v16, v18
	v_addc_co_u32_e32 v17, vcc, 0, v17, vcc
	global_load_dword v18, v[16:17], off offset:2048
	s_mov_b32 s2, 0xbfb8aa3b
	s_mov_b32 s3, 0x42ce8ed0
	;; [unrolled: 1-line block ×3, first 2 shown]
	v_mov_b32_e32 v19, 0x7f800000
	v_mul_lo_u32 v16, v22, s11
	v_add3_u32 v16, v16, s8, v23
	v_mov_b32_e32 v26, s7
	s_waitcnt vmcnt(0)
	v_mul_f32_e32 v17, 0xbfb8aa3b, v18
	v_fma_f32 v20, v18, s2, -v17
	v_rndne_f32_e32 v21, v17
	v_fmac_f32_e32 v20, 0xb2a5705f, v18
	v_sub_f32_e32 v17, v17, v21
	v_add_f32_e32 v17, v17, v20
	v_cvt_i32_f32_e32 v21, v21
	v_exp_f32_e32 v20, v17
	v_cmp_nlt_f32_e32 vcc, s3, v18
	v_ashrrev_i32_e32 v17, 31, v16
	v_lshlrev_b64 v[16:17], 2, v[16:17]
	v_ldexp_f32 v20, v20, v21
	v_cndmask_b32_e32 v20, 0, v20, vcc
	v_cmp_ngt_f32_e32 vcc, s12, v18
	v_cndmask_b32_e32 v18, v19, v20, vcc
	v_add_f32_e32 v18, 1.0, v18
	v_div_scale_f32 v19, s[2:3], v18, v18, 1.0
	v_rcp_f32_e32 v20, v19
	v_div_scale_f32 v21, vcc, 1.0, v18, 1.0
	v_fma_f32 v27, -v19, v20, 1.0
	v_fmac_f32_e32 v20, v27, v20
	v_mul_f32_e32 v27, v21, v20
	v_fma_f32 v28, -v19, v27, v21
	v_fmac_f32_e32 v27, v28, v20
	v_fma_f32 v19, -v19, v27, v21
	v_div_fmas_f32 v19, v19, v20, v27
	v_add_co_u32_e32 v16, vcc, s6, v16
	v_div_fixup_f32 v18, v19, v18, 1.0
	v_addc_co_u32_e32 v17, vcc, v26, v17, vcc
	global_store_dword v[16:17], v18, off
.LBB99_6:
	s_or_b64 exec, exec, s[0:1]
	s_waitcnt vmcnt(0)
	v_cmp_lt_f32_e32 vcc, v12, v13
	v_or_b32_e32 v26, 1, v25
	v_cndmask_b32_e32 v17, v12, v13, vcc
	v_cndmask_b32_e32 v16, v25, v26, vcc
	v_cmp_lt_f32_e32 vcc, v17, v14
	v_or_b32_e32 v27, 2, v25
	v_cndmask_b32_e32 v17, v17, v14, vcc
	v_cndmask_b32_e32 v16, v16, v27, vcc
	;; [unrolled: 4-line block ×14, first 2 shown]
	v_or_b32_e32 v40, 15, v25
	v_cmp_lt_f32_e32 vcc, v17, v3
	v_cndmask_b32_e32 v16, v16, v40, vcc
	v_cndmask_b32_e32 v17, v17, v3, vcc
	s_nop 0
	v_mov_b32_dpp v18, v16 quad_perm:[1,0,3,2] row_mask:0xf bank_mask:0xf
	v_mov_b32_dpp v19, v17 quad_perm:[1,0,3,2] row_mask:0xf bank_mask:0xf
	v_cmp_eq_f32_e64 s[0:1], v17, v19
	v_cmp_lt_i32_e64 s[2:3], v18, v16
	v_cmp_lt_f32_e32 vcc, v17, v19
	s_and_b64 s[0:1], s[0:1], s[2:3]
	s_or_b64 vcc, vcc, s[0:1]
	v_cndmask_b32_e32 v17, v17, v19, vcc
	v_cndmask_b32_e32 v16, v16, v18, vcc
	s_nop 0
	v_mov_b32_dpp v19, v17 quad_perm:[2,3,0,1] row_mask:0xf bank_mask:0xf
	v_mov_b32_dpp v18, v16 quad_perm:[2,3,0,1] row_mask:0xf bank_mask:0xf
	v_cmp_eq_f32_e64 s[0:1], v17, v19
	v_cmp_lt_i32_e64 s[2:3], v18, v16
	v_cmp_lt_f32_e32 vcc, v17, v19
	s_and_b64 s[0:1], s[0:1], s[2:3]
	s_or_b64 vcc, vcc, s[0:1]
	v_cndmask_b32_e32 v17, v17, v19, vcc
	v_cndmask_b32_e32 v16, v16, v18, vcc
	s_nop 0
	v_mov_b32_dpp v19, v17 row_half_mirror row_mask:0xf bank_mask:0xf
	v_mov_b32_dpp v18, v16 row_half_mirror row_mask:0xf bank_mask:0xf
	v_cmp_eq_f32_e64 s[0:1], v17, v19
	v_cmp_lt_i32_e64 s[2:3], v18, v16
	v_cmp_lt_f32_e32 vcc, v17, v19
	s_and_b64 s[0:1], s[0:1], s[2:3]
	s_or_b64 vcc, vcc, s[0:1]
	v_cndmask_b32_e32 v17, v17, v19, vcc
	v_cndmask_b32_e32 v16, v16, v18, vcc
	s_nop 0
	v_mov_b32_dpp v19, v17 row_mirror row_mask:0xf bank_mask:0xf
	v_mov_b32_dpp v18, v16 row_mirror row_mask:0xf bank_mask:0xf
	v_cmp_eq_f32_e64 s[0:1], v17, v19
	v_cmp_lt_i32_e64 s[2:3], v18, v16
	v_cmp_lt_f32_e32 vcc, v17, v19
	s_and_b64 s[0:1], s[0:1], s[2:3]
	s_or_b64 vcc, vcc, s[0:1]
	v_cndmask_b32_e32 v17, v17, v19, vcc
	v_cndmask_b32_e32 v16, v16, v18, vcc
	s_nop 0
	v_mov_b32_dpp v19, v17 row_bcast:15 row_mask:0xa bank_mask:0xf
	v_mov_b32_dpp v18, v16 row_bcast:15 row_mask:0xa bank_mask:0xf
	v_cmp_eq_f32_e32 vcc, v17, v19
	v_cmp_lt_i32_e64 s[0:1], v18, v16
	s_and_b64 vcc, vcc, s[0:1]
	v_cmp_lt_f32_e64 s[0:1], v17, v19
	v_cndmask_b32_e32 v20, v17, v19, vcc
	s_or_b64 vcc, s[0:1], vcc
	v_cndmask_b32_e32 v16, v16, v18, vcc
	v_mbcnt_lo_u32_b32 v18, -1, 0
	v_cndmask_b32_e64 v17, v20, v19, s[0:1]
	v_mbcnt_hi_u32_b32 v18, -1, v18
	v_mov_b32_e32 v19, 0x7c
	v_lshl_or_b32 v43, v18, 2, v19
	ds_bpermute_b32 v45, v43, v16
	ds_bpermute_b32 v44, v43, v17
	s_cmp_gt_i32 s8, 0
	s_cselect_b64 s[18:19], -1, 0
	s_cmp_lt_i32 s8, 1
	v_cmp_eq_u32_e32 vcc, 0, v23
	s_cbranch_scc1 .LBB99_18
; %bb.7:
	s_load_dwordx4 s[12:15], s[4:5], 0x20
	v_mul_lo_u32 v20, v22, s11
	v_mul_lo_u32 v18, v22, s20
	;; [unrolled: 1-line block ×3, first 2 shown]
	v_mov_b32_e32 v24, 0
	s_and_saveexec_b64 s[4:5], vcc
	s_cbranch_execz .LBB99_9
; %bb.8:
	s_waitcnt lgkmcnt(0)
	v_sub_f32_e32 v17, v44, v44
	v_mul_f32_e32 v19, 0x3fb8aa3b, v17
	s_mov_b32 s0, 0x3fb8aa3b
	v_rndne_f32_e32 v21, v19
	v_sub_f32_e32 v24, v19, v21
	v_fma_f32 v19, v17, s0, -v19
	v_fmac_f32_e32 v19, 0x32a5705f, v17
	v_add_f32_e32 v19, v24, v19
	v_exp_f32_e32 v19, v19
	v_cvt_i32_f32_e32 v21, v21
	v_cmp_le_i32_e64 s[0:1], s9, v45
	v_cmp_gt_i32_e64 s[2:3], s10, v45
	s_and_b64 s[2:3], s[0:1], s[2:3]
	s_mov_b32 s0, 0xc2ce8ed0
	v_ldexp_f32 v19, v19, v21
	v_cmp_ngt_f32_e64 s[0:1], s0, v17
	v_cndmask_b32_e64 v19, 0, v19, s[0:1]
	s_mov_b32 s0, 0x42b17218
	v_mov_b32_e32 v21, 0x7f800000
	v_cmp_nlt_f32_e64 s[0:1], s0, v17
	v_cndmask_b32_e64 v24, v21, v19, s[0:1]
	v_ashrrev_i32_e32 v21, 31, v20
	v_lshlrev_b64 v[46:47], 2, v[20:21]
	v_mov_b32_e32 v17, s7
	v_add_co_u32_e64 v46, s[0:1], s6, v46
	v_addc_co_u32_e64 v47, s[0:1], v17, v47, s[0:1]
	v_subrev_u32_e32 v17, s9, v45
	v_mov_b32_e32 v19, 0x200
	s_and_b64 s[0:1], s[16:17], s[2:3]
	v_cndmask_b32_e64 v17, v19, v17, s[0:1]
	v_ashrrev_i32_e32 v19, 31, v18
	global_store_dword v[46:47], v24, off
	v_lshlrev_b64 v[46:47], 2, v[18:19]
	v_mov_b32_e32 v19, s13
	v_add_co_u32_e64 v46, s[0:1], s12, v46
	v_addc_co_u32_e64 v47, s[0:1], v19, v47, s[0:1]
	global_store_dword v[46:47], v17, off
	v_ashrrev_i32_e32 v17, 31, v16
	v_lshlrev_b64 v[46:47], 2, v[16:17]
	v_mov_b32_e32 v17, s15
	v_add_co_u32_e64 v46, s[0:1], s14, v46
	v_addc_co_u32_e64 v47, s[0:1], v17, v47, s[0:1]
	global_store_dword v[46:47], v22, off
.LBB99_9:
	s_or_b64 exec, exec, s[4:5]
	s_waitcnt lgkmcnt(0)
	v_ashrrev_i32_e32 v19, 31, v45
	v_lshrrev_b32_e32 v17, 28, v19
	v_add_u32_e32 v17, v45, v17
	v_ashrrev_i32_e32 v17, 4, v17
	v_lshrrev_b32_e32 v21, 27, v17
	v_add_u32_e32 v21, v17, v21
	v_and_b32_e32 v21, 0xffffffe0, v21
	v_sub_u32_e32 v21, v17, v21
	v_cmp_eq_u32_e64 s[0:1], v23, v21
	s_and_saveexec_b64 s[2:3], s[0:1]
	s_cbranch_execz .LBB99_11
; %bb.10:
	v_lshrrev_b32_e32 v19, 23, v19
	v_add_u32_e32 v19, v45, v19
	v_lshlrev_b32_e32 v17, 4, v17
	v_ashrrev_i32_e32 v19, 9, v19
	v_sub_u32_e32 v17, v45, v17
	v_lshl_add_u32 v17, v19, 4, v17
	v_mov_b32_e32 v19, 0xff800000
	v_cmp_ne_u32_e64 s[0:1], 15, v17
	v_cndmask_b32_e64 v3, v19, v3, s[0:1]
	v_cmp_ne_u32_e64 s[0:1], 14, v17
	v_cndmask_b32_e64 v2, v19, v2, s[0:1]
	v_cmp_ne_u32_e64 s[0:1], 13, v17
	v_cndmask_b32_e64 v1, v19, v1, s[0:1]
	v_cmp_ne_u32_e64 s[0:1], 12, v17
	v_cndmask_b32_e64 v0, v19, v0, s[0:1]
	v_cmp_ne_u32_e64 s[0:1], 11, v17
	v_cndmask_b32_e64 v7, v19, v7, s[0:1]
	v_cmp_ne_u32_e64 s[0:1], 10, v17
	v_cndmask_b32_e64 v6, v19, v6, s[0:1]
	v_cmp_ne_u32_e64 s[0:1], 9, v17
	v_cndmask_b32_e64 v5, v19, v5, s[0:1]
	v_cmp_ne_u32_e64 s[0:1], 8, v17
	v_cndmask_b32_e64 v4, v19, v4, s[0:1]
	v_cmp_ne_u32_e64 s[0:1], 7, v17
	v_cndmask_b32_e64 v11, v19, v11, s[0:1]
	v_cmp_ne_u32_e64 s[0:1], 6, v17
	v_cndmask_b32_e64 v10, v19, v10, s[0:1]
	v_cmp_ne_u32_e64 s[0:1], 5, v17
	v_cndmask_b32_e64 v9, v19, v9, s[0:1]
	v_cmp_ne_u32_e64 s[0:1], 4, v17
	v_cndmask_b32_e64 v8, v19, v8, s[0:1]
	v_cmp_ne_u32_e64 s[0:1], 3, v17
	v_cndmask_b32_e64 v15, v19, v15, s[0:1]
	v_cmp_ne_u32_e64 s[0:1], 2, v17
	v_cndmask_b32_e64 v14, v19, v14, s[0:1]
	v_cmp_ne_u32_e64 s[0:1], 1, v17
	v_cndmask_b32_e64 v13, v19, v13, s[0:1]
	v_cmp_ne_u32_e64 s[0:1], 0, v17
	v_cndmask_b32_e64 v12, v19, v12, s[0:1]
.LBB99_11:
	s_or_b64 exec, exec, s[2:3]
	s_cmp_eq_u32 s8, 1
	s_cbranch_scc1 .LBB99_18
; %bb.12:
	s_add_i32 s23, s23, s22
	s_add_i32 s20, s8, -1
	v_add3_u32 v41, s23, v42, v41
	v_add_u32_e32 v16, 1, v16
	v_add_u32_e32 v18, 1, v18
	;; [unrolled: 1-line block ×3, first 2 shown]
	s_mov_b32 s21, 0x3fb8aa3b
	s_mov_b32 s23, 0xc2ce8ed0
	s_mov_b32 s24, 0x42b17218
	v_mov_b32_e32 v42, 0x7f800000
	v_mov_b32_e32 v45, 0x200
	v_mov_b32_e32 v46, 0xff800000
	s_branch .LBB99_14
.LBB99_13:                              ;   in Loop: Header=BB99_14 Depth=1
	s_or_b64 exec, exec, s[2:3]
	s_add_i32 s20, s20, -1
	v_add_u32_e32 v41, s22, v41
	v_add_u32_e32 v16, 1, v16
	;; [unrolled: 1-line block ×3, first 2 shown]
	s_cmp_eq_u32 s20, 0
	v_add_u32_e32 v20, 1, v20
	s_cbranch_scc1 .LBB99_18
.LBB99_14:                              ; =>This Inner Loop Header: Depth=1
	v_cmp_gt_f32_e64 s[0:1], v13, v12
	v_cndmask_b32_e64 v19, v12, v13, s[0:1]
	v_cndmask_b32_e64 v17, v25, v26, s[0:1]
	v_cmp_gt_f32_e64 s[0:1], v14, v19
	v_cndmask_b32_e64 v19, v19, v14, s[0:1]
	v_cndmask_b32_e64 v17, v17, v27, s[0:1]
	;; [unrolled: 3-line block ×15, first 2 shown]
	s_nop 0
	v_mov_b32_dpp v21, v17 quad_perm:[1,0,3,2] row_mask:0xf bank_mask:0xf
	v_mov_b32_dpp v47, v19 quad_perm:[1,0,3,2] row_mask:0xf bank_mask:0xf
	v_cmp_eq_f32_e64 s[2:3], v19, v47
	v_cmp_lt_i32_e64 s[4:5], v21, v17
	v_cmp_lt_f32_e64 s[0:1], v19, v47
	s_and_b64 s[2:3], s[2:3], s[4:5]
	s_or_b64 s[0:1], s[0:1], s[2:3]
	v_cndmask_b32_e64 v19, v19, v47, s[0:1]
	v_cndmask_b32_e64 v17, v17, v21, s[0:1]
	s_nop 0
	v_mov_b32_dpp v47, v19 quad_perm:[2,3,0,1] row_mask:0xf bank_mask:0xf
	v_mov_b32_dpp v21, v17 quad_perm:[2,3,0,1] row_mask:0xf bank_mask:0xf
	v_cmp_eq_f32_e64 s[2:3], v19, v47
	v_cmp_lt_i32_e64 s[4:5], v21, v17
	v_cmp_lt_f32_e64 s[0:1], v19, v47
	s_and_b64 s[2:3], s[2:3], s[4:5]
	s_or_b64 s[0:1], s[0:1], s[2:3]
	v_cndmask_b32_e64 v19, v19, v47, s[0:1]
	v_cndmask_b32_e64 v17, v17, v21, s[0:1]
	s_nop 0
	v_mov_b32_dpp v47, v19 row_half_mirror row_mask:0xf bank_mask:0xf
	v_mov_b32_dpp v21, v17 row_half_mirror row_mask:0xf bank_mask:0xf
	v_cmp_eq_f32_e64 s[2:3], v19, v47
	v_cmp_lt_i32_e64 s[4:5], v21, v17
	v_cmp_lt_f32_e64 s[0:1], v19, v47
	s_and_b64 s[2:3], s[2:3], s[4:5]
	s_or_b64 s[0:1], s[0:1], s[2:3]
	v_cndmask_b32_e64 v19, v19, v47, s[0:1]
	v_cndmask_b32_e64 v17, v17, v21, s[0:1]
	s_nop 0
	v_mov_b32_dpp v47, v19 row_mirror row_mask:0xf bank_mask:0xf
	v_mov_b32_dpp v21, v17 row_mirror row_mask:0xf bank_mask:0xf
	v_cmp_eq_f32_e64 s[2:3], v19, v47
	v_cmp_lt_i32_e64 s[4:5], v21, v17
	v_cmp_lt_f32_e64 s[0:1], v19, v47
	s_and_b64 s[2:3], s[2:3], s[4:5]
	s_or_b64 s[0:1], s[0:1], s[2:3]
	v_cndmask_b32_e64 v19, v19, v47, s[0:1]
	v_cndmask_b32_e64 v17, v17, v21, s[0:1]
	s_nop 0
	v_mov_b32_dpp v47, v19 row_bcast:15 row_mask:0xa bank_mask:0xf
	v_mov_b32_dpp v21, v17 row_bcast:15 row_mask:0xa bank_mask:0xf
	v_cmp_eq_f32_e64 s[0:1], v19, v47
	v_cmp_lt_i32_e64 s[2:3], v21, v17
	s_and_b64 s[0:1], s[0:1], s[2:3]
	v_cmp_lt_f32_e64 s[2:3], v19, v47
	v_cndmask_b32_e64 v48, v19, v47, s[0:1]
	s_or_b64 s[0:1], s[2:3], s[0:1]
	v_cndmask_b32_e64 v19, v48, v47, s[2:3]
	v_cndmask_b32_e64 v17, v17, v21, s[0:1]
	ds_bpermute_b32 v47, v43, v17
	ds_bpermute_b32 v17, v43, v19
	s_and_saveexec_b64 s[4:5], vcc
	s_cbranch_execz .LBB99_16
; %bb.15:                               ;   in Loop: Header=BB99_14 Depth=1
	s_waitcnt lgkmcnt(0)
	v_sub_f32_e32 v17, v17, v44
	v_mul_f32_e32 v19, 0x3fb8aa3b, v17
	v_fma_f32 v21, v17, s21, -v19
	v_rndne_f32_e32 v48, v19
	v_fmac_f32_e32 v21, 0x32a5705f, v17
	v_sub_f32_e32 v19, v19, v48
	v_add_f32_e32 v19, v19, v21
	v_exp_f32_e32 v19, v19
	v_cvt_i32_f32_e32 v21, v48
	v_cmp_le_i32_e64 s[0:1], s9, v47
	v_cmp_gt_i32_e64 s[2:3], s10, v47
	s_and_b64 s[2:3], s[0:1], s[2:3]
	v_ldexp_f32 v19, v19, v21
	v_cmp_ngt_f32_e64 s[0:1], s23, v17
	v_ashrrev_i32_e32 v21, 31, v20
	v_cndmask_b32_e64 v19, 0, v19, s[0:1]
	v_cmp_nlt_f32_e64 s[0:1], s24, v17
	v_lshlrev_b64 v[48:49], 2, v[20:21]
	v_cndmask_b32_e64 v50, v42, v19, s[0:1]
	v_mov_b32_e32 v17, s7
	v_add_co_u32_e64 v48, s[0:1], s6, v48
	v_addc_co_u32_e64 v49, s[0:1], v17, v49, s[0:1]
	v_ashrrev_i32_e32 v19, 31, v18
	global_store_dword v[48:49], v50, off
	v_subrev_u32_e32 v17, s9, v47
	s_and_b64 s[0:1], s[16:17], s[2:3]
	v_lshlrev_b64 v[48:49], 2, v[18:19]
	v_cndmask_b32_e64 v17, v45, v17, s[0:1]
	v_mov_b32_e32 v19, s13
	v_add_co_u32_e64 v48, s[0:1], s12, v48
	v_addc_co_u32_e64 v49, s[0:1], v19, v49, s[0:1]
	global_store_dword v[48:49], v17, off
	v_ashrrev_i32_e32 v17, 31, v16
	v_lshlrev_b64 v[48:49], 2, v[16:17]
	v_mov_b32_e32 v17, s15
	v_add_co_u32_e64 v48, s[0:1], s14, v48
	v_addc_co_u32_e64 v49, s[0:1], v17, v49, s[0:1]
	v_add_f32_e32 v24, v24, v50
	global_store_dword v[48:49], v41, off
.LBB99_16:                              ;   in Loop: Header=BB99_14 Depth=1
	s_or_b64 exec, exec, s[4:5]
	s_waitcnt lgkmcnt(1)
	v_ashrrev_i32_e32 v19, 31, v47
	s_waitcnt lgkmcnt(0)
	v_lshrrev_b32_e32 v17, 28, v19
	v_add_u32_e32 v17, v47, v17
	v_ashrrev_i32_e32 v17, 4, v17
	v_lshrrev_b32_e32 v21, 27, v17
	v_add_u32_e32 v21, v17, v21
	v_and_b32_e32 v21, 0xffffffe0, v21
	v_sub_u32_e32 v21, v17, v21
	v_cmp_eq_u32_e64 s[0:1], v23, v21
	s_and_saveexec_b64 s[2:3], s[0:1]
	s_cbranch_execz .LBB99_13
; %bb.17:                               ;   in Loop: Header=BB99_14 Depth=1
	v_lshrrev_b32_e32 v19, 23, v19
	v_add_u32_e32 v19, v47, v19
	v_lshlrev_b32_e32 v17, 4, v17
	v_ashrrev_i32_e32 v19, 9, v19
	v_sub_u32_e32 v17, v47, v17
	v_lshl_add_u32 v17, v19, 4, v17
	v_cmp_ne_u32_e64 s[0:1], 15, v17
	v_cndmask_b32_e64 v3, v46, v3, s[0:1]
	v_cmp_ne_u32_e64 s[0:1], 14, v17
	v_cndmask_b32_e64 v2, v46, v2, s[0:1]
	;; [unrolled: 2-line block ×16, first 2 shown]
	s_branch .LBB99_13
.LBB99_18:
	v_cmp_eq_u32_e32 vcc, 0, v23
	v_cmp_neq_f32_e64 s[0:1], 0, v24
	s_and_b64 s[0:1], vcc, s[0:1]
	s_and_b64 exec, exec, s[0:1]
	s_cbranch_execz .LBB99_29
; %bb.19:
	s_andn2_b64 vcc, exec, s[18:19]
	s_cbranch_vccnz .LBB99_29
; %bb.20:
	v_div_scale_f32 v0, s[0:1], v24, v24, 1.0
	v_rcp_f32_e32 v1, v0
	v_div_scale_f32 v2, vcc, 1.0, v24, 1.0
	s_cmp_gt_u32 s8, 3
	v_fma_f32 v3, -v0, v1, 1.0
	v_fmac_f32_e32 v1, v3, v1
	v_mul_f32_e32 v3, v2, v1
	v_fma_f32 v4, -v0, v3, v2
	v_fmac_f32_e32 v3, v4, v1
	v_fma_f32 v0, -v0, v3, v2
	v_div_fmas_f32 v0, v0, v1, v3
	v_mul_lo_u32 v2, v22, s11
	v_div_fixup_f32 v0, v0, v24, 1.0
	v_ashrrev_i32_e32 v3, 31, v2
	s_cbranch_scc0 .LBB99_24
; %bb.21:
	v_lshlrev_b64 v[4:5], 2, v[2:3]
	v_mov_b32_e32 v6, s7
	v_add_co_u32_e32 v4, vcc, s6, v4
	v_addc_co_u32_e32 v5, vcc, v5, v6, vcc
	s_and_b32 s4, s8, 0x7ffffffc
	v_add_co_u32_e32 v4, vcc, 8, v4
	v_mov_b32_e32 v1, v0
	v_addc_co_u32_e32 v5, vcc, 0, v5, vcc
	s_mov_b32 s0, s4
.LBB99_22:                              ; =>This Inner Loop Header: Depth=1
	global_load_dwordx4 v[6:9], v[4:5], off offset:-8
	s_add_i32 s0, s0, -4
	s_cmp_lg_u32 s0, 0
	s_waitcnt vmcnt(0)
	v_pk_mul_f32 v[6:7], v[0:1], v[6:7]
	v_pk_mul_f32 v[8:9], v[0:1], v[8:9]
	global_store_dwordx4 v[4:5], v[6:9], off offset:-8
	v_add_co_u32_e32 v4, vcc, 16, v4
	v_addc_co_u32_e32 v5, vcc, 0, v5, vcc
	s_cbranch_scc1 .LBB99_22
; %bb.23:
	s_cmp_lg_u32 s4, s8
	s_cselect_b64 s[0:1], -1, 0
	s_branch .LBB99_26
.LBB99_24:
	s_mov_b64 s[0:1], 0
                                        ; implicit-def: $sgpr4
	s_cbranch_execz .LBB99_26
; %bb.25:
	s_mov_b64 s[0:1], -1
	s_mov_b32 s4, 0
.LBB99_26:
	s_andn2_b64 vcc, exec, s[0:1]
	s_cbranch_vccnz .LBB99_29
; %bb.27:
	v_add_co_u32_e32 v2, vcc, s4, v2
	v_addc_co_u32_e32 v3, vcc, 0, v3, vcc
	v_lshlrev_b64 v[2:3], 2, v[2:3]
	v_mov_b32_e32 v1, s7
	v_add_co_u32_e32 v2, vcc, s6, v2
	s_sub_i32 s0, s8, s4
	v_addc_co_u32_e32 v3, vcc, v1, v3, vcc
.LBB99_28:                              ; =>This Inner Loop Header: Depth=1
	global_load_dword v1, v[2:3], off
	s_add_i32 s0, s0, -1
	s_cmp_lg_u32 s0, 0
	s_waitcnt vmcnt(0)
	v_mul_f32_e32 v1, v0, v1
	global_store_dword v[2:3], v1, off
	v_add_co_u32_e32 v2, vcc, 4, v2
	v_addc_co_u32_e32 v3, vcc, 0, v3, vcc
	s_cbranch_scc1 .LBB99_28
.LBB99_29:
	s_endpgm
	.section	.rodata,"a",@progbits
	.p2align	6, 0x0
	.amdhsa_kernel _ZN4vllm3moe17topkGatingSoftmaxIfLi16ELi512ELi2ELi64ELb1ELi8ELNS0_23SharedExpertScoringFuncE1EEEvPKT_PKbPfiPiS9_iiiiii
		.amdhsa_group_segment_fixed_size 0
		.amdhsa_private_segment_fixed_size 0
		.amdhsa_kernarg_size 72
		.amdhsa_user_sgpr_count 6
		.amdhsa_user_sgpr_private_segment_buffer 1
		.amdhsa_user_sgpr_dispatch_ptr 0
		.amdhsa_user_sgpr_queue_ptr 0
		.amdhsa_user_sgpr_kernarg_segment_ptr 1
		.amdhsa_user_sgpr_dispatch_id 0
		.amdhsa_user_sgpr_flat_scratch_init 0
		.amdhsa_user_sgpr_kernarg_preload_length 0
		.amdhsa_user_sgpr_kernarg_preload_offset 0
		.amdhsa_user_sgpr_private_segment_size 0
		.amdhsa_uses_dynamic_stack 0
		.amdhsa_system_sgpr_private_segment_wavefront_offset 0
		.amdhsa_system_sgpr_workgroup_id_x 1
		.amdhsa_system_sgpr_workgroup_id_y 0
		.amdhsa_system_sgpr_workgroup_id_z 0
		.amdhsa_system_sgpr_workgroup_info 0
		.amdhsa_system_vgpr_workitem_id 1
		.amdhsa_next_free_vgpr 51
		.amdhsa_next_free_sgpr 25
		.amdhsa_accum_offset 52
		.amdhsa_reserve_vcc 1
		.amdhsa_reserve_flat_scratch 0
		.amdhsa_float_round_mode_32 0
		.amdhsa_float_round_mode_16_64 0
		.amdhsa_float_denorm_mode_32 3
		.amdhsa_float_denorm_mode_16_64 3
		.amdhsa_dx10_clamp 1
		.amdhsa_ieee_mode 1
		.amdhsa_fp16_overflow 0
		.amdhsa_tg_split 0
		.amdhsa_exception_fp_ieee_invalid_op 0
		.amdhsa_exception_fp_denorm_src 0
		.amdhsa_exception_fp_ieee_div_zero 0
		.amdhsa_exception_fp_ieee_overflow 0
		.amdhsa_exception_fp_ieee_underflow 0
		.amdhsa_exception_fp_ieee_inexact 0
		.amdhsa_exception_int_div_zero 0
	.end_amdhsa_kernel
	.section	.text._ZN4vllm3moe17topkGatingSoftmaxIfLi16ELi512ELi2ELi64ELb1ELi8ELNS0_23SharedExpertScoringFuncE1EEEvPKT_PKbPfiPiS9_iiiiii,"axG",@progbits,_ZN4vllm3moe17topkGatingSoftmaxIfLi16ELi512ELi2ELi64ELb1ELi8ELNS0_23SharedExpertScoringFuncE1EEEvPKT_PKbPfiPiS9_iiiiii,comdat
.Lfunc_end99:
	.size	_ZN4vllm3moe17topkGatingSoftmaxIfLi16ELi512ELi2ELi64ELb1ELi8ELNS0_23SharedExpertScoringFuncE1EEEvPKT_PKbPfiPiS9_iiiiii, .Lfunc_end99-_ZN4vllm3moe17topkGatingSoftmaxIfLi16ELi512ELi2ELi64ELb1ELi8ELNS0_23SharedExpertScoringFuncE1EEEvPKT_PKbPfiPiS9_iiiiii
                                        ; -- End function
	.section	.AMDGPU.csdata,"",@progbits
; Kernel info:
; codeLenInByte = 3596
; NumSgprs: 29
; NumVgprs: 51
; NumAgprs: 0
; TotalNumVgprs: 51
; ScratchSize: 0
; MemoryBound: 0
; FloatMode: 240
; IeeeMode: 1
; LDSByteSize: 0 bytes/workgroup (compile time only)
; SGPRBlocks: 3
; VGPRBlocks: 6
; NumSGPRsForWavesPerEU: 29
; NumVGPRsForWavesPerEU: 51
; AccumOffset: 52
; Occupancy: 8
; WaveLimiterHint : 0
; COMPUTE_PGM_RSRC2:SCRATCH_EN: 0
; COMPUTE_PGM_RSRC2:USER_SGPR: 6
; COMPUTE_PGM_RSRC2:TRAP_HANDLER: 0
; COMPUTE_PGM_RSRC2:TGID_X_EN: 1
; COMPUTE_PGM_RSRC2:TGID_Y_EN: 0
; COMPUTE_PGM_RSRC2:TGID_Z_EN: 0
; COMPUTE_PGM_RSRC2:TIDIG_COMP_CNT: 1
; COMPUTE_PGM_RSRC3_GFX90A:ACCUM_OFFSET: 12
; COMPUTE_PGM_RSRC3_GFX90A:TG_SPLIT: 0
	.section	.text._ZN4vllm3moe17topkGatingSoftmaxIfLi16ELi512ELi2ELi64ELb0ELi8ELNS0_23SharedExpertScoringFuncE1EEEvPKT_PKbPfiPiS9_iiiiii,"axG",@progbits,_ZN4vllm3moe17topkGatingSoftmaxIfLi16ELi512ELi2ELi64ELb0ELi8ELNS0_23SharedExpertScoringFuncE1EEEvPKT_PKbPfiPiS9_iiiiii,comdat
	.protected	_ZN4vllm3moe17topkGatingSoftmaxIfLi16ELi512ELi2ELi64ELb0ELi8ELNS0_23SharedExpertScoringFuncE1EEEvPKT_PKbPfiPiS9_iiiiii ; -- Begin function _ZN4vllm3moe17topkGatingSoftmaxIfLi16ELi512ELi2ELi64ELb0ELi8ELNS0_23SharedExpertScoringFuncE1EEEvPKT_PKbPfiPiS9_iiiiii
	.globl	_ZN4vllm3moe17topkGatingSoftmaxIfLi16ELi512ELi2ELi64ELb0ELi8ELNS0_23SharedExpertScoringFuncE1EEEvPKT_PKbPfiPiS9_iiiiii
	.p2align	8
	.type	_ZN4vllm3moe17topkGatingSoftmaxIfLi16ELi512ELi2ELi64ELb0ELi8ELNS0_23SharedExpertScoringFuncE1EEEvPKT_PKbPfiPiS9_iiiiii,@function
_ZN4vllm3moe17topkGatingSoftmaxIfLi16ELi512ELi2ELi64ELb0ELi8ELNS0_23SharedExpertScoringFuncE1EEEvPKT_PKbPfiPiS9_iiiiii: ; @_ZN4vllm3moe17topkGatingSoftmaxIfLi16ELi512ELi2ELi64ELb0ELi8ELNS0_23SharedExpertScoringFuncE1EEEvPKT_PKbPfiPiS9_iiiiii
; %bb.0:
	s_load_dword s22, s[4:5], 0x18
	v_bfe_u32 v1, v0, 10, 10
	v_and_b32_e32 v0, 0x3ff, v0
	s_lshl_b32 s23, s6, 2
	v_lshlrev_b32_e32 v43, 1, v1
	v_lshrrev_b32_e32 v44, 5, v0
	v_add3_u32 v22, s23, v43, v44
	s_waitcnt lgkmcnt(0)
	v_cmp_gt_i32_e32 vcc, s22, v22
	s_and_saveexec_b64 s[0:1], vcc
	s_cbranch_execz .LBB100_31
; %bb.1:
	s_load_dwordx4 s[0:3], s[4:5], 0x0
	s_load_dwordx2 s[6:7], s[4:5], 0x10
	s_waitcnt lgkmcnt(0)
	s_cmp_eq_u64 s[2:3], 0
	s_cbranch_scc1 .LBB100_3
; %bb.2:
	v_ashrrev_i32_e32 v1, 31, v22
	v_mov_b32_e32 v3, s3
	v_add_co_u32_e32 v2, vcc, s2, v22
	v_addc_co_u32_e32 v3, vcc, v3, v1, vcc
	global_load_ubyte v1, v[2:3], off
	s_waitcnt vmcnt(0)
	v_and_b32_e32 v1, 1, v1
	v_cmp_eq_u32_e32 vcc, 1, v1
	s_xor_b64 s[2:3], vcc, -1
	s_orn2_b64 s[18:19], s[2:3], exec
	s_branch .LBB100_4
.LBB100_3:
	s_mov_b64 s[18:19], -1
.LBB100_4:
	s_load_dwordx2 s[20:21], s[4:5], 0x40
	s_load_dwordx4 s[8:11], s[4:5], 0x30
	v_mov_b32_e32 v1, s1
	v_and_b32_e32 v23, 31, v0
	v_lshlrev_b32_e32 v0, 6, v23
	s_waitcnt lgkmcnt(0)
	v_mul_lo_u32 v2, v22, s21
	v_ashrrev_i32_e32 v3, 31, v2
	v_lshlrev_b64 v[2:3], 2, v[2:3]
	v_add_co_u32_e32 v16, vcc, s0, v2
	v_addc_co_u32_e32 v17, vcc, v1, v3, vcc
	v_add_co_u32_e32 v18, vcc, v16, v0
	v_addc_co_u32_e32 v19, vcc, 0, v17, vcc
	global_load_dwordx4 v[0:3], v[18:19], off offset:48
	global_load_dwordx4 v[4:7], v[18:19], off offset:32
	;; [unrolled: 1-line block ×3, first 2 shown]
	global_load_dwordx4 v[12:15], v[18:19], off
	v_lshlrev_b32_e32 v27, 4, v23
	v_mov_b32_e32 v24, 0
	v_cmp_gt_u32_e32 vcc, 8, v23
	s_and_saveexec_b64 s[0:1], vcc
	s_cbranch_execz .LBB100_6
; %bb.5:
	v_lshlrev_b32_e32 v18, 2, v23
	v_add_co_u32_e32 v16, vcc, v16, v18
	v_addc_co_u32_e32 v17, vcc, 0, v17, vcc
	global_load_dword v18, v[16:17], off offset:2048
	s_mov_b32 s2, 0xbfb8aa3b
	s_mov_b32 s3, 0x42ce8ed0
	;; [unrolled: 1-line block ×3, first 2 shown]
	v_mov_b32_e32 v19, 0x7f800000
	v_mul_lo_u32 v16, v22, s11
	v_add3_u32 v16, v16, s8, v23
	v_mov_b32_e32 v25, s7
	s_waitcnt vmcnt(0)
	v_mul_f32_e32 v17, 0xbfb8aa3b, v18
	v_fma_f32 v20, v18, s2, -v17
	v_rndne_f32_e32 v21, v17
	v_fmac_f32_e32 v20, 0xb2a5705f, v18
	v_sub_f32_e32 v17, v17, v21
	v_add_f32_e32 v17, v17, v20
	v_cvt_i32_f32_e32 v21, v21
	v_exp_f32_e32 v20, v17
	v_cmp_nlt_f32_e32 vcc, s3, v18
	v_ashrrev_i32_e32 v17, 31, v16
	v_lshlrev_b64 v[16:17], 2, v[16:17]
	v_ldexp_f32 v20, v20, v21
	v_cndmask_b32_e32 v20, 0, v20, vcc
	v_cmp_ngt_f32_e32 vcc, s12, v18
	v_cndmask_b32_e32 v18, v19, v20, vcc
	v_add_f32_e32 v18, 1.0, v18
	v_div_scale_f32 v19, s[2:3], v18, v18, 1.0
	v_rcp_f32_e32 v20, v19
	v_div_scale_f32 v21, vcc, 1.0, v18, 1.0
	v_fma_f32 v26, -v19, v20, 1.0
	v_fmac_f32_e32 v20, v26, v20
	v_mul_f32_e32 v26, v21, v20
	v_fma_f32 v28, -v19, v26, v21
	v_fmac_f32_e32 v26, v28, v20
	v_fma_f32 v19, -v19, v26, v21
	v_div_fmas_f32 v19, v19, v20, v26
	v_add_co_u32_e32 v16, vcc, s6, v16
	v_div_fixup_f32 v18, v19, v18, 1.0
	v_addc_co_u32_e32 v17, vcc, v25, v17, vcc
	global_store_dword v[16:17], v18, off
.LBB100_6:
	s_or_b64 exec, exec, s[0:1]
	s_waitcnt vmcnt(0)
	v_cmp_lt_f32_e32 vcc, v12, v13
	v_or_b32_e32 v28, 1, v27
	v_cndmask_b32_e32 v17, v12, v13, vcc
	v_cndmask_b32_e32 v16, v27, v28, vcc
	v_cmp_lt_f32_e32 vcc, v17, v14
	v_or_b32_e32 v29, 2, v27
	v_cndmask_b32_e32 v17, v17, v14, vcc
	v_cndmask_b32_e32 v16, v16, v29, vcc
	;; [unrolled: 4-line block ×14, first 2 shown]
	v_or_b32_e32 v42, 15, v27
	v_cmp_lt_f32_e32 vcc, v17, v3
	v_cndmask_b32_e32 v16, v16, v42, vcc
	v_cndmask_b32_e32 v17, v17, v3, vcc
	s_nop 0
	v_mov_b32_dpp v18, v16 quad_perm:[1,0,3,2] row_mask:0xf bank_mask:0xf
	v_mov_b32_dpp v19, v17 quad_perm:[1,0,3,2] row_mask:0xf bank_mask:0xf
	v_cmp_eq_f32_e64 s[0:1], v17, v19
	v_cmp_lt_i32_e64 s[2:3], v18, v16
	v_cmp_lt_f32_e32 vcc, v17, v19
	s_and_b64 s[0:1], s[0:1], s[2:3]
	s_or_b64 vcc, vcc, s[0:1]
	v_cndmask_b32_e32 v17, v17, v19, vcc
	v_cndmask_b32_e32 v16, v16, v18, vcc
	s_nop 0
	v_mov_b32_dpp v19, v17 quad_perm:[2,3,0,1] row_mask:0xf bank_mask:0xf
	v_mov_b32_dpp v18, v16 quad_perm:[2,3,0,1] row_mask:0xf bank_mask:0xf
	v_cmp_eq_f32_e64 s[0:1], v17, v19
	v_cmp_lt_i32_e64 s[2:3], v18, v16
	v_cmp_lt_f32_e32 vcc, v17, v19
	s_and_b64 s[0:1], s[0:1], s[2:3]
	s_or_b64 vcc, vcc, s[0:1]
	v_cndmask_b32_e32 v17, v17, v19, vcc
	v_cndmask_b32_e32 v16, v16, v18, vcc
	s_nop 0
	v_mov_b32_dpp v19, v17 row_half_mirror row_mask:0xf bank_mask:0xf
	v_mov_b32_dpp v18, v16 row_half_mirror row_mask:0xf bank_mask:0xf
	v_cmp_eq_f32_e64 s[0:1], v17, v19
	v_cmp_lt_i32_e64 s[2:3], v18, v16
	v_cmp_lt_f32_e32 vcc, v17, v19
	s_and_b64 s[0:1], s[0:1], s[2:3]
	s_or_b64 vcc, vcc, s[0:1]
	v_cndmask_b32_e32 v17, v17, v19, vcc
	v_cndmask_b32_e32 v16, v16, v18, vcc
	s_nop 0
	v_mov_b32_dpp v19, v17 row_mirror row_mask:0xf bank_mask:0xf
	v_mov_b32_dpp v18, v16 row_mirror row_mask:0xf bank_mask:0xf
	v_cmp_eq_f32_e64 s[0:1], v17, v19
	v_cmp_lt_i32_e64 s[2:3], v18, v16
	v_cmp_lt_f32_e32 vcc, v17, v19
	s_and_b64 s[0:1], s[0:1], s[2:3]
	s_or_b64 vcc, vcc, s[0:1]
	v_cndmask_b32_e32 v17, v17, v19, vcc
	v_cndmask_b32_e32 v16, v16, v18, vcc
	s_nop 0
	v_mov_b32_dpp v19, v17 row_bcast:15 row_mask:0xa bank_mask:0xf
	v_mov_b32_dpp v18, v16 row_bcast:15 row_mask:0xa bank_mask:0xf
	v_cmp_eq_f32_e32 vcc, v17, v19
	v_cmp_lt_i32_e64 s[0:1], v18, v16
	s_and_b64 vcc, vcc, s[0:1]
	v_cmp_lt_f32_e64 s[0:1], v17, v19
	v_cndmask_b32_e32 v20, v17, v19, vcc
	s_or_b64 vcc, s[0:1], vcc
	v_cndmask_b32_e32 v16, v16, v18, vcc
	v_mbcnt_lo_u32_b32 v18, -1, 0
	v_cndmask_b32_e64 v17, v20, v19, s[0:1]
	v_mbcnt_hi_u32_b32 v18, -1, v18
	v_mov_b32_e32 v19, 0x7c
	v_lshl_or_b32 v25, v18, 2, v19
	ds_bpermute_b32 v45, v25, v16
	ds_bpermute_b32 v26, v25, v17
	s_cmp_gt_i32 s8, 0
	s_cselect_b64 s[16:17], -1, 0
	s_cmp_lt_i32 s8, 1
	v_cmp_eq_u32_e32 vcc, 0, v23
	s_cbranch_scc1 .LBB100_18
; %bb.7:
	s_load_dwordx4 s[12:15], s[4:5], 0x20
	v_mul_lo_u32 v20, v22, s11
	v_mul_lo_u32 v18, v22, s20
	;; [unrolled: 1-line block ×3, first 2 shown]
	v_mov_b32_e32 v24, 0
	s_and_saveexec_b64 s[4:5], vcc
	s_cbranch_execz .LBB100_9
; %bb.8:
	s_waitcnt lgkmcnt(0)
	v_sub_f32_e32 v17, v26, v26
	v_mul_f32_e32 v19, 0x3fb8aa3b, v17
	s_mov_b32 s0, 0x3fb8aa3b
	v_rndne_f32_e32 v21, v19
	v_sub_f32_e32 v24, v19, v21
	v_fma_f32 v19, v17, s0, -v19
	v_fmac_f32_e32 v19, 0x32a5705f, v17
	v_add_f32_e32 v19, v24, v19
	v_exp_f32_e32 v19, v19
	v_cvt_i32_f32_e32 v21, v21
	v_cmp_le_i32_e64 s[0:1], s9, v45
	v_cmp_gt_i32_e64 s[2:3], s10, v45
	s_and_b64 s[2:3], s[0:1], s[2:3]
	s_mov_b32 s0, 0xc2ce8ed0
	v_ldexp_f32 v19, v19, v21
	v_cmp_ngt_f32_e64 s[0:1], s0, v17
	v_cndmask_b32_e64 v19, 0, v19, s[0:1]
	s_mov_b32 s0, 0x42b17218
	v_mov_b32_e32 v21, 0x7f800000
	v_cmp_nlt_f32_e64 s[0:1], s0, v17
	v_cndmask_b32_e64 v24, v21, v19, s[0:1]
	v_ashrrev_i32_e32 v21, 31, v20
	v_lshlrev_b64 v[46:47], 2, v[20:21]
	v_mov_b32_e32 v17, s7
	v_add_co_u32_e64 v46, s[0:1], s6, v46
	v_addc_co_u32_e64 v47, s[0:1], v17, v47, s[0:1]
	v_subrev_u32_e32 v17, s9, v45
	v_mov_b32_e32 v19, 0x200
	s_and_b64 s[0:1], s[18:19], s[2:3]
	v_cndmask_b32_e64 v17, v19, v17, s[0:1]
	v_ashrrev_i32_e32 v19, 31, v18
	global_store_dword v[46:47], v24, off
	v_lshlrev_b64 v[46:47], 2, v[18:19]
	v_mov_b32_e32 v19, s13
	v_add_co_u32_e64 v46, s[0:1], s12, v46
	v_addc_co_u32_e64 v47, s[0:1], v19, v47, s[0:1]
	global_store_dword v[46:47], v17, off
	v_ashrrev_i32_e32 v17, 31, v16
	v_lshlrev_b64 v[46:47], 2, v[16:17]
	v_mov_b32_e32 v17, s15
	v_add_co_u32_e64 v46, s[0:1], s14, v46
	v_addc_co_u32_e64 v47, s[0:1], v17, v47, s[0:1]
	global_store_dword v[46:47], v22, off
.LBB100_9:
	s_or_b64 exec, exec, s[4:5]
	s_waitcnt lgkmcnt(0)
	v_ashrrev_i32_e32 v19, 31, v45
	v_lshrrev_b32_e32 v17, 28, v19
	v_add_u32_e32 v17, v45, v17
	v_ashrrev_i32_e32 v17, 4, v17
	v_lshrrev_b32_e32 v21, 27, v17
	v_add_u32_e32 v21, v17, v21
	v_and_b32_e32 v21, 0xffffffe0, v21
	v_sub_u32_e32 v21, v17, v21
	v_cmp_eq_u32_e64 s[0:1], v23, v21
	s_and_saveexec_b64 s[2:3], s[0:1]
	s_cbranch_execz .LBB100_11
; %bb.10:
	v_lshrrev_b32_e32 v19, 23, v19
	v_add_u32_e32 v19, v45, v19
	v_lshlrev_b32_e32 v17, 4, v17
	v_ashrrev_i32_e32 v19, 9, v19
	v_sub_u32_e32 v17, v45, v17
	v_lshl_add_u32 v17, v19, 4, v17
	v_mov_b32_e32 v19, 0xff800000
	v_cmp_ne_u32_e64 s[0:1], 15, v17
	v_cndmask_b32_e64 v3, v19, v3, s[0:1]
	v_cmp_ne_u32_e64 s[0:1], 14, v17
	v_cndmask_b32_e64 v2, v19, v2, s[0:1]
	;; [unrolled: 2-line block ×16, first 2 shown]
.LBB100_11:
	s_or_b64 exec, exec, s[2:3]
	s_cmp_eq_u32 s8, 1
	s_cbranch_scc1 .LBB100_18
; %bb.12:
	s_add_i32 s23, s23, s22
	s_add_i32 s20, s8, -1
	v_add3_u32 v43, s23, v44, v43
	v_add_u32_e32 v16, 1, v16
	v_add_u32_e32 v18, 1, v18
	;; [unrolled: 1-line block ×3, first 2 shown]
	s_mov_b32 s21, 0x3fb8aa3b
	s_mov_b32 s23, 0xc2ce8ed0
	;; [unrolled: 1-line block ×3, first 2 shown]
	v_mov_b32_e32 v44, 0x7f800000
	v_mov_b32_e32 v45, 0x200
	;; [unrolled: 1-line block ×3, first 2 shown]
	s_branch .LBB100_14
.LBB100_13:                             ;   in Loop: Header=BB100_14 Depth=1
	s_or_b64 exec, exec, s[2:3]
	s_add_i32 s20, s20, -1
	v_add_u32_e32 v43, s22, v43
	v_add_u32_e32 v16, 1, v16
	;; [unrolled: 1-line block ×3, first 2 shown]
	s_cmp_eq_u32 s20, 0
	v_add_u32_e32 v20, 1, v20
	s_cbranch_scc1 .LBB100_18
.LBB100_14:                             ; =>This Inner Loop Header: Depth=1
	v_cmp_gt_f32_e64 s[0:1], v13, v12
	v_cndmask_b32_e64 v19, v12, v13, s[0:1]
	v_cndmask_b32_e64 v17, v27, v28, s[0:1]
	v_cmp_gt_f32_e64 s[0:1], v14, v19
	v_cndmask_b32_e64 v19, v19, v14, s[0:1]
	v_cndmask_b32_e64 v17, v17, v29, s[0:1]
	;; [unrolled: 3-line block ×15, first 2 shown]
	s_nop 0
	v_mov_b32_dpp v21, v17 quad_perm:[1,0,3,2] row_mask:0xf bank_mask:0xf
	v_mov_b32_dpp v47, v19 quad_perm:[1,0,3,2] row_mask:0xf bank_mask:0xf
	v_cmp_eq_f32_e64 s[2:3], v19, v47
	v_cmp_lt_i32_e64 s[4:5], v21, v17
	v_cmp_lt_f32_e64 s[0:1], v19, v47
	s_and_b64 s[2:3], s[2:3], s[4:5]
	s_or_b64 s[0:1], s[0:1], s[2:3]
	v_cndmask_b32_e64 v19, v19, v47, s[0:1]
	v_cndmask_b32_e64 v17, v17, v21, s[0:1]
	s_nop 0
	v_mov_b32_dpp v47, v19 quad_perm:[2,3,0,1] row_mask:0xf bank_mask:0xf
	v_mov_b32_dpp v21, v17 quad_perm:[2,3,0,1] row_mask:0xf bank_mask:0xf
	v_cmp_eq_f32_e64 s[2:3], v19, v47
	v_cmp_lt_i32_e64 s[4:5], v21, v17
	v_cmp_lt_f32_e64 s[0:1], v19, v47
	s_and_b64 s[2:3], s[2:3], s[4:5]
	s_or_b64 s[0:1], s[0:1], s[2:3]
	v_cndmask_b32_e64 v19, v19, v47, s[0:1]
	v_cndmask_b32_e64 v17, v17, v21, s[0:1]
	s_nop 0
	v_mov_b32_dpp v47, v19 row_half_mirror row_mask:0xf bank_mask:0xf
	v_mov_b32_dpp v21, v17 row_half_mirror row_mask:0xf bank_mask:0xf
	v_cmp_eq_f32_e64 s[2:3], v19, v47
	v_cmp_lt_i32_e64 s[4:5], v21, v17
	v_cmp_lt_f32_e64 s[0:1], v19, v47
	s_and_b64 s[2:3], s[2:3], s[4:5]
	s_or_b64 s[0:1], s[0:1], s[2:3]
	v_cndmask_b32_e64 v19, v19, v47, s[0:1]
	v_cndmask_b32_e64 v17, v17, v21, s[0:1]
	s_nop 0
	v_mov_b32_dpp v47, v19 row_mirror row_mask:0xf bank_mask:0xf
	v_mov_b32_dpp v21, v17 row_mirror row_mask:0xf bank_mask:0xf
	v_cmp_eq_f32_e64 s[2:3], v19, v47
	v_cmp_lt_i32_e64 s[4:5], v21, v17
	v_cmp_lt_f32_e64 s[0:1], v19, v47
	s_and_b64 s[2:3], s[2:3], s[4:5]
	s_or_b64 s[0:1], s[0:1], s[2:3]
	v_cndmask_b32_e64 v19, v19, v47, s[0:1]
	v_cndmask_b32_e64 v17, v17, v21, s[0:1]
	s_nop 0
	v_mov_b32_dpp v47, v19 row_bcast:15 row_mask:0xa bank_mask:0xf
	v_mov_b32_dpp v21, v17 row_bcast:15 row_mask:0xa bank_mask:0xf
	v_cmp_eq_f32_e64 s[0:1], v19, v47
	v_cmp_lt_i32_e64 s[2:3], v21, v17
	s_and_b64 s[0:1], s[0:1], s[2:3]
	v_cmp_lt_f32_e64 s[2:3], v19, v47
	v_cndmask_b32_e64 v48, v19, v47, s[0:1]
	s_or_b64 s[0:1], s[2:3], s[0:1]
	v_cndmask_b32_e64 v19, v48, v47, s[2:3]
	v_cndmask_b32_e64 v17, v17, v21, s[0:1]
	ds_bpermute_b32 v47, v25, v17
	ds_bpermute_b32 v17, v25, v19
	s_and_saveexec_b64 s[4:5], vcc
	s_cbranch_execz .LBB100_16
; %bb.15:                               ;   in Loop: Header=BB100_14 Depth=1
	s_waitcnt lgkmcnt(0)
	v_sub_f32_e32 v17, v17, v26
	v_mul_f32_e32 v19, 0x3fb8aa3b, v17
	v_fma_f32 v21, v17, s21, -v19
	v_rndne_f32_e32 v48, v19
	v_fmac_f32_e32 v21, 0x32a5705f, v17
	v_sub_f32_e32 v19, v19, v48
	v_add_f32_e32 v19, v19, v21
	v_exp_f32_e32 v19, v19
	v_cvt_i32_f32_e32 v21, v48
	v_cmp_le_i32_e64 s[0:1], s9, v47
	v_cmp_gt_i32_e64 s[2:3], s10, v47
	s_and_b64 s[2:3], s[0:1], s[2:3]
	v_ldexp_f32 v19, v19, v21
	v_cmp_ngt_f32_e64 s[0:1], s23, v17
	v_ashrrev_i32_e32 v21, 31, v20
	v_cndmask_b32_e64 v19, 0, v19, s[0:1]
	v_cmp_nlt_f32_e64 s[0:1], s24, v17
	v_lshlrev_b64 v[48:49], 2, v[20:21]
	v_cndmask_b32_e64 v50, v44, v19, s[0:1]
	v_mov_b32_e32 v17, s7
	v_add_co_u32_e64 v48, s[0:1], s6, v48
	v_addc_co_u32_e64 v49, s[0:1], v17, v49, s[0:1]
	v_ashrrev_i32_e32 v19, 31, v18
	global_store_dword v[48:49], v50, off
	v_subrev_u32_e32 v17, s9, v47
	s_and_b64 s[0:1], s[18:19], s[2:3]
	v_lshlrev_b64 v[48:49], 2, v[18:19]
	v_cndmask_b32_e64 v17, v45, v17, s[0:1]
	v_mov_b32_e32 v19, s13
	v_add_co_u32_e64 v48, s[0:1], s12, v48
	v_addc_co_u32_e64 v49, s[0:1], v19, v49, s[0:1]
	global_store_dword v[48:49], v17, off
	v_ashrrev_i32_e32 v17, 31, v16
	v_lshlrev_b64 v[48:49], 2, v[16:17]
	v_mov_b32_e32 v17, s15
	v_add_co_u32_e64 v48, s[0:1], s14, v48
	v_addc_co_u32_e64 v49, s[0:1], v17, v49, s[0:1]
	v_add_f32_e32 v24, v24, v50
	global_store_dword v[48:49], v43, off
.LBB100_16:                             ;   in Loop: Header=BB100_14 Depth=1
	s_or_b64 exec, exec, s[4:5]
	s_waitcnt lgkmcnt(1)
	v_ashrrev_i32_e32 v19, 31, v47
	s_waitcnt lgkmcnt(0)
	v_lshrrev_b32_e32 v17, 28, v19
	v_add_u32_e32 v17, v47, v17
	v_ashrrev_i32_e32 v17, 4, v17
	v_lshrrev_b32_e32 v21, 27, v17
	v_add_u32_e32 v21, v17, v21
	v_and_b32_e32 v21, 0xffffffe0, v21
	v_sub_u32_e32 v21, v17, v21
	v_cmp_eq_u32_e64 s[0:1], v23, v21
	s_and_saveexec_b64 s[2:3], s[0:1]
	s_cbranch_execz .LBB100_13
; %bb.17:                               ;   in Loop: Header=BB100_14 Depth=1
	v_lshrrev_b32_e32 v19, 23, v19
	v_add_u32_e32 v19, v47, v19
	v_lshlrev_b32_e32 v17, 4, v17
	v_ashrrev_i32_e32 v19, 9, v19
	v_sub_u32_e32 v17, v47, v17
	v_lshl_add_u32 v17, v19, 4, v17
	v_cmp_ne_u32_e64 s[0:1], 15, v17
	v_cndmask_b32_e64 v3, v46, v3, s[0:1]
	v_cmp_ne_u32_e64 s[0:1], 14, v17
	v_cndmask_b32_e64 v2, v46, v2, s[0:1]
	;; [unrolled: 2-line block ×16, first 2 shown]
	s_branch .LBB100_13
.LBB100_18:
	s_waitcnt lgkmcnt(0)
	v_sub_f32_e32 v12, v12, v26
	s_mov_b32 s1, 0x3fb8aa3b
	v_mul_f32_e32 v16, 0x3fb8aa3b, v12
	v_fma_f32 v17, v12, s1, -v16
	v_rndne_f32_e32 v18, v16
	v_fmac_f32_e32 v17, 0x32a5705f, v12
	v_sub_f32_e32 v16, v16, v18
	v_add_f32_e32 v16, v16, v17
	v_exp_f32_e32 v16, v16
	v_cvt_i32_f32_e32 v17, v18
	v_sub_f32_e32 v13, v13, v26
	s_mov_b32 s0, 0xc2ce8ed0
	v_cmp_ngt_f32_e32 vcc, s0, v12
	v_ldexp_f32 v16, v16, v17
	v_mul_f32_e32 v17, 0x3fb8aa3b, v13
	v_fma_f32 v18, v13, s1, -v17
	v_rndne_f32_e32 v19, v17
	v_fmac_f32_e32 v18, 0x32a5705f, v13
	v_sub_f32_e32 v17, v17, v19
	v_add_f32_e32 v17, v17, v18
	v_exp_f32_e32 v17, v17
	v_cvt_i32_f32_e32 v18, v19
	s_mov_b32 s2, 0x42b17218
	v_cndmask_b32_e32 v16, 0, v16, vcc
	v_mov_b32_e32 v19, 0x7f800000
	v_cmp_nlt_f32_e32 vcc, s2, v12
	v_sub_f32_e32 v14, v14, v26
	v_cndmask_b32_e32 v12, v19, v16, vcc
	v_ldexp_f32 v16, v17, v18
	v_mul_f32_e32 v17, 0x3fb8aa3b, v14
	v_fma_f32 v18, v14, s1, -v17
	v_rndne_f32_e32 v20, v17
	v_fmac_f32_e32 v18, 0x32a5705f, v14
	v_sub_f32_e32 v17, v17, v20
	v_add_f32_e32 v17, v17, v18
	v_exp_f32_e32 v17, v17
	v_cvt_i32_f32_e32 v18, v20
	v_cmp_ngt_f32_e32 vcc, s0, v13
	v_cndmask_b32_e32 v16, 0, v16, vcc
	v_cmp_nlt_f32_e32 vcc, s2, v13
	v_sub_f32_e32 v15, v15, v26
	v_cndmask_b32_e32 v13, v19, v16, vcc
	v_mul_f32_e32 v16, 0x3fb8aa3b, v15
	v_add_f32_e32 v12, v12, v13
	v_ldexp_f32 v13, v17, v18
	v_fma_f32 v17, v15, s1, -v16
	v_rndne_f32_e32 v18, v16
	v_fmac_f32_e32 v17, 0x32a5705f, v15
	v_sub_f32_e32 v16, v16, v18
	v_add_f32_e32 v16, v16, v17
	v_exp_f32_e32 v16, v16
	v_cvt_i32_f32_e32 v17, v18
	v_cmp_ngt_f32_e32 vcc, s0, v14
	v_cndmask_b32_e32 v13, 0, v13, vcc
	v_cmp_nlt_f32_e32 vcc, s2, v14
	v_sub_f32_e32 v8, v8, v26
	v_cndmask_b32_e32 v13, v19, v13, vcc
	v_mul_f32_e32 v14, 0x3fb8aa3b, v8
	v_add_f32_e32 v12, v12, v13
	v_ldexp_f32 v13, v16, v17
	v_fma_f32 v16, v8, s1, -v14
	v_rndne_f32_e32 v17, v14
	v_fmac_f32_e32 v16, 0x32a5705f, v8
	v_sub_f32_e32 v14, v14, v17
	v_add_f32_e32 v14, v14, v16
	v_exp_f32_e32 v14, v14
	v_cvt_i32_f32_e32 v16, v17
	v_cmp_ngt_f32_e32 vcc, s0, v15
	v_cndmask_b32_e32 v13, 0, v13, vcc
	v_cmp_nlt_f32_e32 vcc, s2, v15
	v_cndmask_b32_e32 v13, v19, v13, vcc
	v_sub_f32_e32 v9, v9, v26
	v_add_f32_e32 v12, v12, v13
	v_ldexp_f32 v13, v14, v16
	v_mul_f32_e32 v14, 0x3fb8aa3b, v9
	v_fma_f32 v15, v9, s1, -v14
	v_rndne_f32_e32 v16, v14
	v_fmac_f32_e32 v15, 0x32a5705f, v9
	v_sub_f32_e32 v14, v14, v16
	v_add_f32_e32 v14, v14, v15
	v_exp_f32_e32 v14, v14
	v_cvt_i32_f32_e32 v15, v16
	v_cmp_ngt_f32_e32 vcc, s0, v8
	v_cndmask_b32_e32 v13, 0, v13, vcc
	v_cmp_nlt_f32_e32 vcc, s2, v8
	v_sub_f32_e32 v10, v10, v26
	v_cndmask_b32_e32 v8, v19, v13, vcc
	v_mul_f32_e32 v13, 0x3fb8aa3b, v10
	v_add_f32_e32 v8, v12, v8
	v_ldexp_f32 v12, v14, v15
	v_fma_f32 v14, v10, s1, -v13
	v_rndne_f32_e32 v15, v13
	v_fmac_f32_e32 v14, 0x32a5705f, v10
	v_sub_f32_e32 v13, v13, v15
	v_add_f32_e32 v13, v13, v14
	v_exp_f32_e32 v13, v13
	v_cvt_i32_f32_e32 v14, v15
	v_cmp_ngt_f32_e32 vcc, s0, v9
	v_cndmask_b32_e32 v12, 0, v12, vcc
	v_cmp_nlt_f32_e32 vcc, s2, v9
	v_sub_f32_e32 v11, v11, v26
	v_cndmask_b32_e32 v9, v19, v12, vcc
	v_mul_f32_e32 v12, 0x3fb8aa3b, v11
	v_add_f32_e32 v8, v8, v9
	v_ldexp_f32 v9, v13, v14
	v_fma_f32 v13, v11, s1, -v12
	v_rndne_f32_e32 v14, v12
	v_fmac_f32_e32 v13, 0x32a5705f, v11
	v_sub_f32_e32 v12, v12, v14
	v_add_f32_e32 v12, v12, v13
	v_exp_f32_e32 v12, v12
	v_cvt_i32_f32_e32 v13, v14
	v_cmp_ngt_f32_e32 vcc, s0, v10
	v_cndmask_b32_e32 v9, 0, v9, vcc
	v_cmp_nlt_f32_e32 vcc, s2, v10
	v_sub_f32_e32 v4, v4, v26
	v_cndmask_b32_e32 v9, v19, v9, vcc
	v_mul_f32_e32 v10, 0x3fb8aa3b, v4
	v_add_f32_e32 v8, v8, v9
	v_ldexp_f32 v9, v12, v13
	v_fma_f32 v12, v4, s1, -v10
	v_rndne_f32_e32 v13, v10
	v_fmac_f32_e32 v12, 0x32a5705f, v4
	v_sub_f32_e32 v10, v10, v13
	v_add_f32_e32 v10, v10, v12
	v_exp_f32_e32 v10, v10
	v_cvt_i32_f32_e32 v12, v13
	v_cmp_ngt_f32_e32 vcc, s0, v11
	v_cndmask_b32_e32 v9, 0, v9, vcc
	v_cmp_nlt_f32_e32 vcc, s2, v11
	v_cndmask_b32_e32 v9, v19, v9, vcc
	v_sub_f32_e32 v5, v5, v26
	v_add_f32_e32 v8, v8, v9
	v_ldexp_f32 v9, v10, v12
	v_mul_f32_e32 v10, 0x3fb8aa3b, v5
	v_fma_f32 v11, v5, s1, -v10
	v_rndne_f32_e32 v12, v10
	v_fmac_f32_e32 v11, 0x32a5705f, v5
	v_sub_f32_e32 v10, v10, v12
	v_add_f32_e32 v10, v10, v11
	v_exp_f32_e32 v10, v10
	v_cvt_i32_f32_e32 v11, v12
	v_cmp_ngt_f32_e32 vcc, s0, v4
	v_cndmask_b32_e32 v9, 0, v9, vcc
	v_cmp_nlt_f32_e32 vcc, s2, v4
	v_sub_f32_e32 v6, v6, v26
	v_cndmask_b32_e32 v4, v19, v9, vcc
	v_mul_f32_e32 v9, 0x3fb8aa3b, v6
	v_add_f32_e32 v4, v8, v4
	v_ldexp_f32 v8, v10, v11
	;; [unrolled: 60-line block ×3, first 2 shown]
	v_fma_f32 v6, v2, s1, -v5
	v_rndne_f32_e32 v7, v5
	v_fmac_f32_e32 v6, 0x32a5705f, v2
	v_sub_f32_e32 v5, v5, v7
	v_add_f32_e32 v5, v5, v6
	v_exp_f32_e32 v5, v5
	v_cvt_i32_f32_e32 v6, v7
	v_cmp_ngt_f32_e32 vcc, s0, v1
	v_cndmask_b32_e32 v4, 0, v4, vcc
	v_cmp_nlt_f32_e32 vcc, s2, v1
	v_sub_f32_e32 v3, v3, v26
	v_cndmask_b32_e32 v1, v19, v4, vcc
	v_mul_f32_e32 v4, 0x3fb8aa3b, v3
	v_add_f32_e32 v0, v0, v1
	v_ldexp_f32 v1, v5, v6
	v_fma_f32 v5, v3, s1, -v4
	v_rndne_f32_e32 v6, v4
	v_fmac_f32_e32 v5, 0x32a5705f, v3
	v_sub_f32_e32 v4, v4, v6
	v_add_f32_e32 v4, v4, v5
	v_exp_f32_e32 v4, v4
	v_cvt_i32_f32_e32 v5, v6
	v_cmp_ngt_f32_e32 vcc, s0, v2
	v_cndmask_b32_e32 v1, 0, v1, vcc
	v_cmp_nlt_f32_e32 vcc, s2, v2
	v_cndmask_b32_e32 v1, v19, v1, vcc
	v_add_f32_e32 v0, v0, v1
	v_ldexp_f32 v1, v4, v5
	v_cmp_ngt_f32_e32 vcc, s0, v3
	v_cndmask_b32_e32 v1, 0, v1, vcc
	v_cmp_nlt_f32_e32 vcc, s2, v3
	v_cndmask_b32_e32 v1, v19, v1, vcc
	v_add_f32_e32 v0, v0, v1
	v_cmp_eq_u32_e32 vcc, 0, v23
	s_nop 0
	v_mov_b32_dpp v1, v0 quad_perm:[1,0,3,2] row_mask:0xf bank_mask:0xf
	v_add_f32_e32 v0, v0, v1
	s_nop 1
	v_mov_b32_dpp v1, v0 quad_perm:[2,3,0,1] row_mask:0xf bank_mask:0xf
	v_add_f32_e32 v0, v0, v1
	s_nop 1
	v_mov_b32_dpp v1, v0 row_half_mirror row_mask:0xf bank_mask:0xf
	v_add_f32_e32 v0, v0, v1
	s_nop 1
	v_mov_b32_dpp v1, v0 row_mirror row_mask:0xf bank_mask:0xf
	v_add_f32_e32 v0, v0, v1
	s_nop 1
	v_mov_b32_dpp v1, v0 row_bcast:15 row_mask:0xa bank_mask:0xf
	v_add_f32_e32 v0, v0, v1
	ds_bpermute_b32 v0, v25, v0
	s_and_b64 exec, exec, vcc
	s_cbranch_execz .LBB100_31
; %bb.19:
	s_waitcnt lgkmcnt(0)
	v_add_f32_e32 v0, v24, v0
	v_cmp_neq_f32_e32 vcc, 0, v0
	s_and_b64 exec, exec, vcc
	s_cbranch_execz .LBB100_31
; %bb.20:
	s_andn2_b64 vcc, exec, s[16:17]
	s_cbranch_vccnz .LBB100_31
; %bb.21:
	v_div_scale_f32 v1, s[0:1], v0, v0, 1.0
	v_rcp_f32_e32 v2, v1
	v_div_scale_f32 v3, vcc, 1.0, v0, 1.0
	s_cmp_gt_u32 s8, 3
	v_fma_f32 v4, -v1, v2, 1.0
	v_fmac_f32_e32 v2, v4, v2
	v_mul_f32_e32 v4, v3, v2
	v_fma_f32 v5, -v1, v4, v3
	v_fmac_f32_e32 v4, v5, v2
	v_fma_f32 v1, -v1, v4, v3
	v_div_fmas_f32 v1, v1, v2, v4
	v_mul_lo_u32 v2, v22, s11
	v_div_fixup_f32 v0, v1, v0, 1.0
	v_ashrrev_i32_e32 v3, 31, v2
	s_cbranch_scc0 .LBB100_25
; %bb.22:
	v_lshlrev_b64 v[4:5], 2, v[2:3]
	v_mov_b32_e32 v6, s7
	v_add_co_u32_e32 v4, vcc, s6, v4
	v_addc_co_u32_e32 v5, vcc, v5, v6, vcc
	s_and_b32 s4, s8, 0x7ffffffc
	v_add_co_u32_e32 v4, vcc, 8, v4
	v_mov_b32_e32 v1, v0
	v_addc_co_u32_e32 v5, vcc, 0, v5, vcc
	s_mov_b32 s0, s4
.LBB100_23:                             ; =>This Inner Loop Header: Depth=1
	global_load_dwordx4 v[6:9], v[4:5], off offset:-8
	s_add_i32 s0, s0, -4
	s_cmp_lg_u32 s0, 0
	s_waitcnt vmcnt(0)
	v_pk_mul_f32 v[6:7], v[0:1], v[6:7]
	v_pk_mul_f32 v[8:9], v[0:1], v[8:9]
	global_store_dwordx4 v[4:5], v[6:9], off offset:-8
	v_add_co_u32_e32 v4, vcc, 16, v4
	v_addc_co_u32_e32 v5, vcc, 0, v5, vcc
	s_cbranch_scc1 .LBB100_23
; %bb.24:
	s_cmp_lg_u32 s4, s8
	s_mov_b64 s[2:3], 0
	s_cselect_b64 s[0:1], -1, 0
	s_branch .LBB100_26
.LBB100_25:
	s_mov_b64 s[2:3], -1
	s_mov_b64 s[0:1], 0
                                        ; implicit-def: $sgpr4
.LBB100_26:
	s_and_b64 vcc, exec, s[2:3]
	s_cbranch_vccz .LBB100_28
; %bb.27:
	s_mov_b64 s[0:1], -1
	s_mov_b32 s4, 0
.LBB100_28:
	s_andn2_b64 vcc, exec, s[0:1]
	s_cbranch_vccnz .LBB100_31
; %bb.29:
	v_add_co_u32_e32 v2, vcc, s4, v2
	v_addc_co_u32_e32 v3, vcc, 0, v3, vcc
	v_lshlrev_b64 v[2:3], 2, v[2:3]
	v_mov_b32_e32 v1, s7
	v_add_co_u32_e32 v2, vcc, s6, v2
	s_sub_i32 s0, s8, s4
	v_addc_co_u32_e32 v3, vcc, v1, v3, vcc
.LBB100_30:                             ; =>This Inner Loop Header: Depth=1
	global_load_dword v1, v[2:3], off
	s_add_i32 s0, s0, -1
	s_cmp_lg_u32 s0, 0
	s_waitcnt vmcnt(0)
	v_mul_f32_e32 v1, v0, v1
	global_store_dword v[2:3], v1, off
	v_add_co_u32_e32 v2, vcc, 4, v2
	v_addc_co_u32_e32 v3, vcc, 0, v3, vcc
	s_cbranch_scc1 .LBB100_30
.LBB100_31:
	s_endpgm
	.section	.rodata,"a",@progbits
	.p2align	6, 0x0
	.amdhsa_kernel _ZN4vllm3moe17topkGatingSoftmaxIfLi16ELi512ELi2ELi64ELb0ELi8ELNS0_23SharedExpertScoringFuncE1EEEvPKT_PKbPfiPiS9_iiiiii
		.amdhsa_group_segment_fixed_size 0
		.amdhsa_private_segment_fixed_size 0
		.amdhsa_kernarg_size 72
		.amdhsa_user_sgpr_count 6
		.amdhsa_user_sgpr_private_segment_buffer 1
		.amdhsa_user_sgpr_dispatch_ptr 0
		.amdhsa_user_sgpr_queue_ptr 0
		.amdhsa_user_sgpr_kernarg_segment_ptr 1
		.amdhsa_user_sgpr_dispatch_id 0
		.amdhsa_user_sgpr_flat_scratch_init 0
		.amdhsa_user_sgpr_kernarg_preload_length 0
		.amdhsa_user_sgpr_kernarg_preload_offset 0
		.amdhsa_user_sgpr_private_segment_size 0
		.amdhsa_uses_dynamic_stack 0
		.amdhsa_system_sgpr_private_segment_wavefront_offset 0
		.amdhsa_system_sgpr_workgroup_id_x 1
		.amdhsa_system_sgpr_workgroup_id_y 0
		.amdhsa_system_sgpr_workgroup_id_z 0
		.amdhsa_system_sgpr_workgroup_info 0
		.amdhsa_system_vgpr_workitem_id 1
		.amdhsa_next_free_vgpr 51
		.amdhsa_next_free_sgpr 25
		.amdhsa_accum_offset 52
		.amdhsa_reserve_vcc 1
		.amdhsa_reserve_flat_scratch 0
		.amdhsa_float_round_mode_32 0
		.amdhsa_float_round_mode_16_64 0
		.amdhsa_float_denorm_mode_32 3
		.amdhsa_float_denorm_mode_16_64 3
		.amdhsa_dx10_clamp 1
		.amdhsa_ieee_mode 1
		.amdhsa_fp16_overflow 0
		.amdhsa_tg_split 0
		.amdhsa_exception_fp_ieee_invalid_op 0
		.amdhsa_exception_fp_denorm_src 0
		.amdhsa_exception_fp_ieee_div_zero 0
		.amdhsa_exception_fp_ieee_overflow 0
		.amdhsa_exception_fp_ieee_underflow 0
		.amdhsa_exception_fp_ieee_inexact 0
		.amdhsa_exception_int_div_zero 0
	.end_amdhsa_kernel
	.section	.text._ZN4vllm3moe17topkGatingSoftmaxIfLi16ELi512ELi2ELi64ELb0ELi8ELNS0_23SharedExpertScoringFuncE1EEEvPKT_PKbPfiPiS9_iiiiii,"axG",@progbits,_ZN4vllm3moe17topkGatingSoftmaxIfLi16ELi512ELi2ELi64ELb0ELi8ELNS0_23SharedExpertScoringFuncE1EEEvPKT_PKbPfiPiS9_iiiiii,comdat
.Lfunc_end100:
	.size	_ZN4vllm3moe17topkGatingSoftmaxIfLi16ELi512ELi2ELi64ELb0ELi8ELNS0_23SharedExpertScoringFuncE1EEEvPKT_PKbPfiPiS9_iiiiii, .Lfunc_end100-_ZN4vllm3moe17topkGatingSoftmaxIfLi16ELi512ELi2ELi64ELb0ELi8ELNS0_23SharedExpertScoringFuncE1EEEvPKT_PKbPfiPiS9_iiiiii
                                        ; -- End function
	.section	.AMDGPU.csdata,"",@progbits
; Kernel info:
; codeLenInByte = 4952
; NumSgprs: 29
; NumVgprs: 51
; NumAgprs: 0
; TotalNumVgprs: 51
; ScratchSize: 0
; MemoryBound: 0
; FloatMode: 240
; IeeeMode: 1
; LDSByteSize: 0 bytes/workgroup (compile time only)
; SGPRBlocks: 3
; VGPRBlocks: 6
; NumSGPRsForWavesPerEU: 29
; NumVGPRsForWavesPerEU: 51
; AccumOffset: 52
; Occupancy: 8
; WaveLimiterHint : 0
; COMPUTE_PGM_RSRC2:SCRATCH_EN: 0
; COMPUTE_PGM_RSRC2:USER_SGPR: 6
; COMPUTE_PGM_RSRC2:TRAP_HANDLER: 0
; COMPUTE_PGM_RSRC2:TGID_X_EN: 1
; COMPUTE_PGM_RSRC2:TGID_Y_EN: 0
; COMPUTE_PGM_RSRC2:TGID_Z_EN: 0
; COMPUTE_PGM_RSRC2:TIDIG_COMP_CNT: 1
; COMPUTE_PGM_RSRC3_GFX90A:ACCUM_OFFSET: 12
; COMPUTE_PGM_RSRC3_GFX90A:TG_SPLIT: 0
	.section	.text._ZN4vllm3moe10moeSoftmaxIfLi256EEEvPKT_PKbPfi,"axG",@progbits,_ZN4vllm3moe10moeSoftmaxIfLi256EEEvPKT_PKbPfi,comdat
	.protected	_ZN4vllm3moe10moeSoftmaxIfLi256EEEvPKT_PKbPfi ; -- Begin function _ZN4vllm3moe10moeSoftmaxIfLi256EEEvPKT_PKbPfi
	.globl	_ZN4vllm3moe10moeSoftmaxIfLi256EEEvPKT_PKbPfi
	.p2align	8
	.type	_ZN4vllm3moe10moeSoftmaxIfLi256EEEvPKT_PKbPfi,@function
_ZN4vllm3moe10moeSoftmaxIfLi256EEEvPKT_PKbPfi: ; @_ZN4vllm3moe10moeSoftmaxIfLi256EEEvPKT_PKbPfi
; %bb.0:
	s_load_dwordx4 s[8:11], s[4:5], 0x0
	s_waitcnt lgkmcnt(0)
	s_cmp_eq_u64 s[10:11], 0
	s_cselect_b64 s[0:1], -1, 0
	s_and_b64 vcc, exec, s[0:1]
	s_cbranch_vccnz .LBB101_2
; %bb.1:
	v_mov_b32_e32 v1, s6
	global_load_ubyte v1, v1, s[10:11]
	s_waitcnt vmcnt(0)
	v_and_b32_e32 v1, 1, v1
	v_cmp_eq_u32_e32 vcc, 1, v1
	s_xor_b64 s[0:1], vcc, -1
.LBB101_2:
	s_andn2_b64 vcc, exec, s[0:1]
	s_cbranch_vccnz .LBB101_26
; %bb.3:
	s_load_dword s16, s[4:5], 0x18
	s_load_dwordx2 s[10:11], s[4:5], 0x10
	v_mov_b32_e32 v6, 0xff7fffff
	s_waitcnt lgkmcnt(0)
	s_mul_i32 s6, s6, s16
	v_add_u32_e32 v2, s6, v0
	v_cmp_gt_i32_e64 s[0:1], s16, v0
	v_ashrrev_i32_e32 v3, 31, v2
	s_and_saveexec_b64 s[2:3], s[0:1]
	s_cbranch_execz .LBB101_7
; %bb.4:
	v_lshlrev_b64 v[4:5], 2, v[2:3]
	v_mov_b32_e32 v1, s9
	v_add_co_u32_e32 v4, vcc, s8, v4
	v_addc_co_u32_e32 v5, vcc, v1, v5, vcc
	s_mov_b64 s[4:5], 0
	v_mov_b32_e32 v6, 0xff7fffff
	v_mov_b32_e32 v1, v0
.LBB101_5:                              ; =>This Inner Loop Header: Depth=1
	global_load_dword v7, v[4:5], off
	v_add_co_u32_e32 v4, vcc, 0x400, v4
	v_add_u32_e32 v1, 0x100, v1
	v_addc_co_u32_e32 v5, vcc, 0, v5, vcc
	v_max_f32_e32 v6, v6, v6
	v_cmp_le_i32_e32 vcc, s16, v1
	s_or_b64 s[4:5], vcc, s[4:5]
	s_waitcnt vmcnt(0)
	v_max_f32_e32 v7, v7, v7
	v_max_f32_e32 v6, v7, v6
	s_andn2_b64 exec, exec, s[4:5]
	s_cbranch_execnz .LBB101_5
; %bb.6:
	s_or_b64 exec, exec, s[4:5]
.LBB101_7:
	s_or_b64 exec, exec, s[2:3]
	v_mov_b32_dpp v4, v6 quad_perm:[1,0,3,2] row_mask:0xf bank_mask:0xf
	v_cmp_gt_f32_e32 vcc, v6, v4
	v_cndmask_b32_e32 v4, v4, v6, vcc
	v_mbcnt_lo_u32_b32 v1, -1, 0
	v_mbcnt_hi_u32_b32 v1, -1, v1
	v_mov_b32_dpp v5, v4 quad_perm:[2,3,0,1] row_mask:0xf bank_mask:0xf
	v_cmp_gt_f32_e32 vcc, v4, v5
	v_cndmask_b32_e32 v4, v5, v4, vcc
	v_cmp_eq_u32_e64 s[2:3], 0, v1
	v_lshrrev_b32_e32 v7, 4, v0
	v_mov_b32_dpp v5, v4 row_ror:4 row_mask:0xf bank_mask:0xf
	v_cmp_gt_f32_e32 vcc, v4, v5
	v_cndmask_b32_e32 v4, v5, v4, vcc
	s_nop 1
	v_mov_b32_dpp v5, v4 row_ror:8 row_mask:0xf bank_mask:0xf
	v_cmp_gt_f32_e32 vcc, v4, v5
	v_cndmask_b32_e32 v4, v5, v4, vcc
	s_nop 1
	v_mov_b32_dpp v5, v4 row_bcast:15 row_mask:0xf bank_mask:0xf
	v_cmp_gt_f32_e32 vcc, v4, v5
	v_cndmask_b32_e32 v4, v5, v4, vcc
	s_nop 1
	v_mov_b32_dpp v5, v4 row_bcast:31 row_mask:0xf bank_mask:0xf
	v_cmp_gt_f32_e32 vcc, v4, v5
	v_cndmask_b32_e32 v4, v5, v4, vcc
	v_bfrev_b32_e32 v5, 0.5
	v_lshl_or_b32 v8, v1, 2, v5
	ds_bpermute_b32 v4, v8, v4
	s_and_saveexec_b64 s[4:5], s[2:3]
	s_cbranch_execz .LBB101_9
; %bb.8:
	v_and_b32_e32 v5, 12, v7
	s_waitcnt lgkmcnt(0)
	ds_write_b32 v5, v4
.LBB101_9:
	s_or_b64 exec, exec, s[4:5]
	v_cmp_gt_u32_e64 s[4:5], 64, v0
	v_and_b32_e32 v6, 3, v1
	s_waitcnt lgkmcnt(0)
	s_barrier
	s_and_saveexec_b64 s[6:7], s[4:5]
	s_cbranch_execz .LBB101_11
; %bb.10:
	v_lshlrev_b32_e32 v4, 2, v6
	ds_read_b32 v4, v4
	v_cmp_ne_u32_e32 vcc, 3, v6
	v_addc_co_u32_e32 v5, vcc, 0, v1, vcc
	v_lshlrev_b32_e32 v5, 2, v5
	s_waitcnt lgkmcnt(0)
	ds_bpermute_b32 v5, v5, v4
	v_cmp_gt_u32_e32 vcc, 2, v6
	v_cndmask_b32_e64 v9, 0, 1, vcc
	v_lshlrev_b32_e32 v9, 1, v9
	s_waitcnt lgkmcnt(0)
	v_cmp_lt_f32_e32 vcc, v4, v5
	v_cndmask_b32_e32 v4, v4, v5, vcc
	v_add_lshl_u32 v5, v9, v1, 2
	ds_bpermute_b32 v5, v5, v4
	s_waitcnt lgkmcnt(0)
	v_cmp_lt_f32_e32 vcc, v4, v5
	v_cndmask_b32_e32 v4, v4, v5, vcc
.LBB101_11:
	s_or_b64 exec, exec, s[6:7]
	v_cmp_eq_u32_e64 s[6:7], 0, v0
	s_and_saveexec_b64 s[12:13], s[6:7]
	s_cbranch_execz .LBB101_13
; %bb.12:
	v_mov_b32_e32 v5, 0
	ds_write_b32 v5, v4 offset:20
.LBB101_13:
	s_or_b64 exec, exec, s[12:13]
	v_mov_b32_e32 v9, 0
	s_waitcnt lgkmcnt(0)
	s_barrier
	s_and_saveexec_b64 s[12:13], s[0:1]
	s_cbranch_execz .LBB101_17
; %bb.14:
	v_mov_b32_e32 v9, 0
	ds_read_b32 v10, v9 offset:20
	v_lshlrev_b64 v[4:5], 2, v[2:3]
	v_mov_b32_e32 v11, s9
	v_add_co_u32_e32 v4, vcc, s8, v4
	v_addc_co_u32_e32 v5, vcc, v11, v5, vcc
	s_mov_b64 s[14:15], 0
	s_mov_b32 s17, 0x3fb8aa3b
	s_mov_b32 s18, 0xc2ce8ed0
	;; [unrolled: 1-line block ×3, first 2 shown]
	v_mov_b32_e32 v11, 0x7f800000
	v_mov_b32_e32 v12, v0
.LBB101_15:                             ; =>This Inner Loop Header: Depth=1
	global_load_dword v13, v[4:5], off
	v_add_co_u32_e32 v4, vcc, 0x400, v4
	v_add_u32_e32 v12, 0x100, v12
	v_addc_co_u32_e32 v5, vcc, 0, v5, vcc
	v_cmp_le_i32_e32 vcc, s16, v12
	s_or_b64 s[14:15], vcc, s[14:15]
	s_waitcnt vmcnt(0) lgkmcnt(0)
	v_sub_f32_e32 v13, v13, v10
	v_mul_f32_e32 v14, 0x3fb8aa3b, v13
	v_fma_f32 v15, v13, s17, -v14
	v_rndne_f32_e32 v16, v14
	v_fmac_f32_e32 v15, 0x32a5705f, v13
	v_sub_f32_e32 v14, v14, v16
	v_add_f32_e32 v14, v14, v15
	v_cvt_i32_f32_e32 v16, v16
	v_exp_f32_e32 v14, v14
	v_cmp_ngt_f32_e32 vcc, s18, v13
	v_ldexp_f32 v14, v14, v16
	v_cndmask_b32_e32 v14, 0, v14, vcc
	v_cmp_nlt_f32_e32 vcc, s19, v13
	v_cndmask_b32_e32 v13, v11, v14, vcc
	v_add_f32_e32 v9, v9, v13
	s_andn2_b64 exec, exec, s[14:15]
	s_cbranch_execnz .LBB101_15
; %bb.16:
	s_or_b64 exec, exec, s[14:15]
.LBB101_17:
	s_or_b64 exec, exec, s[12:13]
	v_mov_b32_dpp v4, v9 quad_perm:[1,0,3,2] row_mask:0xf bank_mask:0xf
	v_add_f32_e32 v4, v9, v4
	s_nop 1
	v_mov_b32_dpp v5, v4 quad_perm:[2,3,0,1] row_mask:0xf bank_mask:0xf
	v_add_f32_e32 v4, v4, v5
	s_nop 1
	v_mov_b32_dpp v5, v4 row_ror:4 row_mask:0xf bank_mask:0xf
	v_add_f32_e32 v4, v4, v5
	s_nop 1
	v_mov_b32_dpp v5, v4 row_ror:8 row_mask:0xf bank_mask:0xf
	v_add_f32_e32 v4, v4, v5
	s_nop 1
	v_mov_b32_dpp v5, v4 row_bcast:15 row_mask:0xf bank_mask:0xf
	v_add_f32_e32 v4, v4, v5
	s_nop 1
	v_mov_b32_dpp v5, v4 row_bcast:31 row_mask:0xf bank_mask:0xf
	v_add_f32_e32 v4, v4, v5
	ds_bpermute_b32 v4, v8, v4
	s_and_saveexec_b64 s[12:13], s[2:3]
	s_cbranch_execz .LBB101_19
; %bb.18:
	v_and_b32_e32 v5, 12, v7
	s_waitcnt lgkmcnt(0)
	ds_write_b32 v5, v4
.LBB101_19:
	s_or_b64 exec, exec, s[12:13]
	s_waitcnt lgkmcnt(0)
	s_barrier
	s_and_saveexec_b64 s[2:3], s[4:5]
	s_cbranch_execz .LBB101_21
; %bb.20:
	v_lshlrev_b32_e32 v4, 2, v6
	ds_read_b32 v4, v4
	v_cmp_ne_u32_e32 vcc, 3, v6
	v_addc_co_u32_e32 v5, vcc, 0, v1, vcc
	v_lshlrev_b32_e32 v5, 2, v5
	s_waitcnt lgkmcnt(0)
	ds_bpermute_b32 v5, v5, v4
	v_cmp_gt_u32_e32 vcc, 2, v6
	v_cndmask_b32_e64 v6, 0, 1, vcc
	v_lshlrev_b32_e32 v6, 1, v6
	v_add_lshl_u32 v1, v6, v1, 2
	s_waitcnt lgkmcnt(0)
	v_add_f32_e32 v4, v4, v5
	ds_bpermute_b32 v1, v1, v4
	s_waitcnt lgkmcnt(0)
	v_add_f32_e32 v4, v4, v1
.LBB101_21:
	s_or_b64 exec, exec, s[2:3]
	s_and_saveexec_b64 s[2:3], s[6:7]
	s_cbranch_execz .LBB101_23
; %bb.22:
	v_div_scale_f32 v1, s[4:5], v4, v4, 1.0
	v_rcp_f32_e32 v5, v1
	v_div_scale_f32 v6, vcc, 1.0, v4, 1.0
	v_fma_f32 v7, -v1, v5, 1.0
	v_fmac_f32_e32 v5, v7, v5
	v_mul_f32_e32 v7, v6, v5
	v_fma_f32 v8, -v1, v7, v6
	v_fmac_f32_e32 v7, v8, v5
	v_fma_f32 v1, -v1, v7, v6
	v_div_fmas_f32 v1, v1, v5, v7
	v_div_fixup_f32 v1, v1, v4, 1.0
	v_mov_b32_e32 v4, 0
	ds_write_b32 v4, v1 offset:16
.LBB101_23:
	s_or_b64 exec, exec, s[2:3]
	s_waitcnt lgkmcnt(0)
	s_barrier
	s_and_saveexec_b64 s[2:3], s[0:1]
	s_cbranch_execz .LBB101_26
; %bb.24:
	v_mov_b32_e32 v1, 0
	ds_read_b64 v[4:5], v1 offset:16
	v_lshlrev_b64 v[6:7], 2, v[2:3]
	v_mov_b32_e32 v1, s9
	v_add_co_u32_e32 v2, vcc, s8, v6
	v_addc_co_u32_e32 v3, vcc, v1, v7, vcc
	v_mov_b32_e32 v1, s11
	v_add_co_u32_e32 v6, vcc, s10, v6
	v_addc_co_u32_e32 v7, vcc, v1, v7, vcc
	s_mov_b64 s[0:1], 0
	s_mov_b32 s2, 0x3fb8aa3b
	s_mov_b32 s3, 0xc2ce8ed0
	;; [unrolled: 1-line block ×3, first 2 shown]
	v_mov_b32_e32 v1, 0x7f800000
.LBB101_25:                             ; =>This Inner Loop Header: Depth=1
	global_load_dword v8, v[2:3], off
	v_add_co_u32_e32 v2, vcc, 0x400, v2
	v_add_u32_e32 v0, 0x100, v0
	v_addc_co_u32_e32 v3, vcc, 0, v3, vcc
	v_cmp_le_i32_e32 vcc, s16, v0
	s_or_b64 s[0:1], vcc, s[0:1]
	s_waitcnt vmcnt(0) lgkmcnt(0)
	v_sub_f32_e32 v8, v8, v5
	v_mul_f32_e32 v9, 0x3fb8aa3b, v8
	v_fma_f32 v10, v8, s2, -v9
	v_rndne_f32_e32 v11, v9
	v_fmac_f32_e32 v10, 0x32a5705f, v8
	v_sub_f32_e32 v9, v9, v11
	v_add_f32_e32 v9, v9, v10
	v_cvt_i32_f32_e32 v11, v11
	v_exp_f32_e32 v9, v9
	v_cmp_ngt_f32_e32 vcc, s3, v8
	v_ldexp_f32 v9, v9, v11
	v_cndmask_b32_e32 v9, 0, v9, vcc
	v_cmp_nlt_f32_e32 vcc, s4, v8
	v_cndmask_b32_e32 v8, v1, v9, vcc
	v_mul_f32_e32 v8, v4, v8
	global_store_dword v[6:7], v8, off
	v_add_co_u32_e32 v6, vcc, 0x400, v6
	v_addc_co_u32_e32 v7, vcc, 0, v7, vcc
	s_andn2_b64 exec, exec, s[0:1]
	s_cbranch_execnz .LBB101_25
.LBB101_26:
	s_endpgm
	.section	.rodata,"a",@progbits
	.p2align	6, 0x0
	.amdhsa_kernel _ZN4vllm3moe10moeSoftmaxIfLi256EEEvPKT_PKbPfi
		.amdhsa_group_segment_fixed_size 24
		.amdhsa_private_segment_fixed_size 0
		.amdhsa_kernarg_size 28
		.amdhsa_user_sgpr_count 6
		.amdhsa_user_sgpr_private_segment_buffer 1
		.amdhsa_user_sgpr_dispatch_ptr 0
		.amdhsa_user_sgpr_queue_ptr 0
		.amdhsa_user_sgpr_kernarg_segment_ptr 1
		.amdhsa_user_sgpr_dispatch_id 0
		.amdhsa_user_sgpr_flat_scratch_init 0
		.amdhsa_user_sgpr_kernarg_preload_length 0
		.amdhsa_user_sgpr_kernarg_preload_offset 0
		.amdhsa_user_sgpr_private_segment_size 0
		.amdhsa_uses_dynamic_stack 0
		.amdhsa_system_sgpr_private_segment_wavefront_offset 0
		.amdhsa_system_sgpr_workgroup_id_x 1
		.amdhsa_system_sgpr_workgroup_id_y 0
		.amdhsa_system_sgpr_workgroup_id_z 0
		.amdhsa_system_sgpr_workgroup_info 0
		.amdhsa_system_vgpr_workitem_id 0
		.amdhsa_next_free_vgpr 17
		.amdhsa_next_free_sgpr 20
		.amdhsa_accum_offset 20
		.amdhsa_reserve_vcc 1
		.amdhsa_reserve_flat_scratch 0
		.amdhsa_float_round_mode_32 0
		.amdhsa_float_round_mode_16_64 0
		.amdhsa_float_denorm_mode_32 3
		.amdhsa_float_denorm_mode_16_64 3
		.amdhsa_dx10_clamp 1
		.amdhsa_ieee_mode 1
		.amdhsa_fp16_overflow 0
		.amdhsa_tg_split 0
		.amdhsa_exception_fp_ieee_invalid_op 0
		.amdhsa_exception_fp_denorm_src 0
		.amdhsa_exception_fp_ieee_div_zero 0
		.amdhsa_exception_fp_ieee_overflow 0
		.amdhsa_exception_fp_ieee_underflow 0
		.amdhsa_exception_fp_ieee_inexact 0
		.amdhsa_exception_int_div_zero 0
	.end_amdhsa_kernel
	.section	.text._ZN4vllm3moe10moeSoftmaxIfLi256EEEvPKT_PKbPfi,"axG",@progbits,_ZN4vllm3moe10moeSoftmaxIfLi256EEEvPKT_PKbPfi,comdat
.Lfunc_end101:
	.size	_ZN4vllm3moe10moeSoftmaxIfLi256EEEvPKT_PKbPfi, .Lfunc_end101-_ZN4vllm3moe10moeSoftmaxIfLi256EEEvPKT_PKbPfi
                                        ; -- End function
	.section	.AMDGPU.csdata,"",@progbits
; Kernel info:
; codeLenInByte = 1360
; NumSgprs: 24
; NumVgprs: 17
; NumAgprs: 0
; TotalNumVgprs: 17
; ScratchSize: 0
; MemoryBound: 0
; FloatMode: 240
; IeeeMode: 1
; LDSByteSize: 24 bytes/workgroup (compile time only)
; SGPRBlocks: 2
; VGPRBlocks: 2
; NumSGPRsForWavesPerEU: 24
; NumVGPRsForWavesPerEU: 17
; AccumOffset: 20
; Occupancy: 8
; WaveLimiterHint : 0
; COMPUTE_PGM_RSRC2:SCRATCH_EN: 0
; COMPUTE_PGM_RSRC2:USER_SGPR: 6
; COMPUTE_PGM_RSRC2:TRAP_HANDLER: 0
; COMPUTE_PGM_RSRC2:TGID_X_EN: 1
; COMPUTE_PGM_RSRC2:TGID_Y_EN: 0
; COMPUTE_PGM_RSRC2:TGID_Z_EN: 0
; COMPUTE_PGM_RSRC2:TIDIG_COMP_CNT: 0
; COMPUTE_PGM_RSRC3_GFX90A:ACCUM_OFFSET: 4
; COMPUTE_PGM_RSRC3_GFX90A:TG_SPLIT: 0
	.text
	.p2align	2                               ; -- Begin function __ockl_fprintf_append_string_n
	.type	__ockl_fprintf_append_string_n,@function
__ockl_fprintf_append_string_n:         ; @__ockl_fprintf_append_string_n
; %bb.0:
	s_waitcnt vmcnt(0) expcnt(0) lgkmcnt(0)
	v_mov_b32_e32 v9, v3
	v_mov_b32_e32 v8, v2
	v_or_b32_e32 v2, 2, v0
	v_cmp_eq_u32_e32 vcc, 0, v6
	s_mov_b32 s22, 0
	v_cndmask_b32_e32 v0, v2, v0, vcc
	s_mov_b64 s[6:7], 0
	v_cmp_ne_u64_e32 vcc, 0, v[8:9]
	v_mbcnt_lo_u32_b32 v2, -1, 0
	s_and_saveexec_b64 s[4:5], vcc
	s_xor_b64 s[10:11], exec, s[4:5]
	s_cbranch_execz .LBB102_86
; %bb.1:
	s_load_dwordx2 s[12:13], s[8:9], 0x50
	v_and_b32_e32 v6, 2, v0
	v_mov_b32_e32 v31, 0
	v_and_b32_e32 v0, -3, v0
	v_mbcnt_hi_u32_b32 v32, -1, v2
	s_movk_i32 s23, 0xff1f
	v_mov_b32_e32 v12, 2
	v_mov_b32_e32 v13, 1
	s_branch .LBB102_3
.LBB102_2:                              ;   in Loop: Header=BB102_3 Depth=1
	s_or_b64 exec, exec, s[16:17]
	v_sub_co_u32_e32 v4, vcc, v4, v34
	v_subb_co_u32_e32 v5, vcc, v5, v35, vcc
	v_cmp_eq_u64_e32 vcc, 0, v[4:5]
	s_or_b64 s[6:7], vcc, s[6:7]
	v_add_co_u32_e32 v8, vcc, v8, v34
	v_addc_co_u32_e32 v9, vcc, v9, v35, vcc
	s_andn2_b64 exec, exec, s[6:7]
	s_cbranch_execz .LBB102_85
.LBB102_3:                              ; =>This Loop Header: Depth=1
                                        ;     Child Loop BB102_6 Depth 2
                                        ;     Child Loop BB102_14 Depth 2
	;; [unrolled: 1-line block ×11, first 2 shown]
	v_cmp_gt_u64_e32 vcc, 56, v[4:5]
	v_cndmask_b32_e32 v35, 0, v5, vcc
	v_cndmask_b32_e32 v34, 56, v4, vcc
	v_cmp_gt_u64_e32 vcc, 8, v[4:5]
                                        ; implicit-def: $vgpr2_vgpr3
                                        ; implicit-def: $sgpr14
	s_and_saveexec_b64 s[4:5], vcc
	s_xor_b64 s[4:5], exec, s[4:5]
	s_cbranch_execz .LBB102_9
; %bb.4:                                ;   in Loop: Header=BB102_3 Depth=1
	s_mov_b64 s[16:17], 0
	v_cmp_ne_u64_e32 vcc, 0, v[4:5]
	s_waitcnt vmcnt(0)
	v_pk_mov_b32 v[2:3], 0, 0
	s_and_saveexec_b64 s[14:15], vcc
	s_cbranch_execz .LBB102_8
; %bb.5:                                ;   in Loop: Header=BB102_3 Depth=1
	v_lshlrev_b64 v[10:11], 3, v[34:35]
	v_pk_mov_b32 v[2:3], 0, 0
	v_pk_mov_b32 v[14:15], v[8:9], v[8:9] op_sel:[0,1]
	s_mov_b64 s[18:19], 0
.LBB102_6:                              ;   Parent Loop BB102_3 Depth=1
                                        ; =>  This Inner Loop Header: Depth=2
	flat_load_ubyte v7, v[14:15]
	v_mov_b32_e32 v17, s22
	v_add_co_u32_e32 v14, vcc, 1, v14
	v_addc_co_u32_e32 v15, vcc, 0, v15, vcc
	s_waitcnt vmcnt(0) lgkmcnt(0)
	v_and_b32_e32 v16, 0xffff, v7
	v_lshlrev_b64 v[16:17], s18, v[16:17]
	s_add_u32 s18, s18, 8
	s_addc_u32 s19, s19, 0
	v_cmp_eq_u32_e32 vcc, s18, v10
	v_or_b32_e32 v3, v17, v3
	s_or_b64 s[16:17], vcc, s[16:17]
	v_or_b32_e32 v2, v16, v2
	s_andn2_b64 exec, exec, s[16:17]
	s_cbranch_execnz .LBB102_6
; %bb.7:                                ;   in Loop: Header=BB102_3 Depth=1
	s_or_b64 exec, exec, s[16:17]
.LBB102_8:                              ;   in Loop: Header=BB102_3 Depth=1
	s_or_b64 exec, exec, s[14:15]
	s_mov_b32 s14, 0
.LBB102_9:                              ;   in Loop: Header=BB102_3 Depth=1
	s_or_saveexec_b64 s[4:5], s[4:5]
	v_mov_b32_e32 v7, s14
	v_pk_mov_b32 v[10:11], v[8:9], v[8:9] op_sel:[0,1]
	s_xor_b64 exec, exec, s[4:5]
	s_cbranch_execz .LBB102_11
; %bb.10:                               ;   in Loop: Header=BB102_3 Depth=1
	s_waitcnt vmcnt(0)
	flat_load_dwordx2 v[2:3], v[8:9]
	v_add_u32_e32 v7, -8, v34
	s_waitcnt vmcnt(0) lgkmcnt(0)
	v_and_b32_e32 v10, 0xff, v3
	v_and_b32_e32 v11, 0xff00, v3
	;; [unrolled: 1-line block ×4, first 2 shown]
	v_or_b32_e32 v10, v10, v11
	v_or3_b32 v3, v10, v14, v3
	v_add_co_u32_e32 v10, vcc, 8, v8
	v_or3_b32 v2, v2, 0, 0
	v_addc_co_u32_e32 v11, vcc, 0, v9, vcc
.LBB102_11:                             ;   in Loop: Header=BB102_3 Depth=1
	s_or_b64 exec, exec, s[4:5]
	v_cmp_gt_u32_e32 vcc, 8, v7
                                        ; implicit-def: $vgpr14_vgpr15
                                        ; implicit-def: $sgpr14
	s_and_saveexec_b64 s[4:5], vcc
	s_xor_b64 s[4:5], exec, s[4:5]
	s_cbranch_execz .LBB102_17
; %bb.12:                               ;   in Loop: Header=BB102_3 Depth=1
	v_cmp_ne_u32_e32 vcc, 0, v7
	v_pk_mov_b32 v[14:15], 0, 0
	s_and_saveexec_b64 s[14:15], vcc
	s_cbranch_execz .LBB102_16
; %bb.13:                               ;   in Loop: Header=BB102_3 Depth=1
	s_mov_b64 s[16:17], 0
	v_pk_mov_b32 v[14:15], 0, 0
	s_mov_b64 s[18:19], 0
	s_mov_b64 s[20:21], 0
.LBB102_14:                             ;   Parent Loop BB102_3 Depth=1
                                        ; =>  This Inner Loop Header: Depth=2
	v_mov_b32_e32 v17, s21
	v_add_co_u32_e32 v16, vcc, s20, v10
	v_addc_co_u32_e32 v17, vcc, v11, v17, vcc
	flat_load_ubyte v16, v[16:17]
	s_add_u32 s20, s20, 1
	v_mov_b32_e32 v17, s22
	s_addc_u32 s21, s21, 0
	v_cmp_eq_u32_e32 vcc, s20, v7
	s_waitcnt vmcnt(0) lgkmcnt(0)
	v_and_b32_e32 v16, 0xffff, v16
	v_lshlrev_b64 v[16:17], s18, v[16:17]
	s_add_u32 s18, s18, 8
	s_addc_u32 s19, s19, 0
	v_or_b32_e32 v15, v17, v15
	s_or_b64 s[16:17], vcc, s[16:17]
	v_or_b32_e32 v14, v16, v14
	s_andn2_b64 exec, exec, s[16:17]
	s_cbranch_execnz .LBB102_14
; %bb.15:                               ;   in Loop: Header=BB102_3 Depth=1
	s_or_b64 exec, exec, s[16:17]
.LBB102_16:                             ;   in Loop: Header=BB102_3 Depth=1
	s_or_b64 exec, exec, s[14:15]
	s_mov_b32 s14, 0
                                        ; implicit-def: $vgpr7
.LBB102_17:                             ;   in Loop: Header=BB102_3 Depth=1
	s_or_saveexec_b64 s[4:5], s[4:5]
	v_mov_b32_e32 v18, s14
	s_xor_b64 exec, exec, s[4:5]
	s_cbranch_execz .LBB102_19
; %bb.18:                               ;   in Loop: Header=BB102_3 Depth=1
	flat_load_dwordx2 v[14:15], v[10:11]
	v_add_u32_e32 v18, -8, v7
	v_add_co_u32_e32 v10, vcc, 8, v10
	v_addc_co_u32_e32 v11, vcc, 0, v11, vcc
	s_waitcnt vmcnt(0) lgkmcnt(0)
	v_and_b32_e32 v7, 0xff, v15
	v_and_b32_e32 v16, 0xff00, v15
	;; [unrolled: 1-line block ×4, first 2 shown]
	v_or_b32_e32 v7, v7, v16
	v_or3_b32 v14, v14, 0, 0
	v_or3_b32 v15, v7, v17, v15
.LBB102_19:                             ;   in Loop: Header=BB102_3 Depth=1
	s_or_b64 exec, exec, s[4:5]
	v_cmp_gt_u32_e32 vcc, 8, v18
                                        ; implicit-def: $sgpr14
	s_and_saveexec_b64 s[4:5], vcc
	s_xor_b64 s[4:5], exec, s[4:5]
	s_cbranch_execz .LBB102_25
; %bb.20:                               ;   in Loop: Header=BB102_3 Depth=1
	v_cmp_ne_u32_e32 vcc, 0, v18
	v_pk_mov_b32 v[16:17], 0, 0
	s_and_saveexec_b64 s[14:15], vcc
	s_cbranch_execz .LBB102_24
; %bb.21:                               ;   in Loop: Header=BB102_3 Depth=1
	s_mov_b64 s[16:17], 0
	v_pk_mov_b32 v[16:17], 0, 0
	s_mov_b64 s[18:19], 0
	s_mov_b64 s[20:21], 0
.LBB102_22:                             ;   Parent Loop BB102_3 Depth=1
                                        ; =>  This Inner Loop Header: Depth=2
	v_mov_b32_e32 v7, s21
	v_add_co_u32_e32 v20, vcc, s20, v10
	v_addc_co_u32_e32 v21, vcc, v11, v7, vcc
	flat_load_ubyte v7, v[20:21]
	s_add_u32 s20, s20, 1
	v_mov_b32_e32 v21, s22
	s_addc_u32 s21, s21, 0
	v_cmp_eq_u32_e32 vcc, s20, v18
	s_waitcnt vmcnt(0) lgkmcnt(0)
	v_and_b32_e32 v20, 0xffff, v7
	v_lshlrev_b64 v[20:21], s18, v[20:21]
	s_add_u32 s18, s18, 8
	s_addc_u32 s19, s19, 0
	v_or_b32_e32 v17, v21, v17
	s_or_b64 s[16:17], vcc, s[16:17]
	v_or_b32_e32 v16, v20, v16
	s_andn2_b64 exec, exec, s[16:17]
	s_cbranch_execnz .LBB102_22
; %bb.23:                               ;   in Loop: Header=BB102_3 Depth=1
	s_or_b64 exec, exec, s[16:17]
.LBB102_24:                             ;   in Loop: Header=BB102_3 Depth=1
	s_or_b64 exec, exec, s[14:15]
	s_mov_b32 s14, 0
                                        ; implicit-def: $vgpr18
.LBB102_25:                             ;   in Loop: Header=BB102_3 Depth=1
	s_or_saveexec_b64 s[4:5], s[4:5]
	v_mov_b32_e32 v7, s14
	s_xor_b64 exec, exec, s[4:5]
	s_cbranch_execz .LBB102_27
; %bb.26:                               ;   in Loop: Header=BB102_3 Depth=1
	flat_load_dwordx2 v[16:17], v[10:11]
	v_add_u32_e32 v7, -8, v18
	v_add_co_u32_e32 v10, vcc, 8, v10
	v_addc_co_u32_e32 v11, vcc, 0, v11, vcc
	s_waitcnt vmcnt(0) lgkmcnt(0)
	v_and_b32_e32 v18, 0xff, v17
	v_and_b32_e32 v19, 0xff00, v17
	;; [unrolled: 1-line block ×4, first 2 shown]
	v_or_b32_e32 v18, v18, v19
	v_or3_b32 v16, v16, 0, 0
	v_or3_b32 v17, v18, v20, v17
.LBB102_27:                             ;   in Loop: Header=BB102_3 Depth=1
	s_or_b64 exec, exec, s[4:5]
	v_cmp_gt_u32_e32 vcc, 8, v7
                                        ; implicit-def: $vgpr18_vgpr19
                                        ; implicit-def: $sgpr14
	s_and_saveexec_b64 s[4:5], vcc
	s_xor_b64 s[4:5], exec, s[4:5]
	s_cbranch_execz .LBB102_33
; %bb.28:                               ;   in Loop: Header=BB102_3 Depth=1
	v_cmp_ne_u32_e32 vcc, 0, v7
	v_pk_mov_b32 v[18:19], 0, 0
	s_and_saveexec_b64 s[14:15], vcc
	s_cbranch_execz .LBB102_32
; %bb.29:                               ;   in Loop: Header=BB102_3 Depth=1
	s_mov_b64 s[16:17], 0
	v_pk_mov_b32 v[18:19], 0, 0
	s_mov_b64 s[18:19], 0
	s_mov_b64 s[20:21], 0
.LBB102_30:                             ;   Parent Loop BB102_3 Depth=1
                                        ; =>  This Inner Loop Header: Depth=2
	v_mov_b32_e32 v21, s21
	v_add_co_u32_e32 v20, vcc, s20, v10
	v_addc_co_u32_e32 v21, vcc, v11, v21, vcc
	flat_load_ubyte v20, v[20:21]
	s_add_u32 s20, s20, 1
	v_mov_b32_e32 v21, s22
	s_addc_u32 s21, s21, 0
	v_cmp_eq_u32_e32 vcc, s20, v7
	s_waitcnt vmcnt(0) lgkmcnt(0)
	v_and_b32_e32 v20, 0xffff, v20
	v_lshlrev_b64 v[20:21], s18, v[20:21]
	s_add_u32 s18, s18, 8
	s_addc_u32 s19, s19, 0
	v_or_b32_e32 v19, v21, v19
	s_or_b64 s[16:17], vcc, s[16:17]
	v_or_b32_e32 v18, v20, v18
	s_andn2_b64 exec, exec, s[16:17]
	s_cbranch_execnz .LBB102_30
; %bb.31:                               ;   in Loop: Header=BB102_3 Depth=1
	s_or_b64 exec, exec, s[16:17]
.LBB102_32:                             ;   in Loop: Header=BB102_3 Depth=1
	s_or_b64 exec, exec, s[14:15]
	s_mov_b32 s14, 0
                                        ; implicit-def: $vgpr7
.LBB102_33:                             ;   in Loop: Header=BB102_3 Depth=1
	s_or_saveexec_b64 s[4:5], s[4:5]
	v_mov_b32_e32 v22, s14
	s_xor_b64 exec, exec, s[4:5]
	s_cbranch_execz .LBB102_35
; %bb.34:                               ;   in Loop: Header=BB102_3 Depth=1
	flat_load_dwordx2 v[18:19], v[10:11]
	v_add_u32_e32 v22, -8, v7
	v_add_co_u32_e32 v10, vcc, 8, v10
	v_addc_co_u32_e32 v11, vcc, 0, v11, vcc
	s_waitcnt vmcnt(0) lgkmcnt(0)
	v_and_b32_e32 v7, 0xff, v19
	v_and_b32_e32 v20, 0xff00, v19
	;; [unrolled: 1-line block ×4, first 2 shown]
	v_or_b32_e32 v7, v7, v20
	v_or3_b32 v18, v18, 0, 0
	v_or3_b32 v19, v7, v21, v19
.LBB102_35:                             ;   in Loop: Header=BB102_3 Depth=1
	s_or_b64 exec, exec, s[4:5]
	v_cmp_gt_u32_e32 vcc, 8, v22
                                        ; implicit-def: $sgpr14
	s_and_saveexec_b64 s[4:5], vcc
	s_xor_b64 s[4:5], exec, s[4:5]
	s_cbranch_execz .LBB102_41
; %bb.36:                               ;   in Loop: Header=BB102_3 Depth=1
	v_cmp_ne_u32_e32 vcc, 0, v22
	v_pk_mov_b32 v[20:21], 0, 0
	s_and_saveexec_b64 s[14:15], vcc
	s_cbranch_execz .LBB102_40
; %bb.37:                               ;   in Loop: Header=BB102_3 Depth=1
	s_mov_b64 s[16:17], 0
	v_pk_mov_b32 v[20:21], 0, 0
	s_mov_b64 s[18:19], 0
	s_mov_b64 s[20:21], 0
.LBB102_38:                             ;   Parent Loop BB102_3 Depth=1
                                        ; =>  This Inner Loop Header: Depth=2
	v_mov_b32_e32 v7, s21
	v_add_co_u32_e32 v24, vcc, s20, v10
	v_addc_co_u32_e32 v25, vcc, v11, v7, vcc
	flat_load_ubyte v7, v[24:25]
	s_add_u32 s20, s20, 1
	v_mov_b32_e32 v25, s22
	s_addc_u32 s21, s21, 0
	v_cmp_eq_u32_e32 vcc, s20, v22
	s_waitcnt vmcnt(0) lgkmcnt(0)
	v_and_b32_e32 v24, 0xffff, v7
	v_lshlrev_b64 v[24:25], s18, v[24:25]
	s_add_u32 s18, s18, 8
	s_addc_u32 s19, s19, 0
	v_or_b32_e32 v21, v25, v21
	s_or_b64 s[16:17], vcc, s[16:17]
	v_or_b32_e32 v20, v24, v20
	s_andn2_b64 exec, exec, s[16:17]
	s_cbranch_execnz .LBB102_38
; %bb.39:                               ;   in Loop: Header=BB102_3 Depth=1
	s_or_b64 exec, exec, s[16:17]
.LBB102_40:                             ;   in Loop: Header=BB102_3 Depth=1
	s_or_b64 exec, exec, s[14:15]
	s_mov_b32 s14, 0
                                        ; implicit-def: $vgpr22
.LBB102_41:                             ;   in Loop: Header=BB102_3 Depth=1
	s_or_saveexec_b64 s[4:5], s[4:5]
	v_mov_b32_e32 v7, s14
	s_xor_b64 exec, exec, s[4:5]
	s_cbranch_execz .LBB102_43
; %bb.42:                               ;   in Loop: Header=BB102_3 Depth=1
	flat_load_dwordx2 v[20:21], v[10:11]
	v_add_u32_e32 v7, -8, v22
	v_add_co_u32_e32 v10, vcc, 8, v10
	v_addc_co_u32_e32 v11, vcc, 0, v11, vcc
	s_waitcnt vmcnt(0) lgkmcnt(0)
	v_and_b32_e32 v22, 0xff, v21
	v_and_b32_e32 v23, 0xff00, v21
	;; [unrolled: 1-line block ×4, first 2 shown]
	v_or_b32_e32 v22, v22, v23
	v_or3_b32 v20, v20, 0, 0
	v_or3_b32 v21, v22, v24, v21
.LBB102_43:                             ;   in Loop: Header=BB102_3 Depth=1
	s_or_b64 exec, exec, s[4:5]
	v_cmp_gt_u32_e32 vcc, 8, v7
                                        ; implicit-def: $vgpr22_vgpr23
                                        ; implicit-def: $sgpr14
	s_and_saveexec_b64 s[4:5], vcc
	s_xor_b64 s[4:5], exec, s[4:5]
	s_cbranch_execz .LBB102_49
; %bb.44:                               ;   in Loop: Header=BB102_3 Depth=1
	v_cmp_ne_u32_e32 vcc, 0, v7
	v_pk_mov_b32 v[22:23], 0, 0
	s_and_saveexec_b64 s[14:15], vcc
	s_cbranch_execz .LBB102_48
; %bb.45:                               ;   in Loop: Header=BB102_3 Depth=1
	s_mov_b64 s[16:17], 0
	v_pk_mov_b32 v[22:23], 0, 0
	s_mov_b64 s[18:19], 0
	s_mov_b64 s[20:21], 0
.LBB102_46:                             ;   Parent Loop BB102_3 Depth=1
                                        ; =>  This Inner Loop Header: Depth=2
	v_mov_b32_e32 v25, s21
	v_add_co_u32_e32 v24, vcc, s20, v10
	v_addc_co_u32_e32 v25, vcc, v11, v25, vcc
	flat_load_ubyte v24, v[24:25]
	s_add_u32 s20, s20, 1
	v_mov_b32_e32 v25, s22
	s_addc_u32 s21, s21, 0
	v_cmp_eq_u32_e32 vcc, s20, v7
	s_waitcnt vmcnt(0) lgkmcnt(0)
	v_and_b32_e32 v24, 0xffff, v24
	v_lshlrev_b64 v[24:25], s18, v[24:25]
	s_add_u32 s18, s18, 8
	s_addc_u32 s19, s19, 0
	v_or_b32_e32 v23, v25, v23
	s_or_b64 s[16:17], vcc, s[16:17]
	v_or_b32_e32 v22, v24, v22
	s_andn2_b64 exec, exec, s[16:17]
	s_cbranch_execnz .LBB102_46
; %bb.47:                               ;   in Loop: Header=BB102_3 Depth=1
	s_or_b64 exec, exec, s[16:17]
.LBB102_48:                             ;   in Loop: Header=BB102_3 Depth=1
	s_or_b64 exec, exec, s[14:15]
	s_mov_b32 s14, 0
                                        ; implicit-def: $vgpr7
.LBB102_49:                             ;   in Loop: Header=BB102_3 Depth=1
	s_or_saveexec_b64 s[4:5], s[4:5]
	v_mov_b32_e32 v26, s14
	s_xor_b64 exec, exec, s[4:5]
	s_cbranch_execz .LBB102_51
; %bb.50:                               ;   in Loop: Header=BB102_3 Depth=1
	flat_load_dwordx2 v[22:23], v[10:11]
	v_add_u32_e32 v26, -8, v7
	v_add_co_u32_e32 v10, vcc, 8, v10
	v_addc_co_u32_e32 v11, vcc, 0, v11, vcc
	s_waitcnt vmcnt(0) lgkmcnt(0)
	v_and_b32_e32 v7, 0xff, v23
	v_and_b32_e32 v24, 0xff00, v23
	;; [unrolled: 1-line block ×4, first 2 shown]
	v_or_b32_e32 v7, v7, v24
	v_or3_b32 v22, v22, 0, 0
	v_or3_b32 v23, v7, v25, v23
.LBB102_51:                             ;   in Loop: Header=BB102_3 Depth=1
	s_or_b64 exec, exec, s[4:5]
	v_cmp_gt_u32_e32 vcc, 8, v26
	s_and_saveexec_b64 s[4:5], vcc
	s_xor_b64 s[4:5], exec, s[4:5]
	s_cbranch_execz .LBB102_57
; %bb.52:                               ;   in Loop: Header=BB102_3 Depth=1
	v_cmp_ne_u32_e32 vcc, 0, v26
	v_pk_mov_b32 v[24:25], 0, 0
	s_and_saveexec_b64 s[14:15], vcc
	s_cbranch_execz .LBB102_56
; %bb.53:                               ;   in Loop: Header=BB102_3 Depth=1
	s_mov_b64 s[16:17], 0
	v_pk_mov_b32 v[24:25], 0, 0
	s_mov_b64 s[18:19], 0
.LBB102_54:                             ;   Parent Loop BB102_3 Depth=1
                                        ; =>  This Inner Loop Header: Depth=2
	flat_load_ubyte v7, v[10:11]
	v_mov_b32_e32 v29, s22
	v_add_co_u32_e32 v10, vcc, 1, v10
	v_add_u32_e32 v26, -1, v26
	v_addc_co_u32_e32 v11, vcc, 0, v11, vcc
	v_cmp_eq_u32_e32 vcc, 0, v26
	s_waitcnt vmcnt(0) lgkmcnt(0)
	v_and_b32_e32 v28, 0xffff, v7
	v_lshlrev_b64 v[28:29], s18, v[28:29]
	s_add_u32 s18, s18, 8
	s_addc_u32 s19, s19, 0
	v_or_b32_e32 v25, v29, v25
	s_or_b64 s[16:17], vcc, s[16:17]
	v_or_b32_e32 v24, v28, v24
	s_andn2_b64 exec, exec, s[16:17]
	s_cbranch_execnz .LBB102_54
; %bb.55:                               ;   in Loop: Header=BB102_3 Depth=1
	s_or_b64 exec, exec, s[16:17]
.LBB102_56:                             ;   in Loop: Header=BB102_3 Depth=1
	s_or_b64 exec, exec, s[14:15]
                                        ; implicit-def: $vgpr10_vgpr11
.LBB102_57:                             ;   in Loop: Header=BB102_3 Depth=1
	s_andn2_saveexec_b64 s[4:5], s[4:5]
	s_cbranch_execz .LBB102_59
; %bb.58:                               ;   in Loop: Header=BB102_3 Depth=1
	flat_load_dwordx2 v[10:11], v[10:11]
	s_waitcnt vmcnt(0) lgkmcnt(0)
	v_and_b32_e32 v7, 0xff, v11
	v_and_b32_e32 v24, 0xff00, v11
	;; [unrolled: 1-line block ×4, first 2 shown]
	v_or_b32_e32 v7, v7, v24
	v_or3_b32 v25, v7, v25, v11
	v_or3_b32 v24, v10, 0, 0
.LBB102_59:                             ;   in Loop: Header=BB102_3 Depth=1
	s_or_b64 exec, exec, s[4:5]
	v_readfirstlane_b32 s4, v32
	v_cmp_eq_u32_e64 s[4:5], s4, v32
	v_pk_mov_b32 v[10:11], 0, 0
	s_and_saveexec_b64 s[14:15], s[4:5]
	s_cbranch_execz .LBB102_65
; %bb.60:                               ;   in Loop: Header=BB102_3 Depth=1
	s_waitcnt lgkmcnt(0)
	global_load_dwordx2 v[28:29], v31, s[12:13] offset:24 glc
	s_waitcnt vmcnt(0)
	buffer_invl2
	buffer_wbinvl1_vol
	global_load_dwordx2 v[10:11], v31, s[12:13] offset:40
	global_load_dwordx2 v[26:27], v31, s[12:13]
	s_waitcnt vmcnt(1)
	v_and_b32_e32 v7, v10, v28
	v_and_b32_e32 v10, v11, v29
	v_mul_lo_u32 v10, v10, 24
	v_mul_hi_u32 v11, v7, 24
	v_mul_lo_u32 v7, v7, 24
	v_add_u32_e32 v11, v11, v10
	s_waitcnt vmcnt(0)
	v_add_co_u32_e32 v10, vcc, v26, v7
	v_addc_co_u32_e32 v11, vcc, v27, v11, vcc
	global_load_dwordx2 v[26:27], v[10:11], off glc
	s_waitcnt vmcnt(0)
	global_atomic_cmpswap_x2 v[10:11], v31, v[26:29], s[12:13] offset:24 glc
	s_waitcnt vmcnt(0)
	buffer_invl2
	buffer_wbinvl1_vol
	v_cmp_ne_u64_e32 vcc, v[10:11], v[28:29]
	s_and_saveexec_b64 s[16:17], vcc
	s_cbranch_execz .LBB102_64
; %bb.61:                               ;   in Loop: Header=BB102_3 Depth=1
	s_mov_b64 s[18:19], 0
.LBB102_62:                             ;   Parent Loop BB102_3 Depth=1
                                        ; =>  This Inner Loop Header: Depth=2
	s_sleep 1
	global_load_dwordx2 v[26:27], v31, s[12:13] offset:40
	global_load_dwordx2 v[36:37], v31, s[12:13]
	v_pk_mov_b32 v[28:29], v[10:11], v[10:11] op_sel:[0,1]
	s_waitcnt vmcnt(1)
	v_and_b32_e32 v10, v26, v28
	s_waitcnt vmcnt(0)
	v_mad_u64_u32 v[10:11], s[20:21], v10, 24, v[36:37]
	v_and_b32_e32 v7, v27, v29
	v_mov_b32_e32 v26, v11
	v_mad_u64_u32 v[26:27], s[20:21], v7, 24, v[26:27]
	v_mov_b32_e32 v11, v26
	global_load_dwordx2 v[26:27], v[10:11], off glc
	s_waitcnt vmcnt(0)
	global_atomic_cmpswap_x2 v[10:11], v31, v[26:29], s[12:13] offset:24 glc
	s_waitcnt vmcnt(0)
	buffer_invl2
	buffer_wbinvl1_vol
	v_cmp_eq_u64_e32 vcc, v[10:11], v[28:29]
	s_or_b64 s[18:19], vcc, s[18:19]
	s_andn2_b64 exec, exec, s[18:19]
	s_cbranch_execnz .LBB102_62
; %bb.63:                               ;   in Loop: Header=BB102_3 Depth=1
	s_or_b64 exec, exec, s[18:19]
.LBB102_64:                             ;   in Loop: Header=BB102_3 Depth=1
	s_or_b64 exec, exec, s[16:17]
.LBB102_65:                             ;   in Loop: Header=BB102_3 Depth=1
	s_or_b64 exec, exec, s[14:15]
	s_waitcnt lgkmcnt(0)
	global_load_dwordx2 v[36:37], v31, s[12:13] offset:40
	global_load_dwordx4 v[26:29], v31, s[12:13]
	v_readfirstlane_b32 s14, v10
	v_readfirstlane_b32 s15, v11
	s_mov_b64 s[16:17], exec
	s_waitcnt vmcnt(1)
	v_readfirstlane_b32 s18, v36
	v_readfirstlane_b32 s19, v37
	s_and_b64 s[18:19], s[14:15], s[18:19]
	s_mul_i32 s20, s19, 24
	s_mul_hi_u32 s21, s18, 24
	s_mul_i32 s24, s18, 24
	s_add_i32 s20, s21, s20
	v_mov_b32_e32 v7, s20
	s_waitcnt vmcnt(0)
	v_add_co_u32_e32 v36, vcc, s24, v26
	v_addc_co_u32_e32 v37, vcc, v27, v7, vcc
	s_and_saveexec_b64 s[20:21], s[4:5]
	s_cbranch_execz .LBB102_67
; %bb.66:                               ;   in Loop: Header=BB102_3 Depth=1
	v_pk_mov_b32 v[10:11], s[16:17], s[16:17] op_sel:[0,1]
	global_store_dwordx4 v[36:37], v[10:13], off offset:8
.LBB102_67:                             ;   in Loop: Header=BB102_3 Depth=1
	s_or_b64 exec, exec, s[20:21]
	s_lshl_b64 s[16:17], s[18:19], 12
	v_mov_b32_e32 v7, s17
	v_add_co_u32_e32 v10, vcc, s16, v28
	v_addc_co_u32_e32 v7, vcc, v29, v7, vcc
	v_or_b32_e32 v11, 0, v1
	v_cmp_lt_u64_e32 vcc, 56, v[4:5]
	v_or_b32_e32 v28, v0, v6
	v_cndmask_b32_e32 v1, v11, v1, vcc
	v_lshl_add_u32 v11, v34, 2, 28
	v_cndmask_b32_e32 v0, v28, v0, vcc
	v_and_b32_e32 v11, 0x1e0, v11
	v_and_or_b32 v0, v0, s23, v11
	v_lshlrev_b32_e32 v11, 6, v32
	v_readfirstlane_b32 s16, v10
	v_readfirstlane_b32 s17, v7
	s_nop 4
	global_store_dwordx4 v11, v[0:3], s[16:17]
	global_store_dwordx4 v11, v[14:17], s[16:17] offset:16
	global_store_dwordx4 v11, v[18:21], s[16:17] offset:32
	;; [unrolled: 1-line block ×3, first 2 shown]
	s_and_saveexec_b64 s[16:17], s[4:5]
	s_cbranch_execz .LBB102_75
; %bb.68:                               ;   in Loop: Header=BB102_3 Depth=1
	global_load_dwordx2 v[18:19], v31, s[12:13] offset:32 glc
	global_load_dwordx2 v[0:1], v31, s[12:13] offset:40
	v_mov_b32_e32 v16, s14
	v_mov_b32_e32 v17, s15
	s_waitcnt vmcnt(0)
	v_readfirstlane_b32 s18, v0
	v_readfirstlane_b32 s19, v1
	s_and_b64 s[18:19], s[18:19], s[14:15]
	s_mul_i32 s19, s19, 24
	s_mul_hi_u32 s20, s18, 24
	s_mul_i32 s18, s18, 24
	s_add_i32 s19, s20, s19
	v_mov_b32_e32 v0, s19
	v_add_co_u32_e32 v14, vcc, s18, v26
	v_addc_co_u32_e32 v15, vcc, v27, v0, vcc
	global_store_dwordx2 v[14:15], v[18:19], off
	buffer_wbl2
	s_waitcnt vmcnt(0)
	global_atomic_cmpswap_x2 v[2:3], v31, v[16:19], s[12:13] offset:32 glc
	s_waitcnt vmcnt(0)
	v_cmp_ne_u64_e32 vcc, v[2:3], v[18:19]
	s_and_saveexec_b64 s[18:19], vcc
	s_cbranch_execz .LBB102_71
; %bb.69:                               ;   in Loop: Header=BB102_3 Depth=1
	s_mov_b64 s[20:21], 0
.LBB102_70:                             ;   Parent Loop BB102_3 Depth=1
                                        ; =>  This Inner Loop Header: Depth=2
	s_sleep 1
	global_store_dwordx2 v[14:15], v[2:3], off
	v_mov_b32_e32 v0, s14
	v_mov_b32_e32 v1, s15
	buffer_wbl2
	s_waitcnt vmcnt(0)
	global_atomic_cmpswap_x2 v[0:1], v31, v[0:3], s[12:13] offset:32 glc
	s_waitcnt vmcnt(0)
	v_cmp_eq_u64_e32 vcc, v[0:1], v[2:3]
	s_or_b64 s[20:21], vcc, s[20:21]
	v_pk_mov_b32 v[2:3], v[0:1], v[0:1] op_sel:[0,1]
	s_andn2_b64 exec, exec, s[20:21]
	s_cbranch_execnz .LBB102_70
.LBB102_71:                             ;   in Loop: Header=BB102_3 Depth=1
	s_or_b64 exec, exec, s[18:19]
	global_load_dwordx2 v[0:1], v31, s[12:13] offset:16
	s_mov_b64 s[20:21], exec
	v_mbcnt_lo_u32_b32 v2, s20, 0
	v_mbcnt_hi_u32_b32 v2, s21, v2
	v_cmp_eq_u32_e32 vcc, 0, v2
	s_and_saveexec_b64 s[18:19], vcc
	s_cbranch_execz .LBB102_73
; %bb.72:                               ;   in Loop: Header=BB102_3 Depth=1
	s_bcnt1_i32_b64 s20, s[20:21]
	v_mov_b32_e32 v30, s20
	buffer_wbl2
	s_waitcnt vmcnt(0)
	global_atomic_add_x2 v[0:1], v[30:31], off offset:8
.LBB102_73:                             ;   in Loop: Header=BB102_3 Depth=1
	s_or_b64 exec, exec, s[18:19]
	s_waitcnt vmcnt(0)
	global_load_dwordx2 v[2:3], v[0:1], off offset:16
	s_waitcnt vmcnt(0)
	v_cmp_eq_u64_e32 vcc, 0, v[2:3]
	s_cbranch_vccnz .LBB102_75
; %bb.74:                               ;   in Loop: Header=BB102_3 Depth=1
	global_load_dword v30, v[0:1], off offset:24
	s_waitcnt vmcnt(0)
	v_and_b32_e32 v0, 0xffffff, v30
	v_readfirstlane_b32 m0, v0
	buffer_wbl2
	global_store_dwordx2 v[2:3], v[30:31], off
	s_sendmsg sendmsg(MSG_INTERRUPT)
.LBB102_75:                             ;   in Loop: Header=BB102_3 Depth=1
	s_or_b64 exec, exec, s[16:17]
	v_add_co_u32_e32 v0, vcc, v10, v11
	v_addc_co_u32_e32 v1, vcc, 0, v7, vcc
	s_branch .LBB102_79
.LBB102_76:                             ;   in Loop: Header=BB102_79 Depth=2
	s_or_b64 exec, exec, s[16:17]
	v_readfirstlane_b32 s16, v2
	s_cmp_eq_u32 s16, 0
	s_cbranch_scc1 .LBB102_78
; %bb.77:                               ;   in Loop: Header=BB102_79 Depth=2
	s_sleep 1
	s_cbranch_execnz .LBB102_79
	s_branch .LBB102_81
.LBB102_78:                             ;   in Loop: Header=BB102_3 Depth=1
	s_branch .LBB102_81
.LBB102_79:                             ;   Parent Loop BB102_3 Depth=1
                                        ; =>  This Inner Loop Header: Depth=2
	v_mov_b32_e32 v2, 1
	s_and_saveexec_b64 s[16:17], s[4:5]
	s_cbranch_execz .LBB102_76
; %bb.80:                               ;   in Loop: Header=BB102_79 Depth=2
	global_load_dword v2, v[36:37], off offset:20 glc
	s_waitcnt vmcnt(0)
	buffer_invl2
	buffer_wbinvl1_vol
	v_and_b32_e32 v2, 1, v2
	s_branch .LBB102_76
.LBB102_81:                             ;   in Loop: Header=BB102_3 Depth=1
	global_load_dwordx4 v[0:3], v[0:1], off
	s_and_saveexec_b64 s[16:17], s[4:5]
	s_cbranch_execz .LBB102_2
; %bb.82:                               ;   in Loop: Header=BB102_3 Depth=1
	global_load_dwordx2 v[2:3], v31, s[12:13] offset:40
	global_load_dwordx2 v[10:11], v31, s[12:13] offset:24 glc
	global_load_dwordx2 v[18:19], v31, s[12:13]
	v_mov_b32_e32 v7, s15
	s_waitcnt vmcnt(2)
	v_add_co_u32_e32 v17, vcc, 1, v2
	v_addc_co_u32_e32 v20, vcc, 0, v3, vcc
	v_add_co_u32_e32 v14, vcc, s14, v17
	v_addc_co_u32_e32 v15, vcc, v20, v7, vcc
	v_cmp_eq_u64_e32 vcc, 0, v[14:15]
	v_cndmask_b32_e32 v15, v15, v20, vcc
	v_cndmask_b32_e32 v14, v14, v17, vcc
	v_and_b32_e32 v3, v15, v3
	v_and_b32_e32 v2, v14, v2
	v_mul_lo_u32 v3, v3, 24
	v_mul_hi_u32 v7, v2, 24
	v_mul_lo_u32 v2, v2, 24
	v_add_u32_e32 v3, v7, v3
	s_waitcnt vmcnt(0)
	v_add_co_u32_e32 v2, vcc, v18, v2
	v_addc_co_u32_e32 v3, vcc, v19, v3, vcc
	v_mov_b32_e32 v16, v10
	global_store_dwordx2 v[2:3], v[10:11], off
	v_mov_b32_e32 v17, v11
	buffer_wbl2
	s_waitcnt vmcnt(0)
	global_atomic_cmpswap_x2 v[16:17], v31, v[14:17], s[12:13] offset:24 glc
	s_waitcnt vmcnt(0)
	v_cmp_ne_u64_e32 vcc, v[16:17], v[10:11]
	s_and_b64 exec, exec, vcc
	s_cbranch_execz .LBB102_2
; %bb.83:                               ;   in Loop: Header=BB102_3 Depth=1
	s_mov_b64 s[4:5], 0
.LBB102_84:                             ;   Parent Loop BB102_3 Depth=1
                                        ; =>  This Inner Loop Header: Depth=2
	s_sleep 1
	global_store_dwordx2 v[2:3], v[16:17], off
	buffer_wbl2
	s_waitcnt vmcnt(0)
	global_atomic_cmpswap_x2 v[10:11], v31, v[14:17], s[12:13] offset:24 glc
	s_waitcnt vmcnt(0)
	v_cmp_eq_u64_e32 vcc, v[10:11], v[16:17]
	s_or_b64 s[4:5], vcc, s[4:5]
	v_pk_mov_b32 v[16:17], v[10:11], v[10:11] op_sel:[0,1]
	s_andn2_b64 exec, exec, s[4:5]
	s_cbranch_execnz .LBB102_84
	s_branch .LBB102_2
.LBB102_85:
	s_or_b64 exec, exec, s[6:7]
                                        ; implicit-def: $vgpr0
                                        ; implicit-def: $vgpr1
                                        ; implicit-def: $vgpr2
.LBB102_86:
	s_andn2_saveexec_b64 s[6:7], s[10:11]
	s_cbranch_execz .LBB102_109
; %bb.87:
	s_load_dwordx2 s[8:9], s[8:9], 0x50
	s_waitcnt vmcnt(0)
	v_mbcnt_hi_u32_b32 v3, -1, v2
	v_readfirstlane_b32 s4, v3
	v_cmp_eq_u32_e64 s[4:5], s4, v3
	v_pk_mov_b32 v[8:9], 0, 0
	s_and_saveexec_b64 s[10:11], s[4:5]
	s_cbranch_execz .LBB102_93
; %bb.88:
	v_mov_b32_e32 v2, 0
	s_waitcnt lgkmcnt(0)
	global_load_dwordx2 v[6:7], v2, s[8:9] offset:24 glc
	s_waitcnt vmcnt(0)
	buffer_invl2
	buffer_wbinvl1_vol
	global_load_dwordx2 v[4:5], v2, s[8:9] offset:40
	global_load_dwordx2 v[8:9], v2, s[8:9]
	s_waitcnt vmcnt(1)
	v_and_b32_e32 v4, v4, v6
	v_and_b32_e32 v5, v5, v7
	v_mul_lo_u32 v5, v5, 24
	v_mul_hi_u32 v10, v4, 24
	v_mul_lo_u32 v4, v4, 24
	v_add_u32_e32 v5, v10, v5
	s_waitcnt vmcnt(0)
	v_add_co_u32_e32 v4, vcc, v8, v4
	v_addc_co_u32_e32 v5, vcc, v9, v5, vcc
	global_load_dwordx2 v[4:5], v[4:5], off glc
	s_waitcnt vmcnt(0)
	global_atomic_cmpswap_x2 v[8:9], v2, v[4:7], s[8:9] offset:24 glc
	s_waitcnt vmcnt(0)
	buffer_invl2
	buffer_wbinvl1_vol
	v_cmp_ne_u64_e32 vcc, v[8:9], v[6:7]
	s_and_saveexec_b64 s[12:13], vcc
	s_cbranch_execz .LBB102_92
; %bb.89:
	s_mov_b64 s[14:15], 0
.LBB102_90:                             ; =>This Inner Loop Header: Depth=1
	s_sleep 1
	global_load_dwordx2 v[4:5], v2, s[8:9] offset:40
	global_load_dwordx2 v[10:11], v2, s[8:9]
	v_pk_mov_b32 v[6:7], v[8:9], v[8:9] op_sel:[0,1]
	s_waitcnt vmcnt(1)
	v_and_b32_e32 v4, v4, v6
	v_and_b32_e32 v9, v5, v7
	s_waitcnt vmcnt(0)
	v_mad_u64_u32 v[4:5], s[16:17], v4, 24, v[10:11]
	v_mov_b32_e32 v8, v5
	v_mad_u64_u32 v[8:9], s[16:17], v9, 24, v[8:9]
	v_mov_b32_e32 v5, v8
	global_load_dwordx2 v[4:5], v[4:5], off glc
	s_waitcnt vmcnt(0)
	global_atomic_cmpswap_x2 v[8:9], v2, v[4:7], s[8:9] offset:24 glc
	s_waitcnt vmcnt(0)
	buffer_invl2
	buffer_wbinvl1_vol
	v_cmp_eq_u64_e32 vcc, v[8:9], v[6:7]
	s_or_b64 s[14:15], vcc, s[14:15]
	s_andn2_b64 exec, exec, s[14:15]
	s_cbranch_execnz .LBB102_90
; %bb.91:
	s_or_b64 exec, exec, s[14:15]
.LBB102_92:
	s_or_b64 exec, exec, s[12:13]
.LBB102_93:
	s_or_b64 exec, exec, s[10:11]
	v_mov_b32_e32 v2, 0
	s_waitcnt lgkmcnt(0)
	global_load_dwordx2 v[10:11], v2, s[8:9] offset:40
	global_load_dwordx4 v[4:7], v2, s[8:9]
	v_readfirstlane_b32 s10, v8
	v_readfirstlane_b32 s11, v9
	s_mov_b64 s[12:13], exec
	s_waitcnt vmcnt(1)
	v_readfirstlane_b32 s14, v10
	v_readfirstlane_b32 s15, v11
	s_and_b64 s[14:15], s[10:11], s[14:15]
	s_mul_i32 s16, s15, 24
	s_mul_hi_u32 s17, s14, 24
	s_mul_i32 s18, s14, 24
	s_add_i32 s16, s17, s16
	v_mov_b32_e32 v9, s16
	s_waitcnt vmcnt(0)
	v_add_co_u32_e32 v8, vcc, s18, v4
	v_addc_co_u32_e32 v9, vcc, v5, v9, vcc
	s_and_saveexec_b64 s[16:17], s[4:5]
	s_cbranch_execz .LBB102_95
; %bb.94:
	v_pk_mov_b32 v[10:11], s[12:13], s[12:13] op_sel:[0,1]
	v_mov_b32_e32 v12, 2
	v_mov_b32_e32 v13, 1
	global_store_dwordx4 v[8:9], v[10:13], off offset:8
.LBB102_95:
	s_or_b64 exec, exec, s[16:17]
	s_lshl_b64 s[12:13], s[14:15], 12
	v_mov_b32_e32 v10, s13
	v_add_co_u32_e32 v6, vcc, s12, v6
	s_movk_i32 s12, 0xff1f
	v_addc_co_u32_e32 v7, vcc, v7, v10, vcc
	v_and_or_b32 v0, v0, s12, 32
	s_mov_b32 s12, 0
	v_lshlrev_b32_e32 v10, 6, v3
	v_mov_b32_e32 v3, v2
	v_readfirstlane_b32 s16, v6
	v_readfirstlane_b32 s17, v7
	s_mov_b32 s13, s12
	s_mov_b32 s14, s12
	;; [unrolled: 1-line block ×3, first 2 shown]
	s_nop 1
	global_store_dwordx4 v10, v[0:3], s[16:17]
	s_nop 0
	v_pk_mov_b32 v[0:1], s[12:13], s[12:13] op_sel:[0,1]
	v_pk_mov_b32 v[2:3], s[14:15], s[14:15] op_sel:[0,1]
	global_store_dwordx4 v10, v[0:3], s[16:17] offset:16
	global_store_dwordx4 v10, v[0:3], s[16:17] offset:32
	;; [unrolled: 1-line block ×3, first 2 shown]
	s_and_saveexec_b64 s[12:13], s[4:5]
	s_cbranch_execz .LBB102_103
; %bb.96:
	v_mov_b32_e32 v6, 0
	global_load_dwordx2 v[12:13], v6, s[8:9] offset:32 glc
	global_load_dwordx2 v[0:1], v6, s[8:9] offset:40
	v_mov_b32_e32 v10, s10
	v_mov_b32_e32 v11, s11
	s_waitcnt vmcnt(0)
	v_and_b32_e32 v0, s10, v0
	v_and_b32_e32 v1, s11, v1
	v_mul_lo_u32 v1, v1, 24
	v_mul_hi_u32 v2, v0, 24
	v_mul_lo_u32 v0, v0, 24
	v_add_u32_e32 v1, v2, v1
	v_add_co_u32_e32 v4, vcc, v4, v0
	v_addc_co_u32_e32 v5, vcc, v5, v1, vcc
	global_store_dwordx2 v[4:5], v[12:13], off
	buffer_wbl2
	s_waitcnt vmcnt(0)
	global_atomic_cmpswap_x2 v[2:3], v6, v[10:13], s[8:9] offset:32 glc
	s_waitcnt vmcnt(0)
	v_cmp_ne_u64_e32 vcc, v[2:3], v[12:13]
	s_and_saveexec_b64 s[14:15], vcc
	s_cbranch_execz .LBB102_99
; %bb.97:
	s_mov_b64 s[16:17], 0
.LBB102_98:                             ; =>This Inner Loop Header: Depth=1
	s_sleep 1
	global_store_dwordx2 v[4:5], v[2:3], off
	v_mov_b32_e32 v0, s10
	v_mov_b32_e32 v1, s11
	buffer_wbl2
	s_waitcnt vmcnt(0)
	global_atomic_cmpswap_x2 v[0:1], v6, v[0:3], s[8:9] offset:32 glc
	s_waitcnt vmcnt(0)
	v_cmp_eq_u64_e32 vcc, v[0:1], v[2:3]
	s_or_b64 s[16:17], vcc, s[16:17]
	v_pk_mov_b32 v[2:3], v[0:1], v[0:1] op_sel:[0,1]
	s_andn2_b64 exec, exec, s[16:17]
	s_cbranch_execnz .LBB102_98
.LBB102_99:
	s_or_b64 exec, exec, s[14:15]
	v_mov_b32_e32 v3, 0
	global_load_dwordx2 v[0:1], v3, s[8:9] offset:16
	s_mov_b64 s[14:15], exec
	v_mbcnt_lo_u32_b32 v2, s14, 0
	v_mbcnt_hi_u32_b32 v2, s15, v2
	v_cmp_eq_u32_e32 vcc, 0, v2
	s_and_saveexec_b64 s[16:17], vcc
	s_cbranch_execz .LBB102_101
; %bb.100:
	s_bcnt1_i32_b64 s14, s[14:15]
	v_mov_b32_e32 v2, s14
	buffer_wbl2
	s_waitcnt vmcnt(0)
	global_atomic_add_x2 v[0:1], v[2:3], off offset:8
.LBB102_101:
	s_or_b64 exec, exec, s[16:17]
	s_waitcnt vmcnt(0)
	global_load_dwordx2 v[2:3], v[0:1], off offset:16
	s_waitcnt vmcnt(0)
	v_cmp_eq_u64_e32 vcc, 0, v[2:3]
	s_cbranch_vccnz .LBB102_103
; %bb.102:
	global_load_dword v0, v[0:1], off offset:24
	v_mov_b32_e32 v1, 0
	buffer_wbl2
	s_waitcnt vmcnt(0)
	global_store_dwordx2 v[2:3], v[0:1], off
	v_and_b32_e32 v0, 0xffffff, v0
	v_readfirstlane_b32 m0, v0
	s_sendmsg sendmsg(MSG_INTERRUPT)
.LBB102_103:
	s_or_b64 exec, exec, s[12:13]
	s_branch .LBB102_107
.LBB102_104:                            ;   in Loop: Header=BB102_107 Depth=1
	s_or_b64 exec, exec, s[12:13]
	v_readfirstlane_b32 s12, v0
	s_cmp_eq_u32 s12, 0
	s_cbranch_scc1 .LBB102_106
; %bb.105:                              ;   in Loop: Header=BB102_107 Depth=1
	s_sleep 1
	s_cbranch_execnz .LBB102_107
	s_branch .LBB102_110
.LBB102_106:
	s_branch .LBB102_110
.LBB102_107:                            ; =>This Inner Loop Header: Depth=1
	v_mov_b32_e32 v0, 1
	s_and_saveexec_b64 s[12:13], s[4:5]
	s_cbranch_execz .LBB102_104
; %bb.108:                              ;   in Loop: Header=BB102_107 Depth=1
	global_load_dword v0, v[8:9], off offset:20 glc
	s_waitcnt vmcnt(0)
	buffer_invl2
	buffer_wbinvl1_vol
	v_and_b32_e32 v0, 1, v0
	s_branch .LBB102_104
.LBB102_109:
	s_or_b64 exec, exec, s[6:7]
	s_waitcnt vmcnt(0) lgkmcnt(0)
	s_setpc_b64 s[30:31]
.LBB102_110:
	s_and_saveexec_b64 s[12:13], s[4:5]
	s_cbranch_execz .LBB102_113
; %bb.111:
	v_mov_b32_e32 v6, 0
	global_load_dwordx2 v[4:5], v6, s[8:9] offset:40
	global_load_dwordx2 v[8:9], v6, s[8:9] offset:24 glc
	global_load_dwordx2 v[10:11], v6, s[8:9]
	v_mov_b32_e32 v1, s11
	s_mov_b64 s[4:5], 0
	s_waitcnt vmcnt(2)
	v_add_co_u32_e32 v3, vcc, 1, v4
	v_addc_co_u32_e32 v7, vcc, 0, v5, vcc
	v_add_co_u32_e32 v0, vcc, s10, v3
	v_addc_co_u32_e32 v1, vcc, v7, v1, vcc
	v_cmp_eq_u64_e32 vcc, 0, v[0:1]
	v_cndmask_b32_e32 v1, v1, v7, vcc
	v_cndmask_b32_e32 v0, v0, v3, vcc
	v_and_b32_e32 v3, v1, v5
	v_and_b32_e32 v4, v0, v4
	v_mul_lo_u32 v3, v3, 24
	v_mul_hi_u32 v5, v4, 24
	v_mul_lo_u32 v4, v4, 24
	v_add_u32_e32 v3, v5, v3
	s_waitcnt vmcnt(0)
	v_add_co_u32_e32 v4, vcc, v10, v4
	v_addc_co_u32_e32 v5, vcc, v11, v3, vcc
	v_mov_b32_e32 v2, v8
	global_store_dwordx2 v[4:5], v[8:9], off
	v_mov_b32_e32 v3, v9
	buffer_wbl2
	s_waitcnt vmcnt(0)
	global_atomic_cmpswap_x2 v[2:3], v6, v[0:3], s[8:9] offset:24 glc
	s_waitcnt vmcnt(0)
	v_cmp_ne_u64_e32 vcc, v[2:3], v[8:9]
	s_and_b64 exec, exec, vcc
	s_cbranch_execz .LBB102_113
.LBB102_112:                            ; =>This Inner Loop Header: Depth=1
	s_sleep 1
	global_store_dwordx2 v[4:5], v[2:3], off
	buffer_wbl2
	s_waitcnt vmcnt(0)
	global_atomic_cmpswap_x2 v[8:9], v6, v[0:3], s[8:9] offset:24 glc
	s_waitcnt vmcnt(0)
	v_cmp_eq_u64_e32 vcc, v[8:9], v[2:3]
	s_or_b64 s[4:5], vcc, s[4:5]
	v_pk_mov_b32 v[2:3], v[8:9], v[8:9] op_sel:[0,1]
	s_andn2_b64 exec, exec, s[4:5]
	s_cbranch_execnz .LBB102_112
.LBB102_113:
	s_or_b64 exec, exec, s[12:13]
	s_or_b64 exec, exec, s[6:7]
	s_waitcnt vmcnt(0) lgkmcnt(0)
	s_setpc_b64 s[30:31]
.Lfunc_end102:
	.size	__ockl_fprintf_append_string_n, .Lfunc_end102-__ockl_fprintf_append_string_n
                                        ; -- End function
	.section	.AMDGPU.csdata,"",@progbits
; Function info:
; codeLenInByte = 4372
; NumSgprs: 36
; NumVgprs: 38
; NumAgprs: 0
; TotalNumVgprs: 38
; ScratchSize: 0
; MemoryBound: 0
	.text
	.p2align	2                               ; -- Begin function __assert_fail
	.type	__assert_fail,@function
__assert_fail:                          ; @__assert_fail
; %bb.0:
	s_waitcnt vmcnt(0) expcnt(0) lgkmcnt(0)
	s_mov_b32 s25, s33
	s_mov_b32 s33, s32
	s_xor_saveexec_b64 s[4:5], -1
	buffer_store_dword v38, off, s[0:3], s33 offset:48 ; 4-byte Folded Spill
	s_mov_b64 exec, s[4:5]
	v_writelane_b32 v38, s30, 0
	s_addk_i32 s32, 0x1000
	v_writelane_b32 v38, s31, 1
	s_getpc_b64 s[4:5]
	s_add_u32 s4, s4, __const.__assert_fail.fmt@rel32@lo+4
	s_addc_u32 s5, s5, __const.__assert_fail.fmt@rel32@hi+12
	s_load_dwordx4 s[4:7], s[4:5], 0x0
	v_mov_b32_e32 v0, 0xa2e
	buffer_store_short v0, off, s[0:3], s33 offset:44
	v_mov_b32_e32 v0, 0x64656c69
	buffer_store_dword v0, off, s[0:3], s33 offset:40
	v_mov_b32_e32 v0, 0x61662027
	s_getpc_b64 s[10:11]
	s_add_u32 s10, s10, __const.__assert_fail.fmt@rel32@lo+20
	s_addc_u32 s11, s11, __const.__assert_fail.fmt@rel32@hi+28
	buffer_store_dword v0, off, s[0:3], s33 offset:36
	v_mov_b32_e32 v0, 0x73256020
	s_load_dwordx4 s[12:15], s[10:11], 0x0
	buffer_store_dword v0, off, s[0:3], s33 offset:32
	s_waitcnt lgkmcnt(0)
	v_mov_b32_e32 v0, s7
	buffer_store_dword v0, off, s[0:3], s33 offset:12
	v_mov_b32_e32 v0, s6
	buffer_store_dword v0, off, s[0:3], s33 offset:8
	;; [unrolled: 2-line block ×3, first 2 shown]
	v_mov_b32_e32 v0, s4
	buffer_store_dword v0, off, s[0:3], s33
	v_mov_b32_e32 v0, s15
	buffer_store_dword v0, off, s[0:3], s33 offset:28
	v_mov_b32_e32 v0, s14
	buffer_store_dword v0, off, s[0:3], s33 offset:24
	v_mov_b32_e32 v0, s13
	buffer_store_dword v0, off, s[0:3], s33 offset:20
	v_mov_b32_e32 v0, s12
	s_load_dwordx2 s[10:11], s[8:9], 0x50
	buffer_store_dword v0, off, s[0:3], s33 offset:16
	v_mbcnt_lo_u32_b32 v0, -1, 0
	v_mbcnt_hi_u32_b32 v35, -1, v0
	v_readfirstlane_b32 s4, v35
	v_mov_b32_e32 v6, 0
	v_cmp_eq_u32_e64 s[4:5], s4, v35
	v_pk_mov_b32 v[4:5], 0, 0
	buffer_store_byte v6, off, s[0:3], s33 offset:46
	s_and_saveexec_b64 s[6:7], s[4:5]
	s_cbranch_execz .LBB103_6
; %bb.1:
	s_waitcnt lgkmcnt(0)
	global_load_dwordx2 v[2:3], v6, s[10:11] offset:24 glc
	s_waitcnt vmcnt(0)
	buffer_invl2
	buffer_wbinvl1_vol
	global_load_dwordx2 v[0:1], v6, s[10:11] offset:40
	global_load_dwordx2 v[4:5], v6, s[10:11]
	s_waitcnt vmcnt(1)
	v_and_b32_e32 v0, v0, v2
	v_and_b32_e32 v1, v1, v3
	v_mul_lo_u32 v1, v1, 24
	v_mul_hi_u32 v7, v0, 24
	v_mul_lo_u32 v0, v0, 24
	v_add_u32_e32 v1, v7, v1
	s_waitcnt vmcnt(0)
	v_add_co_u32_e32 v0, vcc, v4, v0
	v_addc_co_u32_e32 v1, vcc, v5, v1, vcc
	global_load_dwordx2 v[0:1], v[0:1], off glc
	s_waitcnt vmcnt(0)
	global_atomic_cmpswap_x2 v[4:5], v6, v[0:3], s[10:11] offset:24 glc
	s_waitcnt vmcnt(0)
	buffer_invl2
	buffer_wbinvl1_vol
	v_cmp_ne_u64_e32 vcc, v[4:5], v[2:3]
	s_and_saveexec_b64 s[12:13], vcc
	s_cbranch_execz .LBB103_5
; %bb.2:
	s_mov_b64 s[14:15], 0
.LBB103_3:                              ; =>This Inner Loop Header: Depth=1
	s_sleep 1
	global_load_dwordx2 v[0:1], v6, s[10:11] offset:40
	global_load_dwordx2 v[8:9], v6, s[10:11]
	v_pk_mov_b32 v[2:3], v[4:5], v[4:5] op_sel:[0,1]
	s_waitcnt vmcnt(1)
	v_and_b32_e32 v0, v0, v2
	v_and_b32_e32 v5, v1, v3
	s_waitcnt vmcnt(0)
	v_mad_u64_u32 v[0:1], s[16:17], v0, 24, v[8:9]
	v_mov_b32_e32 v4, v1
	v_mad_u64_u32 v[4:5], s[16:17], v5, 24, v[4:5]
	v_mov_b32_e32 v1, v4
	global_load_dwordx2 v[0:1], v[0:1], off glc
	s_waitcnt vmcnt(0)
	global_atomic_cmpswap_x2 v[4:5], v6, v[0:3], s[10:11] offset:24 glc
	s_waitcnt vmcnt(0)
	buffer_invl2
	buffer_wbinvl1_vol
	v_cmp_eq_u64_e32 vcc, v[4:5], v[2:3]
	s_or_b64 s[14:15], vcc, s[14:15]
	s_andn2_b64 exec, exec, s[14:15]
	s_cbranch_execnz .LBB103_3
; %bb.4:
	s_or_b64 exec, exec, s[14:15]
.LBB103_5:
	s_or_b64 exec, exec, s[12:13]
.LBB103_6:
	s_or_b64 exec, exec, s[6:7]
	s_waitcnt lgkmcnt(0)
	global_load_dwordx2 v[8:9], v6, s[10:11] offset:40
	global_load_dwordx4 v[0:3], v6, s[10:11]
	v_readfirstlane_b32 s6, v4
	v_readfirstlane_b32 s7, v5
	s_mov_b64 s[12:13], exec
	s_waitcnt vmcnt(1)
	v_readfirstlane_b32 s14, v8
	v_readfirstlane_b32 s15, v9
	s_and_b64 s[14:15], s[6:7], s[14:15]
	s_mul_i32 s16, s15, 24
	s_mul_hi_u32 s17, s14, 24
	s_mul_i32 s18, s14, 24
	s_add_i32 s16, s17, s16
	v_mov_b32_e32 v4, s16
	s_waitcnt vmcnt(0)
	v_add_co_u32_e32 v8, vcc, s18, v0
	v_addc_co_u32_e32 v9, vcc, v1, v4, vcc
	s_and_saveexec_b64 s[16:17], s[4:5]
	s_cbranch_execz .LBB103_8
; %bb.7:
	v_pk_mov_b32 v[4:5], s[12:13], s[12:13] op_sel:[0,1]
	v_mov_b32_e32 v6, 2
	v_mov_b32_e32 v7, 1
	global_store_dwordx4 v[8:9], v[4:7], off offset:8
.LBB103_8:
	s_or_b64 exec, exec, s[16:17]
	s_lshl_b64 s[12:13], s[14:15], 12
	v_mov_b32_e32 v4, s13
	v_add_co_u32_e32 v6, vcc, s12, v2
	v_addc_co_u32_e32 v7, vcc, v3, v4, vcc
	s_mov_b32 s12, 0
	v_mov_b32_e32 v3, 0
	v_lshlrev_b32_e32 v34, 6, v35
	v_add_co_u32_e32 v10, vcc, v6, v34
	v_mov_b32_e32 v2, 33
	v_mov_b32_e32 v4, 1
	;; [unrolled: 1-line block ×3, first 2 shown]
	v_readfirstlane_b32 s16, v6
	v_readfirstlane_b32 s17, v7
	s_mov_b32 s13, s12
	v_addc_co_u32_e32 v11, vcc, 0, v7, vcc
	s_mov_b32 s14, s12
	s_mov_b32 s15, s12
	s_nop 0
	global_store_dwordx4 v34, v[2:5], s[16:17]
	s_nop 0
	v_pk_mov_b32 v[4:5], s[12:13], s[12:13] op_sel:[0,1]
	v_pk_mov_b32 v[6:7], s[14:15], s[14:15] op_sel:[0,1]
	global_store_dwordx4 v34, v[4:7], s[16:17] offset:16
	global_store_dwordx4 v34, v[4:7], s[16:17] offset:32
	;; [unrolled: 1-line block ×3, first 2 shown]
	s_and_saveexec_b64 s[12:13], s[4:5]
	s_cbranch_execz .LBB103_16
; %bb.9:
	global_load_dwordx2 v[14:15], v3, s[10:11] offset:32 glc
	global_load_dwordx2 v[4:5], v3, s[10:11] offset:40
	v_mov_b32_e32 v12, s6
	v_mov_b32_e32 v13, s7
	s_waitcnt vmcnt(0)
	v_and_b32_e32 v2, s6, v4
	v_and_b32_e32 v4, s7, v5
	v_mul_lo_u32 v4, v4, 24
	v_mul_hi_u32 v5, v2, 24
	v_mul_lo_u32 v2, v2, 24
	v_add_u32_e32 v4, v5, v4
	v_add_co_u32_e32 v0, vcc, v0, v2
	v_addc_co_u32_e32 v1, vcc, v1, v4, vcc
	global_store_dwordx2 v[0:1], v[14:15], off
	buffer_wbl2
	s_waitcnt vmcnt(0)
	global_atomic_cmpswap_x2 v[6:7], v3, v[12:15], s[10:11] offset:32 glc
	s_waitcnt vmcnt(0)
	v_cmp_ne_u64_e32 vcc, v[6:7], v[14:15]
	s_and_saveexec_b64 s[14:15], vcc
	s_cbranch_execz .LBB103_12
; %bb.10:
	s_mov_b64 s[16:17], 0
.LBB103_11:                             ; =>This Inner Loop Header: Depth=1
	s_sleep 1
	global_store_dwordx2 v[0:1], v[6:7], off
	v_mov_b32_e32 v4, s6
	v_mov_b32_e32 v5, s7
	buffer_wbl2
	s_waitcnt vmcnt(0)
	global_atomic_cmpswap_x2 v[4:5], v3, v[4:7], s[10:11] offset:32 glc
	s_waitcnt vmcnt(0)
	v_cmp_eq_u64_e32 vcc, v[4:5], v[6:7]
	s_or_b64 s[16:17], vcc, s[16:17]
	v_pk_mov_b32 v[6:7], v[4:5], v[4:5] op_sel:[0,1]
	s_andn2_b64 exec, exec, s[16:17]
	s_cbranch_execnz .LBB103_11
.LBB103_12:
	s_or_b64 exec, exec, s[14:15]
	v_mov_b32_e32 v3, 0
	global_load_dwordx2 v[0:1], v3, s[10:11] offset:16
	s_mov_b64 s[14:15], exec
	v_mbcnt_lo_u32_b32 v2, s14, 0
	v_mbcnt_hi_u32_b32 v2, s15, v2
	v_cmp_eq_u32_e32 vcc, 0, v2
	s_and_saveexec_b64 s[16:17], vcc
	s_cbranch_execz .LBB103_14
; %bb.13:
	s_bcnt1_i32_b64 s14, s[14:15]
	v_mov_b32_e32 v2, s14
	buffer_wbl2
	s_waitcnt vmcnt(0)
	global_atomic_add_x2 v[0:1], v[2:3], off offset:8
.LBB103_14:
	s_or_b64 exec, exec, s[16:17]
	s_waitcnt vmcnt(0)
	global_load_dwordx2 v[2:3], v[0:1], off offset:16
	s_waitcnt vmcnt(0)
	v_cmp_eq_u64_e32 vcc, 0, v[2:3]
	s_cbranch_vccnz .LBB103_16
; %bb.15:
	global_load_dword v0, v[0:1], off offset:24
	v_mov_b32_e32 v1, 0
	buffer_wbl2
	s_waitcnt vmcnt(0)
	global_store_dwordx2 v[2:3], v[0:1], off
	v_and_b32_e32 v0, 0xffffff, v0
	v_readfirstlane_b32 m0, v0
	s_sendmsg sendmsg(MSG_INTERRUPT)
.LBB103_16:
	s_or_b64 exec, exec, s[12:13]
	s_branch .LBB103_20
.LBB103_17:                             ;   in Loop: Header=BB103_20 Depth=1
	s_or_b64 exec, exec, s[12:13]
	v_readfirstlane_b32 s12, v0
	s_cmp_eq_u32 s12, 0
	s_cbranch_scc1 .LBB103_19
; %bb.18:                               ;   in Loop: Header=BB103_20 Depth=1
	s_sleep 1
	s_cbranch_execnz .LBB103_20
	s_branch .LBB103_22
.LBB103_19:
	s_branch .LBB103_22
.LBB103_20:                             ; =>This Inner Loop Header: Depth=1
	v_mov_b32_e32 v0, 1
	s_and_saveexec_b64 s[12:13], s[4:5]
	s_cbranch_execz .LBB103_17
; %bb.21:                               ;   in Loop: Header=BB103_20 Depth=1
	global_load_dword v0, v[8:9], off offset:20 glc
	s_waitcnt vmcnt(0)
	buffer_invl2
	buffer_wbinvl1_vol
	v_and_b32_e32 v0, 1, v0
	s_branch .LBB103_17
.LBB103_22:
	global_load_dwordx2 v[4:5], v[10:11], off
	s_and_saveexec_b64 s[12:13], s[4:5]
	s_cbranch_execz .LBB103_25
; %bb.23:
	v_mov_b32_e32 v8, 0
	global_load_dwordx2 v[6:7], v8, s[10:11] offset:40
	global_load_dwordx2 v[10:11], v8, s[10:11] offset:24 glc
	global_load_dwordx2 v[12:13], v8, s[10:11]
	v_mov_b32_e32 v1, s7
	s_mov_b64 s[4:5], 0
	s_waitcnt vmcnt(2)
	v_add_co_u32_e32 v3, vcc, 1, v6
	v_addc_co_u32_e32 v9, vcc, 0, v7, vcc
	v_add_co_u32_e32 v0, vcc, s6, v3
	v_addc_co_u32_e32 v1, vcc, v9, v1, vcc
	v_cmp_eq_u64_e32 vcc, 0, v[0:1]
	v_cndmask_b32_e32 v1, v1, v9, vcc
	v_cndmask_b32_e32 v0, v0, v3, vcc
	v_and_b32_e32 v3, v1, v7
	v_and_b32_e32 v6, v0, v6
	v_mul_lo_u32 v3, v3, 24
	v_mul_hi_u32 v7, v6, 24
	v_mul_lo_u32 v6, v6, 24
	v_add_u32_e32 v3, v7, v3
	s_waitcnt vmcnt(0)
	v_add_co_u32_e32 v6, vcc, v12, v6
	v_addc_co_u32_e32 v7, vcc, v13, v3, vcc
	v_mov_b32_e32 v2, v10
	global_store_dwordx2 v[6:7], v[10:11], off
	v_mov_b32_e32 v3, v11
	buffer_wbl2
	s_waitcnt vmcnt(0)
	global_atomic_cmpswap_x2 v[2:3], v8, v[0:3], s[10:11] offset:24 glc
	s_waitcnt vmcnt(0)
	v_cmp_ne_u64_e32 vcc, v[2:3], v[10:11]
	s_and_b64 exec, exec, vcc
	s_cbranch_execz .LBB103_25
.LBB103_24:                             ; =>This Inner Loop Header: Depth=1
	s_sleep 1
	global_store_dwordx2 v[6:7], v[2:3], off
	buffer_wbl2
	s_waitcnt vmcnt(0)
	global_atomic_cmpswap_x2 v[10:11], v8, v[0:3], s[10:11] offset:24 glc
	s_waitcnt vmcnt(0)
	v_cmp_eq_u64_e32 vcc, v[10:11], v[2:3]
	s_or_b64 s[4:5], vcc, s[4:5]
	v_pk_mov_b32 v[2:3], v[10:11], v[10:11] op_sel:[0,1]
	s_andn2_b64 exec, exec, s[4:5]
	s_cbranch_execnz .LBB103_24
.LBB103_25:
	s_or_b64 exec, exec, s[12:13]
	v_lshrrev_b32_e64 v1, 6, s33
	s_mov_b64 s[4:5], 0
.LBB103_26:                             ; =>This Inner Loop Header: Depth=1
	buffer_load_ubyte v2, v1, s[0:3], 0 offen
	v_add_u32_e32 v0, 1, v1
	v_mov_b32_e32 v1, v0
	s_waitcnt vmcnt(0)
	v_cmp_eq_u16_e32 vcc, 0, v2
	s_or_b64 s[4:5], vcc, s[4:5]
	s_andn2_b64 exec, exec, s[4:5]
	s_cbranch_execnz .LBB103_26
; %bb.27:
	s_or_b64 exec, exec, s[4:5]
	v_lshrrev_b32_e64 v29, 6, s33
	v_cmp_ne_u32_e32 vcc, -1, v29
	s_cbranch_vccz .LBB103_112
; %bb.28:
	v_lshrrev_b32_e64 v1, 6, s33
	v_subrev_u32_e32 v26, v1, v0
	v_ashrrev_i32_e32 v27, 31, v26
	v_and_b32_e32 v28, 2, v4
	v_mov_b32_e32 v31, 0
	v_and_b32_e32 v0, -3, v4
	v_mov_b32_e32 v1, v5
	s_mov_b64 s[12:13], 0
	s_mov_b32 s20, 0
	s_movk_i32 s21, 0xff1f
	v_mov_b32_e32 v8, 2
	v_mov_b32_e32 v9, 1
	s_branch .LBB103_30
.LBB103_29:                             ;   in Loop: Header=BB103_30 Depth=1
	s_or_b64 exec, exec, s[6:7]
	v_sub_co_u32_e32 v26, vcc, v26, v36
	v_subb_co_u32_e32 v27, vcc, v27, v37, vcc
	v_cmp_eq_u64_e32 vcc, 0, v[26:27]
	s_or_b64 s[12:13], vcc, s[12:13]
	v_add_u32_e32 v29, v29, v36
	s_andn2_b64 exec, exec, s[12:13]
	s_cbranch_execz .LBB103_113
.LBB103_30:                             ; =>This Loop Header: Depth=1
                                        ;     Child Loop BB103_33 Depth 2
                                        ;     Child Loop BB103_41 Depth 2
	;; [unrolled: 1-line block ×11, first 2 shown]
	v_cmp_gt_u64_e32 vcc, 56, v[26:27]
	v_cndmask_b32_e32 v36, 56, v26, vcc
	v_cmp_gt_u64_e64 s[4:5], 8, v[26:27]
                                        ; implicit-def: $vgpr2_vgpr3
                                        ; implicit-def: $sgpr14
	s_and_saveexec_b64 s[6:7], s[4:5]
	s_xor_b64 s[6:7], exec, s[6:7]
	s_cbranch_execz .LBB103_36
; %bb.31:                               ;   in Loop: Header=BB103_30 Depth=1
	s_mov_b64 s[16:17], 0
	v_cmp_ne_u64_e64 s[4:5], 0, v[26:27]
	s_waitcnt vmcnt(0)
	v_pk_mov_b32 v[2:3], 0, 0
	s_and_saveexec_b64 s[14:15], s[4:5]
	s_cbranch_execz .LBB103_35
; %bb.32:                               ;   in Loop: Header=BB103_30 Depth=1
	s_mov_b32 s22, 0
	v_pk_mov_b32 v[2:3], 0, 0
	s_mov_b64 s[18:19], 0
.LBB103_33:                             ;   Parent Loop BB103_30 Depth=1
                                        ; =>  This Inner Loop Header: Depth=2
	v_add_u32_e32 v6, s22, v29
	buffer_load_ubyte v6, v6, s[0:3], 0 offen
	v_mov_b32_e32 v7, s20
	s_add_i32 s22, s22, 1
	v_cmp_eq_u32_e64 s[4:5], s22, v36
	s_waitcnt vmcnt(0)
	v_and_b32_e32 v6, 0xffff, v6
	v_lshlrev_b64 v[6:7], s18, v[6:7]
	s_add_u32 s18, s18, 8
	s_addc_u32 s19, s19, 0
	v_or_b32_e32 v3, v7, v3
	s_or_b64 s[16:17], s[4:5], s[16:17]
	v_or_b32_e32 v2, v6, v2
	s_andn2_b64 exec, exec, s[16:17]
	s_cbranch_execnz .LBB103_33
; %bb.34:                               ;   in Loop: Header=BB103_30 Depth=1
	s_or_b64 exec, exec, s[16:17]
.LBB103_35:                             ;   in Loop: Header=BB103_30 Depth=1
	s_or_b64 exec, exec, s[14:15]
	s_mov_b32 s14, 0
.LBB103_36:                             ;   in Loop: Header=BB103_30 Depth=1
	s_or_saveexec_b64 s[4:5], s[6:7]
	v_mov_b32_e32 v7, s14
	v_mov_b32_e32 v6, v29
	s_xor_b64 exec, exec, s[4:5]
	s_cbranch_execz .LBB103_38
; %bb.37:                               ;   in Loop: Header=BB103_30 Depth=1
	buffer_load_dword v2, v29, s[0:3], 0 offen offset:4
	buffer_load_dword v3, v29, s[0:3], 0 offen
	v_add_u32_e32 v7, -8, v36
	s_waitcnt vmcnt(1)
	v_and_b32_e32 v6, 0xff, v2
	v_and_b32_e32 v10, 0xff00, v2
	s_waitcnt vmcnt(0)
	v_or3_b32 v3, v3, 0, 0
	v_and_b32_e32 v11, 0xff0000, v2
	v_and_b32_e32 v12, 0xff000000, v2
	v_or3_b32 v6, 0, v6, v10
	v_or3_b32 v2, v3, 0, 0
	;; [unrolled: 1-line block ×3, first 2 shown]
	v_add_u32_e32 v6, 8, v29
.LBB103_38:                             ;   in Loop: Header=BB103_30 Depth=1
	s_or_b64 exec, exec, s[4:5]
	v_cmp_gt_u32_e64 s[4:5], 8, v7
                                        ; implicit-def: $vgpr10_vgpr11
                                        ; implicit-def: $sgpr14
	s_and_saveexec_b64 s[6:7], s[4:5]
	s_xor_b64 s[6:7], exec, s[6:7]
	s_cbranch_execz .LBB103_44
; %bb.39:                               ;   in Loop: Header=BB103_30 Depth=1
	v_cmp_ne_u32_e64 s[4:5], 0, v7
	v_pk_mov_b32 v[10:11], 0, 0
	s_and_saveexec_b64 s[14:15], s[4:5]
	s_cbranch_execz .LBB103_43
; %bb.40:                               ;   in Loop: Header=BB103_30 Depth=1
	s_mov_b32 s22, 0
	s_mov_b64 s[16:17], 0
	v_pk_mov_b32 v[10:11], 0, 0
	s_mov_b64 s[18:19], 0
.LBB103_41:                             ;   Parent Loop BB103_30 Depth=1
                                        ; =>  This Inner Loop Header: Depth=2
	v_add_u32_e32 v12, s22, v6
	buffer_load_ubyte v12, v12, s[0:3], 0 offen
	v_mov_b32_e32 v13, s20
	s_add_i32 s22, s22, 1
	v_cmp_eq_u32_e64 s[4:5], s22, v7
	s_waitcnt vmcnt(0)
	v_and_b32_e32 v12, 0xffff, v12
	v_lshlrev_b64 v[12:13], s18, v[12:13]
	s_add_u32 s18, s18, 8
	s_addc_u32 s19, s19, 0
	v_or_b32_e32 v11, v13, v11
	s_or_b64 s[16:17], s[4:5], s[16:17]
	v_or_b32_e32 v10, v12, v10
	s_andn2_b64 exec, exec, s[16:17]
	s_cbranch_execnz .LBB103_41
; %bb.42:                               ;   in Loop: Header=BB103_30 Depth=1
	s_or_b64 exec, exec, s[16:17]
.LBB103_43:                             ;   in Loop: Header=BB103_30 Depth=1
	s_or_b64 exec, exec, s[14:15]
	s_mov_b32 s14, 0
                                        ; implicit-def: $vgpr7
.LBB103_44:                             ;   in Loop: Header=BB103_30 Depth=1
	s_or_saveexec_b64 s[4:5], s[6:7]
	v_mov_b32_e32 v14, s14
	s_xor_b64 exec, exec, s[4:5]
	s_cbranch_execz .LBB103_46
; %bb.45:                               ;   in Loop: Header=BB103_30 Depth=1
	buffer_load_dword v10, v6, s[0:3], 0 offen offset:4
	buffer_load_dword v11, v6, s[0:3], 0 offen
	v_add_u32_e32 v14, -8, v7
	v_add_u32_e32 v6, 8, v6
	s_waitcnt vmcnt(1)
	v_and_b32_e32 v7, 0xff, v10
	v_and_b32_e32 v12, 0xff00, v10
	s_waitcnt vmcnt(0)
	v_or3_b32 v11, v11, 0, 0
	v_and_b32_e32 v13, 0xff0000, v10
	v_and_b32_e32 v15, 0xff000000, v10
	v_or3_b32 v7, 0, v7, v12
	v_or3_b32 v10, v11, 0, 0
	;; [unrolled: 1-line block ×3, first 2 shown]
.LBB103_46:                             ;   in Loop: Header=BB103_30 Depth=1
	s_or_b64 exec, exec, s[4:5]
	v_cmp_gt_u32_e64 s[4:5], 8, v14
                                        ; implicit-def: $sgpr14
	s_and_saveexec_b64 s[6:7], s[4:5]
	s_xor_b64 s[6:7], exec, s[6:7]
	s_cbranch_execz .LBB103_52
; %bb.47:                               ;   in Loop: Header=BB103_30 Depth=1
	v_cmp_ne_u32_e64 s[4:5], 0, v14
	v_pk_mov_b32 v[12:13], 0, 0
	s_and_saveexec_b64 s[14:15], s[4:5]
	s_cbranch_execz .LBB103_51
; %bb.48:                               ;   in Loop: Header=BB103_30 Depth=1
	s_mov_b32 s22, 0
	s_mov_b64 s[16:17], 0
	v_pk_mov_b32 v[12:13], 0, 0
	s_mov_b64 s[18:19], 0
.LBB103_49:                             ;   Parent Loop BB103_30 Depth=1
                                        ; =>  This Inner Loop Header: Depth=2
	v_add_u32_e32 v7, s22, v6
	buffer_load_ubyte v7, v7, s[0:3], 0 offen
	v_mov_b32_e32 v17, s20
	s_add_i32 s22, s22, 1
	v_cmp_eq_u32_e64 s[4:5], s22, v14
	s_waitcnt vmcnt(0)
	v_and_b32_e32 v16, 0xffff, v7
	v_lshlrev_b64 v[16:17], s18, v[16:17]
	s_add_u32 s18, s18, 8
	s_addc_u32 s19, s19, 0
	v_or_b32_e32 v13, v17, v13
	s_or_b64 s[16:17], s[4:5], s[16:17]
	v_or_b32_e32 v12, v16, v12
	s_andn2_b64 exec, exec, s[16:17]
	s_cbranch_execnz .LBB103_49
; %bb.50:                               ;   in Loop: Header=BB103_30 Depth=1
	s_or_b64 exec, exec, s[16:17]
.LBB103_51:                             ;   in Loop: Header=BB103_30 Depth=1
	s_or_b64 exec, exec, s[14:15]
	s_mov_b32 s14, 0
                                        ; implicit-def: $vgpr14
.LBB103_52:                             ;   in Loop: Header=BB103_30 Depth=1
	s_or_saveexec_b64 s[4:5], s[6:7]
	v_mov_b32_e32 v7, s14
	s_xor_b64 exec, exec, s[4:5]
	s_cbranch_execz .LBB103_54
; %bb.53:                               ;   in Loop: Header=BB103_30 Depth=1
	buffer_load_dword v12, v6, s[0:3], 0 offen offset:4
	buffer_load_dword v13, v6, s[0:3], 0 offen
	v_add_u32_e32 v7, -8, v14
	v_add_u32_e32 v6, 8, v6
	s_waitcnt vmcnt(1)
	v_and_b32_e32 v14, 0xff, v12
	v_and_b32_e32 v15, 0xff00, v12
	s_waitcnt vmcnt(0)
	v_or3_b32 v13, v13, 0, 0
	v_and_b32_e32 v16, 0xff0000, v12
	v_and_b32_e32 v17, 0xff000000, v12
	v_or3_b32 v14, 0, v14, v15
	v_or3_b32 v12, v13, 0, 0
	;; [unrolled: 1-line block ×3, first 2 shown]
.LBB103_54:                             ;   in Loop: Header=BB103_30 Depth=1
	s_or_b64 exec, exec, s[4:5]
	v_cmp_gt_u32_e64 s[4:5], 8, v7
                                        ; implicit-def: $vgpr14_vgpr15
                                        ; implicit-def: $sgpr14
	s_and_saveexec_b64 s[6:7], s[4:5]
	s_xor_b64 s[6:7], exec, s[6:7]
	s_cbranch_execz .LBB103_60
; %bb.55:                               ;   in Loop: Header=BB103_30 Depth=1
	v_cmp_ne_u32_e64 s[4:5], 0, v7
	v_pk_mov_b32 v[14:15], 0, 0
	s_and_saveexec_b64 s[14:15], s[4:5]
	s_cbranch_execz .LBB103_59
; %bb.56:                               ;   in Loop: Header=BB103_30 Depth=1
	s_mov_b32 s22, 0
	s_mov_b64 s[16:17], 0
	v_pk_mov_b32 v[14:15], 0, 0
	s_mov_b64 s[18:19], 0
.LBB103_57:                             ;   Parent Loop BB103_30 Depth=1
                                        ; =>  This Inner Loop Header: Depth=2
	v_add_u32_e32 v16, s22, v6
	buffer_load_ubyte v16, v16, s[0:3], 0 offen
	v_mov_b32_e32 v17, s20
	s_add_i32 s22, s22, 1
	v_cmp_eq_u32_e64 s[4:5], s22, v7
	s_waitcnt vmcnt(0)
	v_and_b32_e32 v16, 0xffff, v16
	v_lshlrev_b64 v[16:17], s18, v[16:17]
	s_add_u32 s18, s18, 8
	s_addc_u32 s19, s19, 0
	v_or_b32_e32 v15, v17, v15
	s_or_b64 s[16:17], s[4:5], s[16:17]
	v_or_b32_e32 v14, v16, v14
	s_andn2_b64 exec, exec, s[16:17]
	s_cbranch_execnz .LBB103_57
; %bb.58:                               ;   in Loop: Header=BB103_30 Depth=1
	s_or_b64 exec, exec, s[16:17]
.LBB103_59:                             ;   in Loop: Header=BB103_30 Depth=1
	s_or_b64 exec, exec, s[14:15]
	s_mov_b32 s14, 0
                                        ; implicit-def: $vgpr7
.LBB103_60:                             ;   in Loop: Header=BB103_30 Depth=1
	s_or_saveexec_b64 s[4:5], s[6:7]
	v_mov_b32_e32 v18, s14
	s_xor_b64 exec, exec, s[4:5]
	s_cbranch_execz .LBB103_62
; %bb.61:                               ;   in Loop: Header=BB103_30 Depth=1
	buffer_load_dword v14, v6, s[0:3], 0 offen offset:4
	buffer_load_dword v15, v6, s[0:3], 0 offen
	v_add_u32_e32 v18, -8, v7
	v_add_u32_e32 v6, 8, v6
	s_waitcnt vmcnt(1)
	v_and_b32_e32 v7, 0xff, v14
	v_and_b32_e32 v16, 0xff00, v14
	s_waitcnt vmcnt(0)
	v_or3_b32 v15, v15, 0, 0
	v_and_b32_e32 v17, 0xff0000, v14
	v_and_b32_e32 v19, 0xff000000, v14
	v_or3_b32 v7, 0, v7, v16
	v_or3_b32 v14, v15, 0, 0
	;; [unrolled: 1-line block ×3, first 2 shown]
.LBB103_62:                             ;   in Loop: Header=BB103_30 Depth=1
	s_or_b64 exec, exec, s[4:5]
	v_cmp_gt_u32_e64 s[4:5], 8, v18
                                        ; implicit-def: $sgpr14
	s_and_saveexec_b64 s[6:7], s[4:5]
	s_xor_b64 s[6:7], exec, s[6:7]
	s_cbranch_execz .LBB103_68
; %bb.63:                               ;   in Loop: Header=BB103_30 Depth=1
	v_cmp_ne_u32_e64 s[4:5], 0, v18
	v_pk_mov_b32 v[16:17], 0, 0
	s_and_saveexec_b64 s[14:15], s[4:5]
	s_cbranch_execz .LBB103_67
; %bb.64:                               ;   in Loop: Header=BB103_30 Depth=1
	s_mov_b32 s22, 0
	s_mov_b64 s[16:17], 0
	v_pk_mov_b32 v[16:17], 0, 0
	s_mov_b64 s[18:19], 0
.LBB103_65:                             ;   Parent Loop BB103_30 Depth=1
                                        ; =>  This Inner Loop Header: Depth=2
	v_add_u32_e32 v7, s22, v6
	buffer_load_ubyte v7, v7, s[0:3], 0 offen
	v_mov_b32_e32 v21, s20
	s_add_i32 s22, s22, 1
	v_cmp_eq_u32_e64 s[4:5], s22, v18
	s_waitcnt vmcnt(0)
	v_and_b32_e32 v20, 0xffff, v7
	v_lshlrev_b64 v[20:21], s18, v[20:21]
	s_add_u32 s18, s18, 8
	s_addc_u32 s19, s19, 0
	v_or_b32_e32 v17, v21, v17
	s_or_b64 s[16:17], s[4:5], s[16:17]
	v_or_b32_e32 v16, v20, v16
	s_andn2_b64 exec, exec, s[16:17]
	s_cbranch_execnz .LBB103_65
; %bb.66:                               ;   in Loop: Header=BB103_30 Depth=1
	s_or_b64 exec, exec, s[16:17]
.LBB103_67:                             ;   in Loop: Header=BB103_30 Depth=1
	s_or_b64 exec, exec, s[14:15]
	s_mov_b32 s14, 0
                                        ; implicit-def: $vgpr18
.LBB103_68:                             ;   in Loop: Header=BB103_30 Depth=1
	s_or_saveexec_b64 s[4:5], s[6:7]
	v_mov_b32_e32 v7, s14
	s_xor_b64 exec, exec, s[4:5]
	s_cbranch_execz .LBB103_70
; %bb.69:                               ;   in Loop: Header=BB103_30 Depth=1
	buffer_load_dword v16, v6, s[0:3], 0 offen offset:4
	buffer_load_dword v17, v6, s[0:3], 0 offen
	v_add_u32_e32 v7, -8, v18
	v_add_u32_e32 v6, 8, v6
	s_waitcnt vmcnt(1)
	v_and_b32_e32 v18, 0xff, v16
	v_and_b32_e32 v19, 0xff00, v16
	s_waitcnt vmcnt(0)
	v_or3_b32 v17, v17, 0, 0
	v_and_b32_e32 v20, 0xff0000, v16
	v_and_b32_e32 v21, 0xff000000, v16
	v_or3_b32 v18, 0, v18, v19
	v_or3_b32 v16, v17, 0, 0
	;; [unrolled: 1-line block ×3, first 2 shown]
.LBB103_70:                             ;   in Loop: Header=BB103_30 Depth=1
	s_or_b64 exec, exec, s[4:5]
	v_cmp_gt_u32_e64 s[4:5], 8, v7
                                        ; implicit-def: $vgpr18_vgpr19
                                        ; implicit-def: $sgpr14
	s_and_saveexec_b64 s[6:7], s[4:5]
	s_xor_b64 s[6:7], exec, s[6:7]
	s_cbranch_execz .LBB103_76
; %bb.71:                               ;   in Loop: Header=BB103_30 Depth=1
	v_cmp_ne_u32_e64 s[4:5], 0, v7
	v_pk_mov_b32 v[18:19], 0, 0
	s_and_saveexec_b64 s[14:15], s[4:5]
	s_cbranch_execz .LBB103_75
; %bb.72:                               ;   in Loop: Header=BB103_30 Depth=1
	s_mov_b32 s22, 0
	s_mov_b64 s[16:17], 0
	v_pk_mov_b32 v[18:19], 0, 0
	s_mov_b64 s[18:19], 0
.LBB103_73:                             ;   Parent Loop BB103_30 Depth=1
                                        ; =>  This Inner Loop Header: Depth=2
	v_add_u32_e32 v20, s22, v6
	buffer_load_ubyte v20, v20, s[0:3], 0 offen
	v_mov_b32_e32 v21, s20
	s_add_i32 s22, s22, 1
	v_cmp_eq_u32_e64 s[4:5], s22, v7
	s_waitcnt vmcnt(0)
	v_and_b32_e32 v20, 0xffff, v20
	v_lshlrev_b64 v[20:21], s18, v[20:21]
	s_add_u32 s18, s18, 8
	s_addc_u32 s19, s19, 0
	v_or_b32_e32 v19, v21, v19
	s_or_b64 s[16:17], s[4:5], s[16:17]
	v_or_b32_e32 v18, v20, v18
	s_andn2_b64 exec, exec, s[16:17]
	s_cbranch_execnz .LBB103_73
; %bb.74:                               ;   in Loop: Header=BB103_30 Depth=1
	s_or_b64 exec, exec, s[16:17]
.LBB103_75:                             ;   in Loop: Header=BB103_30 Depth=1
	s_or_b64 exec, exec, s[14:15]
	s_mov_b32 s14, 0
                                        ; implicit-def: $vgpr7
.LBB103_76:                             ;   in Loop: Header=BB103_30 Depth=1
	s_or_saveexec_b64 s[4:5], s[6:7]
	v_mov_b32_e32 v22, s14
	s_xor_b64 exec, exec, s[4:5]
	s_cbranch_execz .LBB103_78
; %bb.77:                               ;   in Loop: Header=BB103_30 Depth=1
	buffer_load_dword v18, v6, s[0:3], 0 offen offset:4
	buffer_load_dword v19, v6, s[0:3], 0 offen
	v_add_u32_e32 v22, -8, v7
	v_add_u32_e32 v6, 8, v6
	s_waitcnt vmcnt(1)
	v_and_b32_e32 v7, 0xff, v18
	v_and_b32_e32 v20, 0xff00, v18
	s_waitcnt vmcnt(0)
	v_or3_b32 v19, v19, 0, 0
	v_and_b32_e32 v21, 0xff0000, v18
	v_and_b32_e32 v23, 0xff000000, v18
	v_or3_b32 v7, 0, v7, v20
	v_or3_b32 v18, v19, 0, 0
	;; [unrolled: 1-line block ×3, first 2 shown]
.LBB103_78:                             ;   in Loop: Header=BB103_30 Depth=1
	s_or_b64 exec, exec, s[4:5]
	v_cmp_gt_u32_e64 s[4:5], 8, v22
	s_and_saveexec_b64 s[6:7], s[4:5]
	s_xor_b64 s[6:7], exec, s[6:7]
	s_cbranch_execz .LBB103_84
; %bb.79:                               ;   in Loop: Header=BB103_30 Depth=1
	v_cmp_ne_u32_e64 s[4:5], 0, v22
	v_pk_mov_b32 v[20:21], 0, 0
	s_and_saveexec_b64 s[14:15], s[4:5]
	s_cbranch_execz .LBB103_83
; %bb.80:                               ;   in Loop: Header=BB103_30 Depth=1
	s_mov_b64 s[16:17], 0
	v_pk_mov_b32 v[20:21], 0, 0
	s_mov_b64 s[18:19], 0
.LBB103_81:                             ;   Parent Loop BB103_30 Depth=1
                                        ; =>  This Inner Loop Header: Depth=2
	buffer_load_ubyte v7, v6, s[0:3], 0 offen
	v_mov_b32_e32 v25, s20
	v_add_u32_e32 v22, -1, v22
	v_cmp_eq_u32_e64 s[4:5], 0, v22
	v_add_u32_e32 v6, 1, v6
	s_waitcnt vmcnt(0)
	v_and_b32_e32 v24, 0xffff, v7
	v_lshlrev_b64 v[24:25], s18, v[24:25]
	s_add_u32 s18, s18, 8
	s_addc_u32 s19, s19, 0
	v_or_b32_e32 v21, v25, v21
	s_or_b64 s[16:17], s[4:5], s[16:17]
	v_or_b32_e32 v20, v24, v20
	s_andn2_b64 exec, exec, s[16:17]
	s_cbranch_execnz .LBB103_81
; %bb.82:                               ;   in Loop: Header=BB103_30 Depth=1
	s_or_b64 exec, exec, s[16:17]
.LBB103_83:                             ;   in Loop: Header=BB103_30 Depth=1
	s_or_b64 exec, exec, s[14:15]
                                        ; implicit-def: $vgpr6
.LBB103_84:                             ;   in Loop: Header=BB103_30 Depth=1
	s_andn2_saveexec_b64 s[4:5], s[6:7]
	s_cbranch_execz .LBB103_86
; %bb.85:                               ;   in Loop: Header=BB103_30 Depth=1
	buffer_load_dword v7, v6, s[0:3], 0 offen offset:4
	buffer_load_dword v20, v6, s[0:3], 0 offen
	s_waitcnt vmcnt(1)
	v_and_b32_e32 v6, 0xff, v7
	v_and_b32_e32 v21, 0xff00, v7
	s_waitcnt vmcnt(0)
	v_or3_b32 v20, v20, 0, 0
	v_and_b32_e32 v22, 0xff0000, v7
	v_and_b32_e32 v7, 0xff000000, v7
	v_or3_b32 v6, 0, v6, v21
	v_or3_b32 v21, v6, v22, v7
	;; [unrolled: 1-line block ×3, first 2 shown]
.LBB103_86:                             ;   in Loop: Header=BB103_30 Depth=1
	s_or_b64 exec, exec, s[4:5]
	v_readfirstlane_b32 s4, v35
	v_cmp_eq_u32_e64 s[4:5], s4, v35
	v_pk_mov_b32 v[6:7], 0, 0
	s_and_saveexec_b64 s[14:15], s[4:5]
	s_cbranch_execz .LBB103_92
; %bb.87:                               ;   in Loop: Header=BB103_30 Depth=1
	global_load_dwordx2 v[24:25], v31, s[10:11] offset:24 glc
	s_waitcnt vmcnt(0)
	buffer_invl2
	buffer_wbinvl1_vol
	global_load_dwordx2 v[6:7], v31, s[10:11] offset:40
	global_load_dwordx2 v[22:23], v31, s[10:11]
	s_waitcnt vmcnt(1)
	v_and_b32_e32 v6, v6, v24
	v_and_b32_e32 v7, v7, v25
	v_mul_lo_u32 v7, v7, 24
	v_mul_hi_u32 v30, v6, 24
	v_mul_lo_u32 v6, v6, 24
	v_add_u32_e32 v7, v30, v7
	s_waitcnt vmcnt(0)
	v_add_co_u32_e64 v6, s[6:7], v22, v6
	v_addc_co_u32_e64 v7, s[6:7], v23, v7, s[6:7]
	global_load_dwordx2 v[22:23], v[6:7], off glc
	s_waitcnt vmcnt(0)
	global_atomic_cmpswap_x2 v[6:7], v31, v[22:25], s[10:11] offset:24 glc
	s_waitcnt vmcnt(0)
	buffer_invl2
	buffer_wbinvl1_vol
	v_cmp_ne_u64_e64 s[6:7], v[6:7], v[24:25]
	s_and_saveexec_b64 s[16:17], s[6:7]
	s_cbranch_execz .LBB103_91
; %bb.88:                               ;   in Loop: Header=BB103_30 Depth=1
	s_mov_b64 s[18:19], 0
.LBB103_89:                             ;   Parent Loop BB103_30 Depth=1
                                        ; =>  This Inner Loop Header: Depth=2
	s_sleep 1
	global_load_dwordx2 v[22:23], v31, s[10:11] offset:40
	global_load_dwordx2 v[32:33], v31, s[10:11]
	v_pk_mov_b32 v[24:25], v[6:7], v[6:7] op_sel:[0,1]
	s_waitcnt vmcnt(1)
	v_and_b32_e32 v6, v22, v24
	s_waitcnt vmcnt(0)
	v_mad_u64_u32 v[6:7], s[6:7], v6, 24, v[32:33]
	v_and_b32_e32 v23, v23, v25
	v_mov_b32_e32 v22, v7
	v_mad_u64_u32 v[22:23], s[6:7], v23, 24, v[22:23]
	v_mov_b32_e32 v7, v22
	global_load_dwordx2 v[22:23], v[6:7], off glc
	s_waitcnt vmcnt(0)
	global_atomic_cmpswap_x2 v[6:7], v31, v[22:25], s[10:11] offset:24 glc
	s_waitcnt vmcnt(0)
	buffer_invl2
	buffer_wbinvl1_vol
	v_cmp_eq_u64_e64 s[6:7], v[6:7], v[24:25]
	s_or_b64 s[18:19], s[6:7], s[18:19]
	s_andn2_b64 exec, exec, s[18:19]
	s_cbranch_execnz .LBB103_89
; %bb.90:                               ;   in Loop: Header=BB103_30 Depth=1
	s_or_b64 exec, exec, s[18:19]
.LBB103_91:                             ;   in Loop: Header=BB103_30 Depth=1
	s_or_b64 exec, exec, s[16:17]
.LBB103_92:                             ;   in Loop: Header=BB103_30 Depth=1
	s_or_b64 exec, exec, s[14:15]
	global_load_dwordx2 v[32:33], v31, s[10:11] offset:40
	global_load_dwordx4 v[22:25], v31, s[10:11]
	v_readfirstlane_b32 s14, v6
	v_readfirstlane_b32 s15, v7
	s_mov_b64 s[16:17], exec
	s_waitcnt vmcnt(1)
	v_readfirstlane_b32 s6, v32
	v_readfirstlane_b32 s7, v33
	s_and_b64 s[18:19], s[14:15], s[6:7]
	s_mul_i32 s6, s19, 24
	s_mul_hi_u32 s7, s18, 24
	s_mul_i32 s22, s18, 24
	s_add_i32 s6, s7, s6
	v_mov_b32_e32 v6, s6
	s_waitcnt vmcnt(0)
	v_add_co_u32_e64 v32, s[6:7], s22, v22
	v_addc_co_u32_e64 v33, s[6:7], v23, v6, s[6:7]
	s_and_saveexec_b64 s[6:7], s[4:5]
	s_cbranch_execz .LBB103_94
; %bb.93:                               ;   in Loop: Header=BB103_30 Depth=1
	v_pk_mov_b32 v[6:7], s[16:17], s[16:17] op_sel:[0,1]
	global_store_dwordx4 v[32:33], v[6:9], off offset:8
.LBB103_94:                             ;   in Loop: Header=BB103_30 Depth=1
	s_or_b64 exec, exec, s[6:7]
	s_lshl_b64 s[6:7], s[18:19], 12
	v_cndmask_b32_e32 v37, 0, v27, vcc
	v_mov_b32_e32 v7, s7
	v_add_co_u32_e32 v6, vcc, s6, v24
	v_addc_co_u32_e32 v7, vcc, v25, v7, vcc
	v_or_b32_e32 v24, 0, v1
	v_cmp_lt_u64_e32 vcc, 56, v[26:27]
	v_or_b32_e32 v25, v0, v28
	v_cndmask_b32_e32 v1, v24, v1, vcc
	v_lshl_add_u32 v24, v36, 2, 28
	v_cndmask_b32_e32 v0, v25, v0, vcc
	v_and_b32_e32 v24, 0x1e0, v24
	v_and_or_b32 v0, v0, s21, v24
	v_readfirstlane_b32 s6, v6
	v_readfirstlane_b32 s7, v7
	s_nop 4
	global_store_dwordx4 v34, v[0:3], s[6:7]
	global_store_dwordx4 v34, v[10:13], s[6:7] offset:16
	global_store_dwordx4 v34, v[14:17], s[6:7] offset:32
	;; [unrolled: 1-line block ×3, first 2 shown]
	s_and_saveexec_b64 s[6:7], s[4:5]
	s_cbranch_execz .LBB103_102
; %bb.95:                               ;   in Loop: Header=BB103_30 Depth=1
	global_load_dwordx2 v[14:15], v31, s[10:11] offset:32 glc
	global_load_dwordx2 v[0:1], v31, s[10:11] offset:40
	v_mov_b32_e32 v12, s14
	v_mov_b32_e32 v13, s15
	s_waitcnt vmcnt(0)
	v_readfirstlane_b32 s16, v0
	v_readfirstlane_b32 s17, v1
	s_and_b64 s[16:17], s[16:17], s[14:15]
	s_mul_i32 s17, s17, 24
	s_mul_hi_u32 s18, s16, 24
	s_mul_i32 s16, s16, 24
	s_add_i32 s17, s18, s17
	v_mov_b32_e32 v0, s17
	v_add_co_u32_e32 v10, vcc, s16, v22
	v_addc_co_u32_e32 v11, vcc, v23, v0, vcc
	global_store_dwordx2 v[10:11], v[14:15], off
	buffer_wbl2
	s_waitcnt vmcnt(0)
	global_atomic_cmpswap_x2 v[2:3], v31, v[12:15], s[10:11] offset:32 glc
	s_waitcnt vmcnt(0)
	v_cmp_ne_u64_e32 vcc, v[2:3], v[14:15]
	s_and_saveexec_b64 s[16:17], vcc
	s_cbranch_execz .LBB103_98
; %bb.96:                               ;   in Loop: Header=BB103_30 Depth=1
	s_mov_b64 s[18:19], 0
.LBB103_97:                             ;   Parent Loop BB103_30 Depth=1
                                        ; =>  This Inner Loop Header: Depth=2
	s_sleep 1
	global_store_dwordx2 v[10:11], v[2:3], off
	v_mov_b32_e32 v0, s14
	v_mov_b32_e32 v1, s15
	buffer_wbl2
	s_waitcnt vmcnt(0)
	global_atomic_cmpswap_x2 v[0:1], v31, v[0:3], s[10:11] offset:32 glc
	s_waitcnt vmcnt(0)
	v_cmp_eq_u64_e32 vcc, v[0:1], v[2:3]
	s_or_b64 s[18:19], vcc, s[18:19]
	v_pk_mov_b32 v[2:3], v[0:1], v[0:1] op_sel:[0,1]
	s_andn2_b64 exec, exec, s[18:19]
	s_cbranch_execnz .LBB103_97
.LBB103_98:                             ;   in Loop: Header=BB103_30 Depth=1
	s_or_b64 exec, exec, s[16:17]
	global_load_dwordx2 v[0:1], v31, s[10:11] offset:16
	s_mov_b64 s[18:19], exec
	v_mbcnt_lo_u32_b32 v2, s18, 0
	v_mbcnt_hi_u32_b32 v2, s19, v2
	v_cmp_eq_u32_e32 vcc, 0, v2
	s_and_saveexec_b64 s[16:17], vcc
	s_cbranch_execz .LBB103_100
; %bb.99:                               ;   in Loop: Header=BB103_30 Depth=1
	s_bcnt1_i32_b64 s18, s[18:19]
	v_mov_b32_e32 v30, s18
	buffer_wbl2
	s_waitcnt vmcnt(0)
	global_atomic_add_x2 v[0:1], v[30:31], off offset:8
.LBB103_100:                            ;   in Loop: Header=BB103_30 Depth=1
	s_or_b64 exec, exec, s[16:17]
	s_waitcnt vmcnt(0)
	global_load_dwordx2 v[2:3], v[0:1], off offset:16
	s_waitcnt vmcnt(0)
	v_cmp_eq_u64_e32 vcc, 0, v[2:3]
	s_cbranch_vccnz .LBB103_102
; %bb.101:                              ;   in Loop: Header=BB103_30 Depth=1
	global_load_dword v30, v[0:1], off offset:24
	s_waitcnt vmcnt(0)
	v_and_b32_e32 v0, 0xffffff, v30
	v_readfirstlane_b32 m0, v0
	buffer_wbl2
	global_store_dwordx2 v[2:3], v[30:31], off
	s_sendmsg sendmsg(MSG_INTERRUPT)
.LBB103_102:                            ;   in Loop: Header=BB103_30 Depth=1
	s_or_b64 exec, exec, s[6:7]
	v_add_co_u32_e32 v0, vcc, v6, v34
	v_addc_co_u32_e32 v1, vcc, 0, v7, vcc
	s_branch .LBB103_106
.LBB103_103:                            ;   in Loop: Header=BB103_106 Depth=2
	s_or_b64 exec, exec, s[6:7]
	v_readfirstlane_b32 s6, v2
	s_cmp_eq_u32 s6, 0
	s_cbranch_scc1 .LBB103_105
; %bb.104:                              ;   in Loop: Header=BB103_106 Depth=2
	s_sleep 1
	s_cbranch_execnz .LBB103_106
	s_branch .LBB103_108
.LBB103_105:                            ;   in Loop: Header=BB103_30 Depth=1
	s_branch .LBB103_108
.LBB103_106:                            ;   Parent Loop BB103_30 Depth=1
                                        ; =>  This Inner Loop Header: Depth=2
	v_mov_b32_e32 v2, 1
	s_and_saveexec_b64 s[6:7], s[4:5]
	s_cbranch_execz .LBB103_103
; %bb.107:                              ;   in Loop: Header=BB103_106 Depth=2
	global_load_dword v2, v[32:33], off offset:20 glc
	s_waitcnt vmcnt(0)
	buffer_invl2
	buffer_wbinvl1_vol
	v_and_b32_e32 v2, 1, v2
	s_branch .LBB103_103
.LBB103_108:                            ;   in Loop: Header=BB103_30 Depth=1
	global_load_dwordx4 v[0:3], v[0:1], off
	s_and_saveexec_b64 s[6:7], s[4:5]
	s_cbranch_execz .LBB103_29
; %bb.109:                              ;   in Loop: Header=BB103_30 Depth=1
	global_load_dwordx2 v[2:3], v31, s[10:11] offset:40
	global_load_dwordx2 v[6:7], v31, s[10:11] offset:24 glc
	global_load_dwordx2 v[14:15], v31, s[10:11]
	v_mov_b32_e32 v11, s15
	s_waitcnt vmcnt(2)
	v_add_co_u32_e32 v13, vcc, 1, v2
	v_addc_co_u32_e32 v16, vcc, 0, v3, vcc
	v_add_co_u32_e32 v10, vcc, s14, v13
	v_addc_co_u32_e32 v11, vcc, v16, v11, vcc
	v_cmp_eq_u64_e32 vcc, 0, v[10:11]
	v_cndmask_b32_e32 v11, v11, v16, vcc
	v_cndmask_b32_e32 v10, v10, v13, vcc
	v_and_b32_e32 v3, v11, v3
	v_and_b32_e32 v2, v10, v2
	v_mul_lo_u32 v3, v3, 24
	v_mul_hi_u32 v13, v2, 24
	v_mul_lo_u32 v2, v2, 24
	v_add_u32_e32 v3, v13, v3
	s_waitcnt vmcnt(0)
	v_add_co_u32_e32 v2, vcc, v14, v2
	v_addc_co_u32_e32 v3, vcc, v15, v3, vcc
	v_mov_b32_e32 v12, v6
	global_store_dwordx2 v[2:3], v[6:7], off
	v_mov_b32_e32 v13, v7
	buffer_wbl2
	s_waitcnt vmcnt(0)
	global_atomic_cmpswap_x2 v[12:13], v31, v[10:13], s[10:11] offset:24 glc
	s_waitcnt vmcnt(0)
	v_cmp_ne_u64_e32 vcc, v[12:13], v[6:7]
	s_and_b64 exec, exec, vcc
	s_cbranch_execz .LBB103_29
; %bb.110:                              ;   in Loop: Header=BB103_30 Depth=1
	s_mov_b64 s[4:5], 0
.LBB103_111:                            ;   Parent Loop BB103_30 Depth=1
                                        ; =>  This Inner Loop Header: Depth=2
	s_sleep 1
	global_store_dwordx2 v[2:3], v[12:13], off
	buffer_wbl2
	s_waitcnt vmcnt(0)
	global_atomic_cmpswap_x2 v[6:7], v31, v[10:13], s[10:11] offset:24 glc
	s_waitcnt vmcnt(0)
	v_cmp_eq_u64_e32 vcc, v[6:7], v[12:13]
	s_or_b64 s[4:5], vcc, s[4:5]
	v_pk_mov_b32 v[12:13], v[6:7], v[6:7] op_sel:[0,1]
	s_andn2_b64 exec, exec, s[4:5]
	s_cbranch_execnz .LBB103_111
	s_branch .LBB103_29
.LBB103_112:
                                        ; implicit-def: $vgpr0_vgpr1
	s_cbranch_execnz .LBB103_114
	s_branch .LBB103_140
.LBB103_113:
	s_or_b64 exec, exec, s[12:13]
	s_branch .LBB103_140
.LBB103_114:
	v_readfirstlane_b32 s4, v35
	v_cmp_eq_u32_e64 s[4:5], s4, v35
	v_pk_mov_b32 v[8:9], 0, 0
	s_and_saveexec_b64 s[6:7], s[4:5]
	s_cbranch_execz .LBB103_120
; %bb.115:
	s_waitcnt vmcnt(0)
	v_mov_b32_e32 v0, 0
	global_load_dwordx2 v[10:11], v0, s[10:11] offset:24 glc
	s_waitcnt vmcnt(0)
	buffer_invl2
	buffer_wbinvl1_vol
	global_load_dwordx2 v[2:3], v0, s[10:11] offset:40
	global_load_dwordx2 v[6:7], v0, s[10:11]
	s_waitcnt vmcnt(1)
	v_and_b32_e32 v1, v2, v10
	v_and_b32_e32 v2, v3, v11
	v_mul_lo_u32 v2, v2, 24
	v_mul_hi_u32 v3, v1, 24
	v_mul_lo_u32 v1, v1, 24
	v_add_u32_e32 v3, v3, v2
	s_waitcnt vmcnt(0)
	v_add_co_u32_e32 v2, vcc, v6, v1
	v_addc_co_u32_e32 v3, vcc, v7, v3, vcc
	global_load_dwordx2 v[8:9], v[2:3], off glc
	s_waitcnt vmcnt(0)
	global_atomic_cmpswap_x2 v[8:9], v0, v[8:11], s[10:11] offset:24 glc
	s_waitcnt vmcnt(0)
	buffer_invl2
	buffer_wbinvl1_vol
	v_cmp_ne_u64_e32 vcc, v[8:9], v[10:11]
	s_and_saveexec_b64 s[12:13], vcc
	s_cbranch_execz .LBB103_119
; %bb.116:
	s_mov_b64 s[14:15], 0
.LBB103_117:                            ; =>This Inner Loop Header: Depth=1
	s_sleep 1
	global_load_dwordx2 v[2:3], v0, s[10:11] offset:40
	global_load_dwordx2 v[6:7], v0, s[10:11]
	v_pk_mov_b32 v[10:11], v[8:9], v[8:9] op_sel:[0,1]
	s_waitcnt vmcnt(1)
	v_and_b32_e32 v2, v2, v10
	v_and_b32_e32 v1, v3, v11
	s_waitcnt vmcnt(0)
	v_mad_u64_u32 v[2:3], s[16:17], v2, 24, v[6:7]
	v_mov_b32_e32 v6, v3
	v_mad_u64_u32 v[6:7], s[16:17], v1, 24, v[6:7]
	v_mov_b32_e32 v3, v6
	global_load_dwordx2 v[8:9], v[2:3], off glc
	s_waitcnt vmcnt(0)
	global_atomic_cmpswap_x2 v[8:9], v0, v[8:11], s[10:11] offset:24 glc
	s_waitcnt vmcnt(0)
	buffer_invl2
	buffer_wbinvl1_vol
	v_cmp_eq_u64_e32 vcc, v[8:9], v[10:11]
	s_or_b64 s[14:15], vcc, s[14:15]
	s_andn2_b64 exec, exec, s[14:15]
	s_cbranch_execnz .LBB103_117
; %bb.118:
	s_or_b64 exec, exec, s[14:15]
.LBB103_119:
	s_or_b64 exec, exec, s[12:13]
.LBB103_120:
	s_or_b64 exec, exec, s[6:7]
	v_mov_b32_e32 v6, 0
	global_load_dwordx2 v[10:11], v6, s[10:11] offset:40
	global_load_dwordx4 v[0:3], v6, s[10:11]
	v_readfirstlane_b32 s6, v8
	v_readfirstlane_b32 s7, v9
	s_mov_b64 s[12:13], exec
	s_waitcnt vmcnt(1)
	v_readfirstlane_b32 s14, v10
	v_readfirstlane_b32 s15, v11
	s_and_b64 s[14:15], s[6:7], s[14:15]
	s_mul_i32 s16, s15, 24
	s_mul_hi_u32 s17, s14, 24
	s_mul_i32 s18, s14, 24
	s_add_i32 s16, s17, s16
	v_mov_b32_e32 v7, s16
	s_waitcnt vmcnt(0)
	v_add_co_u32_e32 v8, vcc, s18, v0
	v_addc_co_u32_e32 v9, vcc, v1, v7, vcc
	s_and_saveexec_b64 s[16:17], s[4:5]
	s_cbranch_execz .LBB103_122
; %bb.121:
	v_pk_mov_b32 v[10:11], s[12:13], s[12:13] op_sel:[0,1]
	v_mov_b32_e32 v12, 2
	v_mov_b32_e32 v13, 1
	global_store_dwordx4 v[8:9], v[10:13], off offset:8
.LBB103_122:
	s_or_b64 exec, exec, s[16:17]
	s_lshl_b64 s[12:13], s[14:15], 12
	v_mov_b32_e32 v7, s13
	v_add_co_u32_e32 v2, vcc, s12, v2
	s_movk_i32 s12, 0xff1f
	v_addc_co_u32_e32 v3, vcc, v3, v7, vcc
	v_and_or_b32 v4, v4, s12, 32
	s_mov_b32 s12, 0
	v_add_co_u32_e32 v10, vcc, v2, v34
	v_mov_b32_e32 v7, v6
	v_readfirstlane_b32 s16, v2
	v_readfirstlane_b32 s17, v3
	s_mov_b32 s13, s12
	v_addc_co_u32_e32 v11, vcc, 0, v3, vcc
	s_mov_b32 s14, s12
	s_mov_b32 s15, s12
	s_nop 0
	global_store_dwordx4 v34, v[4:7], s[16:17]
	v_pk_mov_b32 v[2:3], s[12:13], s[12:13] op_sel:[0,1]
	v_pk_mov_b32 v[4:5], s[14:15], s[14:15] op_sel:[0,1]
	global_store_dwordx4 v34, v[2:5], s[16:17] offset:16
	global_store_dwordx4 v34, v[2:5], s[16:17] offset:32
	;; [unrolled: 1-line block ×3, first 2 shown]
	s_and_saveexec_b64 s[12:13], s[4:5]
	s_cbranch_execz .LBB103_130
; %bb.123:
	v_mov_b32_e32 v6, 0
	global_load_dwordx2 v[14:15], v6, s[10:11] offset:32 glc
	global_load_dwordx2 v[2:3], v6, s[10:11] offset:40
	v_mov_b32_e32 v12, s6
	v_mov_b32_e32 v13, s7
	s_waitcnt vmcnt(0)
	v_readfirstlane_b32 s14, v2
	v_readfirstlane_b32 s15, v3
	s_and_b64 s[14:15], s[14:15], s[6:7]
	s_mul_i32 s15, s15, 24
	s_mul_hi_u32 s16, s14, 24
	s_mul_i32 s14, s14, 24
	s_add_i32 s15, s16, s15
	v_mov_b32_e32 v2, s15
	v_add_co_u32_e32 v4, vcc, s14, v0
	v_addc_co_u32_e32 v5, vcc, v1, v2, vcc
	global_store_dwordx2 v[4:5], v[14:15], off
	buffer_wbl2
	s_waitcnt vmcnt(0)
	global_atomic_cmpswap_x2 v[2:3], v6, v[12:15], s[10:11] offset:32 glc
	s_waitcnt vmcnt(0)
	v_cmp_ne_u64_e32 vcc, v[2:3], v[14:15]
	s_and_saveexec_b64 s[14:15], vcc
	s_cbranch_execz .LBB103_126
; %bb.124:
	s_mov_b64 s[16:17], 0
.LBB103_125:                            ; =>This Inner Loop Header: Depth=1
	s_sleep 1
	global_store_dwordx2 v[4:5], v[2:3], off
	v_mov_b32_e32 v0, s6
	v_mov_b32_e32 v1, s7
	buffer_wbl2
	s_waitcnt vmcnt(0)
	global_atomic_cmpswap_x2 v[0:1], v6, v[0:3], s[10:11] offset:32 glc
	s_waitcnt vmcnt(0)
	v_cmp_eq_u64_e32 vcc, v[0:1], v[2:3]
	s_or_b64 s[16:17], vcc, s[16:17]
	v_pk_mov_b32 v[2:3], v[0:1], v[0:1] op_sel:[0,1]
	s_andn2_b64 exec, exec, s[16:17]
	s_cbranch_execnz .LBB103_125
.LBB103_126:
	s_or_b64 exec, exec, s[14:15]
	v_mov_b32_e32 v3, 0
	global_load_dwordx2 v[0:1], v3, s[10:11] offset:16
	s_mov_b64 s[14:15], exec
	v_mbcnt_lo_u32_b32 v2, s14, 0
	v_mbcnt_hi_u32_b32 v2, s15, v2
	v_cmp_eq_u32_e32 vcc, 0, v2
	s_and_saveexec_b64 s[16:17], vcc
	s_cbranch_execz .LBB103_128
; %bb.127:
	s_bcnt1_i32_b64 s14, s[14:15]
	v_mov_b32_e32 v2, s14
	buffer_wbl2
	s_waitcnt vmcnt(0)
	global_atomic_add_x2 v[0:1], v[2:3], off offset:8
.LBB103_128:
	s_or_b64 exec, exec, s[16:17]
	s_waitcnt vmcnt(0)
	global_load_dwordx2 v[2:3], v[0:1], off offset:16
	s_waitcnt vmcnt(0)
	v_cmp_eq_u64_e32 vcc, 0, v[2:3]
	s_cbranch_vccnz .LBB103_130
; %bb.129:
	global_load_dword v0, v[0:1], off offset:24
	v_mov_b32_e32 v1, 0
	buffer_wbl2
	s_waitcnt vmcnt(0)
	global_store_dwordx2 v[2:3], v[0:1], off
	v_and_b32_e32 v0, 0xffffff, v0
	v_readfirstlane_b32 m0, v0
	s_sendmsg sendmsg(MSG_INTERRUPT)
.LBB103_130:
	s_or_b64 exec, exec, s[12:13]
	s_branch .LBB103_134
.LBB103_131:                            ;   in Loop: Header=BB103_134 Depth=1
	s_or_b64 exec, exec, s[12:13]
	v_readfirstlane_b32 s12, v0
	s_cmp_eq_u32 s12, 0
	s_cbranch_scc1 .LBB103_133
; %bb.132:                              ;   in Loop: Header=BB103_134 Depth=1
	s_sleep 1
	s_cbranch_execnz .LBB103_134
	s_branch .LBB103_136
.LBB103_133:
	s_branch .LBB103_136
.LBB103_134:                            ; =>This Inner Loop Header: Depth=1
	v_mov_b32_e32 v0, 1
	s_and_saveexec_b64 s[12:13], s[4:5]
	s_cbranch_execz .LBB103_131
; %bb.135:                              ;   in Loop: Header=BB103_134 Depth=1
	global_load_dword v0, v[8:9], off offset:20 glc
	s_waitcnt vmcnt(0)
	buffer_invl2
	buffer_wbinvl1_vol
	v_and_b32_e32 v0, 1, v0
	s_branch .LBB103_131
.LBB103_136:
	global_load_dwordx2 v[0:1], v[10:11], off
	s_and_saveexec_b64 s[12:13], s[4:5]
	s_cbranch_execz .LBB103_139
; %bb.137:
	v_mov_b32_e32 v8, 0
	global_load_dwordx2 v[6:7], v8, s[10:11] offset:40
	global_load_dwordx2 v[10:11], v8, s[10:11] offset:24 glc
	global_load_dwordx2 v[12:13], v8, s[10:11]
	v_mov_b32_e32 v3, s7
	s_mov_b64 s[4:5], 0
	s_waitcnt vmcnt(2)
	v_add_co_u32_e32 v5, vcc, 1, v6
	v_addc_co_u32_e32 v9, vcc, 0, v7, vcc
	v_add_co_u32_e32 v2, vcc, s6, v5
	v_addc_co_u32_e32 v3, vcc, v9, v3, vcc
	v_cmp_eq_u64_e32 vcc, 0, v[2:3]
	v_cndmask_b32_e32 v3, v3, v9, vcc
	v_cndmask_b32_e32 v2, v2, v5, vcc
	v_and_b32_e32 v5, v3, v7
	v_and_b32_e32 v6, v2, v6
	v_mul_lo_u32 v5, v5, 24
	v_mul_hi_u32 v7, v6, 24
	v_mul_lo_u32 v6, v6, 24
	v_add_u32_e32 v5, v7, v5
	s_waitcnt vmcnt(0)
	v_add_co_u32_e32 v6, vcc, v12, v6
	v_addc_co_u32_e32 v7, vcc, v13, v5, vcc
	v_mov_b32_e32 v4, v10
	global_store_dwordx2 v[6:7], v[10:11], off
	v_mov_b32_e32 v5, v11
	buffer_wbl2
	s_waitcnt vmcnt(0)
	global_atomic_cmpswap_x2 v[4:5], v8, v[2:5], s[10:11] offset:24 glc
	s_waitcnt vmcnt(0)
	v_cmp_ne_u64_e32 vcc, v[4:5], v[10:11]
	s_and_b64 exec, exec, vcc
	s_cbranch_execz .LBB103_139
.LBB103_138:                            ; =>This Inner Loop Header: Depth=1
	s_sleep 1
	global_store_dwordx2 v[6:7], v[4:5], off
	buffer_wbl2
	s_waitcnt vmcnt(0)
	global_atomic_cmpswap_x2 v[10:11], v8, v[2:5], s[10:11] offset:24 glc
	s_waitcnt vmcnt(0)
	v_cmp_eq_u64_e32 vcc, v[10:11], v[4:5]
	s_or_b64 s[4:5], vcc, s[4:5]
	v_pk_mov_b32 v[4:5], v[10:11], v[10:11] op_sel:[0,1]
	s_andn2_b64 exec, exec, s[4:5]
	s_cbranch_execnz .LBB103_138
.LBB103_139:
	s_or_b64 exec, exec, s[12:13]
.LBB103_140:
	s_getpc_b64 s[6:7]
	s_add_u32 s6, s6, .str.2@rel32@lo+4
	s_addc_u32 s7, s7, .str.2@rel32@hi+12
	s_cmp_lg_u64 s[6:7], 0
	s_cbranch_scc0 .LBB103_224
; %bb.141:
	s_getpc_b64 s[4:5]
	s_add_u32 s4, s4, .str.2@rel32@lo+85
	s_addc_u32 s5, s5, .str.2@rel32@hi+93
	s_sub_i32 s12, s4, s6
	s_ashr_i32 s13, s12, 31
	s_waitcnt vmcnt(0)
	v_and_b32_e32 v28, 2, v0
	v_mov_b32_e32 v31, 0
	v_and_b32_e32 v2, -3, v0
	v_mov_b32_e32 v3, v1
	v_mov_b32_e32 v6, 2
	;; [unrolled: 1-line block ×3, first 2 shown]
	s_branch .LBB103_143
.LBB103_142:                            ;   in Loop: Header=BB103_143 Depth=1
	s_or_b64 exec, exec, s[18:19]
	s_sub_u32 s12, s12, s14
	s_subb_u32 s13, s13, s15
	s_add_u32 s6, s6, s14
	s_addc_u32 s7, s7, s15
	s_cmp_lg_u64 s[12:13], 0
	s_cbranch_scc0 .LBB103_225
.LBB103_143:                            ; =>This Loop Header: Depth=1
                                        ;     Child Loop BB103_146 Depth 2
                                        ;     Child Loop BB103_153 Depth 2
                                        ;     Child Loop BB103_161 Depth 2
                                        ;     Child Loop BB103_169 Depth 2
                                        ;     Child Loop BB103_177 Depth 2
                                        ;     Child Loop BB103_185 Depth 2
                                        ;     Child Loop BB103_193 Depth 2
                                        ;     Child Loop BB103_201 Depth 2
                                        ;     Child Loop BB103_209 Depth 2
                                        ;     Child Loop BB103_218 Depth 2
                                        ;     Child Loop BB103_223 Depth 2
	v_cmp_lt_u64_e64 s[4:5], s[12:13], 56
	s_and_b64 s[4:5], s[4:5], exec
	v_cmp_gt_u64_e64 s[4:5], s[12:13], 7
	s_cselect_b32 s15, s13, 0
	s_cselect_b32 s14, s12, 56
	s_and_b64 vcc, exec, s[4:5]
	s_cbranch_vccnz .LBB103_148
; %bb.144:                              ;   in Loop: Header=BB103_143 Depth=1
	s_mov_b64 s[4:5], 0
	s_cmp_eq_u64 s[12:13], 0
	v_pk_mov_b32 v[10:11], 0, 0
	s_cbranch_scc1 .LBB103_147
; %bb.145:                              ;   in Loop: Header=BB103_143 Depth=1
	s_lshl_b64 s[16:17], s[14:15], 3
	s_mov_b64 s[18:19], 0
	v_pk_mov_b32 v[10:11], 0, 0
	s_mov_b64 s[20:21], s[6:7]
.LBB103_146:                            ;   Parent Loop BB103_143 Depth=1
                                        ; =>  This Inner Loop Header: Depth=2
	global_load_ubyte v4, v31, s[20:21]
	s_waitcnt vmcnt(0)
	v_and_b32_e32 v30, 0xffff, v4
	v_lshlrev_b64 v[4:5], s18, v[30:31]
	s_add_u32 s18, s18, 8
	s_addc_u32 s19, s19, 0
	s_add_u32 s20, s20, 1
	s_addc_u32 s21, s21, 0
	v_or_b32_e32 v10, v4, v10
	s_cmp_lg_u32 s16, s18
	v_or_b32_e32 v11, v5, v11
	s_cbranch_scc1 .LBB103_146
.LBB103_147:                            ;   in Loop: Header=BB103_143 Depth=1
	s_mov_b32 s20, 0
	s_andn2_b64 vcc, exec, s[4:5]
	s_mov_b64 s[4:5], s[6:7]
	s_cbranch_vccz .LBB103_149
	s_branch .LBB103_150
.LBB103_148:                            ;   in Loop: Header=BB103_143 Depth=1
                                        ; implicit-def: $vgpr10_vgpr11
                                        ; implicit-def: $sgpr20
	s_mov_b64 s[4:5], s[6:7]
.LBB103_149:                            ;   in Loop: Header=BB103_143 Depth=1
	global_load_dwordx2 v[10:11], v31, s[6:7]
	s_add_i32 s20, s14, -8
	s_add_u32 s4, s6, 8
	s_addc_u32 s5, s7, 0
.LBB103_150:                            ;   in Loop: Header=BB103_143 Depth=1
	s_cmp_gt_u32 s20, 7
	s_cbranch_scc1 .LBB103_154
; %bb.151:                              ;   in Loop: Header=BB103_143 Depth=1
	s_cmp_eq_u32 s20, 0
	s_cbranch_scc1 .LBB103_155
; %bb.152:                              ;   in Loop: Header=BB103_143 Depth=1
	s_mov_b64 s[16:17], 0
	v_pk_mov_b32 v[12:13], 0, 0
	s_mov_b64 s[18:19], 0
.LBB103_153:                            ;   Parent Loop BB103_143 Depth=1
                                        ; =>  This Inner Loop Header: Depth=2
	s_add_u32 s22, s4, s18
	s_addc_u32 s23, s5, s19
	global_load_ubyte v4, v31, s[22:23]
	s_add_u32 s18, s18, 1
	s_addc_u32 s19, s19, 0
	s_waitcnt vmcnt(0)
	v_and_b32_e32 v30, 0xffff, v4
	v_lshlrev_b64 v[4:5], s16, v[30:31]
	s_add_u32 s16, s16, 8
	s_addc_u32 s17, s17, 0
	v_or_b32_e32 v12, v4, v12
	s_cmp_lg_u32 s20, s18
	v_or_b32_e32 v13, v5, v13
	s_cbranch_scc1 .LBB103_153
	s_branch .LBB103_156
.LBB103_154:                            ;   in Loop: Header=BB103_143 Depth=1
                                        ; implicit-def: $vgpr12_vgpr13
                                        ; implicit-def: $sgpr21
	s_branch .LBB103_157
.LBB103_155:                            ;   in Loop: Header=BB103_143 Depth=1
	v_pk_mov_b32 v[12:13], 0, 0
.LBB103_156:                            ;   in Loop: Header=BB103_143 Depth=1
	s_mov_b32 s21, 0
	s_cbranch_execnz .LBB103_158
.LBB103_157:                            ;   in Loop: Header=BB103_143 Depth=1
	global_load_dwordx2 v[12:13], v31, s[4:5]
	s_add_i32 s21, s20, -8
	s_add_u32 s4, s4, 8
	s_addc_u32 s5, s5, 0
.LBB103_158:                            ;   in Loop: Header=BB103_143 Depth=1
	s_cmp_gt_u32 s21, 7
	s_cbranch_scc1 .LBB103_162
; %bb.159:                              ;   in Loop: Header=BB103_143 Depth=1
	s_cmp_eq_u32 s21, 0
	s_cbranch_scc1 .LBB103_163
; %bb.160:                              ;   in Loop: Header=BB103_143 Depth=1
	s_mov_b64 s[16:17], 0
	v_pk_mov_b32 v[14:15], 0, 0
	s_mov_b64 s[18:19], 0
.LBB103_161:                            ;   Parent Loop BB103_143 Depth=1
                                        ; =>  This Inner Loop Header: Depth=2
	s_add_u32 s22, s4, s18
	s_addc_u32 s23, s5, s19
	global_load_ubyte v4, v31, s[22:23]
	s_add_u32 s18, s18, 1
	s_addc_u32 s19, s19, 0
	s_waitcnt vmcnt(0)
	v_and_b32_e32 v30, 0xffff, v4
	v_lshlrev_b64 v[4:5], s16, v[30:31]
	s_add_u32 s16, s16, 8
	s_addc_u32 s17, s17, 0
	v_or_b32_e32 v14, v4, v14
	s_cmp_lg_u32 s21, s18
	v_or_b32_e32 v15, v5, v15
	s_cbranch_scc1 .LBB103_161
	s_branch .LBB103_164
.LBB103_162:                            ;   in Loop: Header=BB103_143 Depth=1
                                        ; implicit-def: $sgpr20
	s_branch .LBB103_165
.LBB103_163:                            ;   in Loop: Header=BB103_143 Depth=1
	v_pk_mov_b32 v[14:15], 0, 0
.LBB103_164:                            ;   in Loop: Header=BB103_143 Depth=1
	s_mov_b32 s20, 0
	s_cbranch_execnz .LBB103_166
.LBB103_165:                            ;   in Loop: Header=BB103_143 Depth=1
	global_load_dwordx2 v[14:15], v31, s[4:5]
	s_add_i32 s20, s21, -8
	s_add_u32 s4, s4, 8
	s_addc_u32 s5, s5, 0
.LBB103_166:                            ;   in Loop: Header=BB103_143 Depth=1
	s_cmp_gt_u32 s20, 7
	s_cbranch_scc1 .LBB103_170
; %bb.167:                              ;   in Loop: Header=BB103_143 Depth=1
	s_cmp_eq_u32 s20, 0
	s_cbranch_scc1 .LBB103_171
; %bb.168:                              ;   in Loop: Header=BB103_143 Depth=1
	s_mov_b64 s[16:17], 0
	v_pk_mov_b32 v[16:17], 0, 0
	s_mov_b64 s[18:19], 0
.LBB103_169:                            ;   Parent Loop BB103_143 Depth=1
                                        ; =>  This Inner Loop Header: Depth=2
	s_add_u32 s22, s4, s18
	s_addc_u32 s23, s5, s19
	global_load_ubyte v4, v31, s[22:23]
	s_add_u32 s18, s18, 1
	s_addc_u32 s19, s19, 0
	s_waitcnt vmcnt(0)
	v_and_b32_e32 v30, 0xffff, v4
	v_lshlrev_b64 v[4:5], s16, v[30:31]
	s_add_u32 s16, s16, 8
	s_addc_u32 s17, s17, 0
	v_or_b32_e32 v16, v4, v16
	s_cmp_lg_u32 s20, s18
	v_or_b32_e32 v17, v5, v17
	s_cbranch_scc1 .LBB103_169
	s_branch .LBB103_172
.LBB103_170:                            ;   in Loop: Header=BB103_143 Depth=1
                                        ; implicit-def: $vgpr16_vgpr17
                                        ; implicit-def: $sgpr21
	s_branch .LBB103_173
.LBB103_171:                            ;   in Loop: Header=BB103_143 Depth=1
	v_pk_mov_b32 v[16:17], 0, 0
.LBB103_172:                            ;   in Loop: Header=BB103_143 Depth=1
	s_mov_b32 s21, 0
	s_cbranch_execnz .LBB103_174
.LBB103_173:                            ;   in Loop: Header=BB103_143 Depth=1
	global_load_dwordx2 v[16:17], v31, s[4:5]
	s_add_i32 s21, s20, -8
	s_add_u32 s4, s4, 8
	s_addc_u32 s5, s5, 0
.LBB103_174:                            ;   in Loop: Header=BB103_143 Depth=1
	s_cmp_gt_u32 s21, 7
	s_cbranch_scc1 .LBB103_178
; %bb.175:                              ;   in Loop: Header=BB103_143 Depth=1
	s_cmp_eq_u32 s21, 0
	s_cbranch_scc1 .LBB103_179
; %bb.176:                              ;   in Loop: Header=BB103_143 Depth=1
	s_mov_b64 s[16:17], 0
	v_pk_mov_b32 v[18:19], 0, 0
	s_mov_b64 s[18:19], 0
.LBB103_177:                            ;   Parent Loop BB103_143 Depth=1
                                        ; =>  This Inner Loop Header: Depth=2
	s_add_u32 s22, s4, s18
	s_addc_u32 s23, s5, s19
	global_load_ubyte v4, v31, s[22:23]
	s_add_u32 s18, s18, 1
	s_addc_u32 s19, s19, 0
	s_waitcnt vmcnt(0)
	v_and_b32_e32 v30, 0xffff, v4
	v_lshlrev_b64 v[4:5], s16, v[30:31]
	s_add_u32 s16, s16, 8
	s_addc_u32 s17, s17, 0
	v_or_b32_e32 v18, v4, v18
	s_cmp_lg_u32 s21, s18
	v_or_b32_e32 v19, v5, v19
	s_cbranch_scc1 .LBB103_177
	s_branch .LBB103_180
.LBB103_178:                            ;   in Loop: Header=BB103_143 Depth=1
                                        ; implicit-def: $sgpr20
	s_branch .LBB103_181
.LBB103_179:                            ;   in Loop: Header=BB103_143 Depth=1
	v_pk_mov_b32 v[18:19], 0, 0
.LBB103_180:                            ;   in Loop: Header=BB103_143 Depth=1
	s_mov_b32 s20, 0
	s_cbranch_execnz .LBB103_182
.LBB103_181:                            ;   in Loop: Header=BB103_143 Depth=1
	global_load_dwordx2 v[18:19], v31, s[4:5]
	s_add_i32 s20, s21, -8
	s_add_u32 s4, s4, 8
	s_addc_u32 s5, s5, 0
.LBB103_182:                            ;   in Loop: Header=BB103_143 Depth=1
	s_cmp_gt_u32 s20, 7
	s_cbranch_scc1 .LBB103_186
; %bb.183:                              ;   in Loop: Header=BB103_143 Depth=1
	s_cmp_eq_u32 s20, 0
	s_cbranch_scc1 .LBB103_187
; %bb.184:                              ;   in Loop: Header=BB103_143 Depth=1
	s_mov_b64 s[16:17], 0
	v_pk_mov_b32 v[20:21], 0, 0
	s_mov_b64 s[18:19], 0
.LBB103_185:                            ;   Parent Loop BB103_143 Depth=1
                                        ; =>  This Inner Loop Header: Depth=2
	s_add_u32 s22, s4, s18
	s_addc_u32 s23, s5, s19
	global_load_ubyte v4, v31, s[22:23]
	s_add_u32 s18, s18, 1
	s_addc_u32 s19, s19, 0
	s_waitcnt vmcnt(0)
	v_and_b32_e32 v30, 0xffff, v4
	v_lshlrev_b64 v[4:5], s16, v[30:31]
	s_add_u32 s16, s16, 8
	s_addc_u32 s17, s17, 0
	v_or_b32_e32 v20, v4, v20
	s_cmp_lg_u32 s20, s18
	v_or_b32_e32 v21, v5, v21
	s_cbranch_scc1 .LBB103_185
	s_branch .LBB103_188
.LBB103_186:                            ;   in Loop: Header=BB103_143 Depth=1
                                        ; implicit-def: $vgpr20_vgpr21
                                        ; implicit-def: $sgpr21
	s_branch .LBB103_189
.LBB103_187:                            ;   in Loop: Header=BB103_143 Depth=1
	v_pk_mov_b32 v[20:21], 0, 0
.LBB103_188:                            ;   in Loop: Header=BB103_143 Depth=1
	s_mov_b32 s21, 0
	s_cbranch_execnz .LBB103_190
.LBB103_189:                            ;   in Loop: Header=BB103_143 Depth=1
	global_load_dwordx2 v[20:21], v31, s[4:5]
	s_add_i32 s21, s20, -8
	s_add_u32 s4, s4, 8
	s_addc_u32 s5, s5, 0
.LBB103_190:                            ;   in Loop: Header=BB103_143 Depth=1
	s_cmp_gt_u32 s21, 7
	s_cbranch_scc1 .LBB103_194
; %bb.191:                              ;   in Loop: Header=BB103_143 Depth=1
	s_cmp_eq_u32 s21, 0
	s_cbranch_scc1 .LBB103_195
; %bb.192:                              ;   in Loop: Header=BB103_143 Depth=1
	s_mov_b64 s[16:17], 0
	v_pk_mov_b32 v[22:23], 0, 0
	s_mov_b64 s[18:19], s[4:5]
.LBB103_193:                            ;   Parent Loop BB103_143 Depth=1
                                        ; =>  This Inner Loop Header: Depth=2
	global_load_ubyte v4, v31, s[18:19]
	s_add_i32 s21, s21, -1
	s_waitcnt vmcnt(0)
	v_and_b32_e32 v30, 0xffff, v4
	v_lshlrev_b64 v[4:5], s16, v[30:31]
	s_add_u32 s16, s16, 8
	s_addc_u32 s17, s17, 0
	s_add_u32 s18, s18, 1
	s_addc_u32 s19, s19, 0
	v_or_b32_e32 v22, v4, v22
	s_cmp_lg_u32 s21, 0
	v_or_b32_e32 v23, v5, v23
	s_cbranch_scc1 .LBB103_193
	s_branch .LBB103_196
.LBB103_194:                            ;   in Loop: Header=BB103_143 Depth=1
	s_branch .LBB103_197
.LBB103_195:                            ;   in Loop: Header=BB103_143 Depth=1
	v_pk_mov_b32 v[22:23], 0, 0
.LBB103_196:                            ;   in Loop: Header=BB103_143 Depth=1
	s_cbranch_execnz .LBB103_198
.LBB103_197:                            ;   in Loop: Header=BB103_143 Depth=1
	global_load_dwordx2 v[22:23], v31, s[4:5]
.LBB103_198:                            ;   in Loop: Header=BB103_143 Depth=1
	v_readfirstlane_b32 s4, v35
	v_cmp_eq_u32_e64 s[4:5], s4, v35
	s_waitcnt vmcnt(0)
	v_pk_mov_b32 v[4:5], 0, 0
	s_and_saveexec_b64 s[16:17], s[4:5]
	s_cbranch_execz .LBB103_204
; %bb.199:                              ;   in Loop: Header=BB103_143 Depth=1
	global_load_dwordx2 v[26:27], v31, s[10:11] offset:24 glc
	s_waitcnt vmcnt(0)
	buffer_invl2
	buffer_wbinvl1_vol
	global_load_dwordx2 v[4:5], v31, s[10:11] offset:40
	global_load_dwordx2 v[8:9], v31, s[10:11]
	s_waitcnt vmcnt(1)
	v_and_b32_e32 v4, v4, v26
	v_and_b32_e32 v5, v5, v27
	v_mul_lo_u32 v5, v5, 24
	v_mul_hi_u32 v24, v4, 24
	v_mul_lo_u32 v4, v4, 24
	v_add_u32_e32 v5, v24, v5
	s_waitcnt vmcnt(0)
	v_add_co_u32_e32 v4, vcc, v8, v4
	v_addc_co_u32_e32 v5, vcc, v9, v5, vcc
	global_load_dwordx2 v[24:25], v[4:5], off glc
	s_waitcnt vmcnt(0)
	global_atomic_cmpswap_x2 v[4:5], v31, v[24:27], s[10:11] offset:24 glc
	s_waitcnt vmcnt(0)
	buffer_invl2
	buffer_wbinvl1_vol
	v_cmp_ne_u64_e32 vcc, v[4:5], v[26:27]
	s_and_saveexec_b64 s[18:19], vcc
	s_cbranch_execz .LBB103_203
; %bb.200:                              ;   in Loop: Header=BB103_143 Depth=1
	s_mov_b64 s[20:21], 0
.LBB103_201:                            ;   Parent Loop BB103_143 Depth=1
                                        ; =>  This Inner Loop Header: Depth=2
	s_sleep 1
	global_load_dwordx2 v[8:9], v31, s[10:11] offset:40
	global_load_dwordx2 v[24:25], v31, s[10:11]
	v_pk_mov_b32 v[26:27], v[4:5], v[4:5] op_sel:[0,1]
	s_waitcnt vmcnt(1)
	v_and_b32_e32 v4, v8, v26
	s_waitcnt vmcnt(0)
	v_mad_u64_u32 v[4:5], s[22:23], v4, 24, v[24:25]
	v_and_b32_e32 v9, v9, v27
	v_mov_b32_e32 v8, v5
	v_mad_u64_u32 v[8:9], s[22:23], v9, 24, v[8:9]
	v_mov_b32_e32 v5, v8
	global_load_dwordx2 v[24:25], v[4:5], off glc
	s_waitcnt vmcnt(0)
	global_atomic_cmpswap_x2 v[4:5], v31, v[24:27], s[10:11] offset:24 glc
	s_waitcnt vmcnt(0)
	buffer_invl2
	buffer_wbinvl1_vol
	v_cmp_eq_u64_e32 vcc, v[4:5], v[26:27]
	s_or_b64 s[20:21], vcc, s[20:21]
	s_andn2_b64 exec, exec, s[20:21]
	s_cbranch_execnz .LBB103_201
; %bb.202:                              ;   in Loop: Header=BB103_143 Depth=1
	s_or_b64 exec, exec, s[20:21]
.LBB103_203:                            ;   in Loop: Header=BB103_143 Depth=1
	s_or_b64 exec, exec, s[18:19]
.LBB103_204:                            ;   in Loop: Header=BB103_143 Depth=1
	s_or_b64 exec, exec, s[16:17]
	global_load_dwordx2 v[8:9], v31, s[10:11] offset:40
	global_load_dwordx4 v[24:27], v31, s[10:11]
	v_readfirstlane_b32 s16, v4
	v_readfirstlane_b32 s17, v5
	s_mov_b64 s[18:19], exec
	s_waitcnt vmcnt(1)
	v_readfirstlane_b32 s20, v8
	v_readfirstlane_b32 s21, v9
	s_and_b64 s[20:21], s[16:17], s[20:21]
	s_mul_i32 s22, s21, 24
	s_mul_hi_u32 s23, s20, 24
	s_mul_i32 s24, s20, 24
	s_add_i32 s22, s23, s22
	v_mov_b32_e32 v4, s22
	s_waitcnt vmcnt(0)
	v_add_co_u32_e32 v32, vcc, s24, v24
	v_addc_co_u32_e32 v33, vcc, v25, v4, vcc
	s_and_saveexec_b64 s[22:23], s[4:5]
	s_cbranch_execz .LBB103_206
; %bb.205:                              ;   in Loop: Header=BB103_143 Depth=1
	v_pk_mov_b32 v[4:5], s[18:19], s[18:19] op_sel:[0,1]
	global_store_dwordx4 v[32:33], v[4:7], off offset:8
.LBB103_206:                            ;   in Loop: Header=BB103_143 Depth=1
	s_or_b64 exec, exec, s[22:23]
	s_lshl_b64 s[18:19], s[20:21], 12
	v_mov_b32_e32 v4, s19
	v_add_co_u32_e32 v26, vcc, s18, v26
	v_addc_co_u32_e32 v27, vcc, v27, v4, vcc
	v_or_b32_e32 v5, v2, v28
	v_cmp_gt_u64_e64 vcc, s[12:13], 56
	s_lshl_b32 s18, s14, 2
	v_cndmask_b32_e32 v2, v5, v2, vcc
	s_add_i32 s18, s18, 28
	v_or_b32_e32 v4, 0, v3
	s_and_b32 s18, s18, 0x1e0
	v_and_b32_e32 v2, 0xffffff1f, v2
	v_cndmask_b32_e32 v9, v4, v3, vcc
	v_or_b32_e32 v8, s18, v2
	v_readfirstlane_b32 s18, v26
	v_readfirstlane_b32 s19, v27
	s_nop 4
	global_store_dwordx4 v34, v[8:11], s[18:19]
	global_store_dwordx4 v34, v[12:15], s[18:19] offset:16
	global_store_dwordx4 v34, v[16:19], s[18:19] offset:32
	;; [unrolled: 1-line block ×3, first 2 shown]
	s_and_saveexec_b64 s[18:19], s[4:5]
	s_cbranch_execz .LBB103_214
; %bb.207:                              ;   in Loop: Header=BB103_143 Depth=1
	global_load_dwordx2 v[12:13], v31, s[10:11] offset:32 glc
	global_load_dwordx2 v[2:3], v31, s[10:11] offset:40
	v_mov_b32_e32 v10, s16
	v_mov_b32_e32 v11, s17
	s_waitcnt vmcnt(0)
	v_readfirstlane_b32 s20, v2
	v_readfirstlane_b32 s21, v3
	s_and_b64 s[20:21], s[20:21], s[16:17]
	s_mul_i32 s21, s21, 24
	s_mul_hi_u32 s22, s20, 24
	s_mul_i32 s20, s20, 24
	s_add_i32 s21, s22, s21
	v_mov_b32_e32 v2, s21
	v_add_co_u32_e32 v8, vcc, s20, v24
	v_addc_co_u32_e32 v9, vcc, v25, v2, vcc
	global_store_dwordx2 v[8:9], v[12:13], off
	buffer_wbl2
	s_waitcnt vmcnt(0)
	global_atomic_cmpswap_x2 v[4:5], v31, v[10:13], s[10:11] offset:32 glc
	s_waitcnt vmcnt(0)
	v_cmp_ne_u64_e32 vcc, v[4:5], v[12:13]
	s_and_saveexec_b64 s[20:21], vcc
	s_cbranch_execz .LBB103_210
; %bb.208:                              ;   in Loop: Header=BB103_143 Depth=1
	s_mov_b64 s[22:23], 0
.LBB103_209:                            ;   Parent Loop BB103_143 Depth=1
                                        ; =>  This Inner Loop Header: Depth=2
	s_sleep 1
	global_store_dwordx2 v[8:9], v[4:5], off
	v_mov_b32_e32 v2, s16
	v_mov_b32_e32 v3, s17
	buffer_wbl2
	s_waitcnt vmcnt(0)
	global_atomic_cmpswap_x2 v[2:3], v31, v[2:5], s[10:11] offset:32 glc
	s_waitcnt vmcnt(0)
	v_cmp_eq_u64_e32 vcc, v[2:3], v[4:5]
	s_or_b64 s[22:23], vcc, s[22:23]
	v_pk_mov_b32 v[4:5], v[2:3], v[2:3] op_sel:[0,1]
	s_andn2_b64 exec, exec, s[22:23]
	s_cbranch_execnz .LBB103_209
.LBB103_210:                            ;   in Loop: Header=BB103_143 Depth=1
	s_or_b64 exec, exec, s[20:21]
	global_load_dwordx2 v[2:3], v31, s[10:11] offset:16
	s_mov_b64 s[22:23], exec
	v_mbcnt_lo_u32_b32 v4, s22, 0
	v_mbcnt_hi_u32_b32 v4, s23, v4
	v_cmp_eq_u32_e32 vcc, 0, v4
	s_and_saveexec_b64 s[20:21], vcc
	s_cbranch_execz .LBB103_212
; %bb.211:                              ;   in Loop: Header=BB103_143 Depth=1
	s_bcnt1_i32_b64 s22, s[22:23]
	v_mov_b32_e32 v30, s22
	buffer_wbl2
	s_waitcnt vmcnt(0)
	global_atomic_add_x2 v[2:3], v[30:31], off offset:8
.LBB103_212:                            ;   in Loop: Header=BB103_143 Depth=1
	s_or_b64 exec, exec, s[20:21]
	s_waitcnt vmcnt(0)
	global_load_dwordx2 v[4:5], v[2:3], off offset:16
	s_waitcnt vmcnt(0)
	v_cmp_eq_u64_e32 vcc, 0, v[4:5]
	s_cbranch_vccnz .LBB103_214
; %bb.213:                              ;   in Loop: Header=BB103_143 Depth=1
	global_load_dword v30, v[2:3], off offset:24
	s_waitcnt vmcnt(0)
	v_and_b32_e32 v2, 0xffffff, v30
	v_readfirstlane_b32 m0, v2
	buffer_wbl2
	global_store_dwordx2 v[4:5], v[30:31], off
	s_sendmsg sendmsg(MSG_INTERRUPT)
.LBB103_214:                            ;   in Loop: Header=BB103_143 Depth=1
	s_or_b64 exec, exec, s[18:19]
	v_add_co_u32_e32 v2, vcc, v26, v34
	v_addc_co_u32_e32 v3, vcc, 0, v27, vcc
	s_branch .LBB103_218
.LBB103_215:                            ;   in Loop: Header=BB103_218 Depth=2
	s_or_b64 exec, exec, s[18:19]
	v_readfirstlane_b32 s18, v4
	s_cmp_eq_u32 s18, 0
	s_cbranch_scc1 .LBB103_217
; %bb.216:                              ;   in Loop: Header=BB103_218 Depth=2
	s_sleep 1
	s_cbranch_execnz .LBB103_218
	s_branch .LBB103_220
.LBB103_217:                            ;   in Loop: Header=BB103_143 Depth=1
	s_branch .LBB103_220
.LBB103_218:                            ;   Parent Loop BB103_143 Depth=1
                                        ; =>  This Inner Loop Header: Depth=2
	v_mov_b32_e32 v4, 1
	s_and_saveexec_b64 s[18:19], s[4:5]
	s_cbranch_execz .LBB103_215
; %bb.219:                              ;   in Loop: Header=BB103_218 Depth=2
	global_load_dword v4, v[32:33], off offset:20 glc
	s_waitcnt vmcnt(0)
	buffer_invl2
	buffer_wbinvl1_vol
	v_and_b32_e32 v4, 1, v4
	s_branch .LBB103_215
.LBB103_220:                            ;   in Loop: Header=BB103_143 Depth=1
	global_load_dwordx4 v[2:5], v[2:3], off
	s_and_saveexec_b64 s[18:19], s[4:5]
	s_cbranch_execz .LBB103_142
; %bb.221:                              ;   in Loop: Header=BB103_143 Depth=1
	global_load_dwordx2 v[4:5], v31, s[10:11] offset:40
	global_load_dwordx2 v[12:13], v31, s[10:11] offset:24 glc
	global_load_dwordx2 v[14:15], v31, s[10:11]
	v_mov_b32_e32 v9, s17
	s_waitcnt vmcnt(2)
	v_add_co_u32_e32 v11, vcc, 1, v4
	v_addc_co_u32_e32 v16, vcc, 0, v5, vcc
	v_add_co_u32_e32 v8, vcc, s16, v11
	v_addc_co_u32_e32 v9, vcc, v16, v9, vcc
	v_cmp_eq_u64_e32 vcc, 0, v[8:9]
	v_cndmask_b32_e32 v9, v9, v16, vcc
	v_cndmask_b32_e32 v8, v8, v11, vcc
	v_and_b32_e32 v5, v9, v5
	v_and_b32_e32 v4, v8, v4
	v_mul_lo_u32 v5, v5, 24
	v_mul_hi_u32 v11, v4, 24
	v_mul_lo_u32 v4, v4, 24
	v_add_u32_e32 v5, v11, v5
	s_waitcnt vmcnt(0)
	v_add_co_u32_e32 v4, vcc, v14, v4
	v_addc_co_u32_e32 v5, vcc, v15, v5, vcc
	v_mov_b32_e32 v10, v12
	global_store_dwordx2 v[4:5], v[12:13], off
	v_mov_b32_e32 v11, v13
	buffer_wbl2
	s_waitcnt vmcnt(0)
	global_atomic_cmpswap_x2 v[10:11], v31, v[8:11], s[10:11] offset:24 glc
	s_waitcnt vmcnt(0)
	v_cmp_ne_u64_e32 vcc, v[10:11], v[12:13]
	s_and_b64 exec, exec, vcc
	s_cbranch_execz .LBB103_142
; %bb.222:                              ;   in Loop: Header=BB103_143 Depth=1
	s_mov_b64 s[4:5], 0
.LBB103_223:                            ;   Parent Loop BB103_143 Depth=1
                                        ; =>  This Inner Loop Header: Depth=2
	s_sleep 1
	global_store_dwordx2 v[4:5], v[10:11], off
	buffer_wbl2
	s_waitcnt vmcnt(0)
	global_atomic_cmpswap_x2 v[12:13], v31, v[8:11], s[10:11] offset:24 glc
	s_waitcnt vmcnt(0)
	v_cmp_eq_u64_e32 vcc, v[12:13], v[10:11]
	s_or_b64 s[4:5], vcc, s[4:5]
	v_pk_mov_b32 v[10:11], v[12:13], v[12:13] op_sel:[0,1]
	s_andn2_b64 exec, exec, s[4:5]
	s_cbranch_execnz .LBB103_223
	s_branch .LBB103_142
.LBB103_224:
                                        ; implicit-def: $vgpr2_vgpr3
	s_cbranch_execnz .LBB103_226
	s_branch .LBB103_252
.LBB103_225:
	s_branch .LBB103_252
.LBB103_226:
	v_readfirstlane_b32 s4, v35
	v_cmp_eq_u32_e64 s[4:5], s4, v35
	v_pk_mov_b32 v[8:9], 0, 0
	s_and_saveexec_b64 s[6:7], s[4:5]
	s_cbranch_execz .LBB103_232
; %bb.227:
	s_waitcnt vmcnt(0)
	v_mov_b32_e32 v2, 0
	global_load_dwordx2 v[6:7], v2, s[10:11] offset:24 glc
	s_waitcnt vmcnt(0)
	buffer_invl2
	buffer_wbinvl1_vol
	global_load_dwordx2 v[4:5], v2, s[10:11] offset:40
	global_load_dwordx2 v[8:9], v2, s[10:11]
	s_waitcnt vmcnt(1)
	v_and_b32_e32 v3, v4, v6
	v_and_b32_e32 v4, v5, v7
	v_mul_lo_u32 v4, v4, 24
	v_mul_hi_u32 v5, v3, 24
	v_mul_lo_u32 v3, v3, 24
	v_add_u32_e32 v5, v5, v4
	s_waitcnt vmcnt(0)
	v_add_co_u32_e32 v4, vcc, v8, v3
	v_addc_co_u32_e32 v5, vcc, v9, v5, vcc
	global_load_dwordx2 v[4:5], v[4:5], off glc
	s_waitcnt vmcnt(0)
	global_atomic_cmpswap_x2 v[8:9], v2, v[4:7], s[10:11] offset:24 glc
	s_waitcnt vmcnt(0)
	buffer_invl2
	buffer_wbinvl1_vol
	v_cmp_ne_u64_e32 vcc, v[8:9], v[6:7]
	s_and_saveexec_b64 s[12:13], vcc
	s_cbranch_execz .LBB103_231
; %bb.228:
	s_mov_b64 s[14:15], 0
.LBB103_229:                            ; =>This Inner Loop Header: Depth=1
	s_sleep 1
	global_load_dwordx2 v[4:5], v2, s[10:11] offset:40
	global_load_dwordx2 v[10:11], v2, s[10:11]
	v_pk_mov_b32 v[6:7], v[8:9], v[8:9] op_sel:[0,1]
	s_waitcnt vmcnt(1)
	v_and_b32_e32 v4, v4, v6
	v_and_b32_e32 v3, v5, v7
	s_waitcnt vmcnt(0)
	v_mad_u64_u32 v[4:5], s[16:17], v4, 24, v[10:11]
	v_mov_b32_e32 v8, v5
	v_mad_u64_u32 v[8:9], s[16:17], v3, 24, v[8:9]
	v_mov_b32_e32 v5, v8
	global_load_dwordx2 v[4:5], v[4:5], off glc
	s_waitcnt vmcnt(0)
	global_atomic_cmpswap_x2 v[8:9], v2, v[4:7], s[10:11] offset:24 glc
	s_waitcnt vmcnt(0)
	buffer_invl2
	buffer_wbinvl1_vol
	v_cmp_eq_u64_e32 vcc, v[8:9], v[6:7]
	s_or_b64 s[14:15], vcc, s[14:15]
	s_andn2_b64 exec, exec, s[14:15]
	s_cbranch_execnz .LBB103_229
; %bb.230:
	s_or_b64 exec, exec, s[14:15]
.LBB103_231:
	s_or_b64 exec, exec, s[12:13]
.LBB103_232:
	s_or_b64 exec, exec, s[6:7]
	s_waitcnt vmcnt(0)
	v_mov_b32_e32 v2, 0
	global_load_dwordx2 v[10:11], v2, s[10:11] offset:40
	global_load_dwordx4 v[4:7], v2, s[10:11]
	v_readfirstlane_b32 s6, v8
	v_readfirstlane_b32 s7, v9
	s_mov_b64 s[12:13], exec
	s_waitcnt vmcnt(1)
	v_readfirstlane_b32 s14, v10
	v_readfirstlane_b32 s15, v11
	s_and_b64 s[14:15], s[6:7], s[14:15]
	s_mul_i32 s16, s15, 24
	s_mul_hi_u32 s17, s14, 24
	s_mul_i32 s18, s14, 24
	s_add_i32 s16, s17, s16
	v_mov_b32_e32 v3, s16
	s_waitcnt vmcnt(0)
	v_add_co_u32_e32 v8, vcc, s18, v4
	v_addc_co_u32_e32 v9, vcc, v5, v3, vcc
	s_and_saveexec_b64 s[16:17], s[4:5]
	s_cbranch_execz .LBB103_234
; %bb.233:
	v_pk_mov_b32 v[10:11], s[12:13], s[12:13] op_sel:[0,1]
	v_mov_b32_e32 v12, 2
	v_mov_b32_e32 v13, 1
	global_store_dwordx4 v[8:9], v[10:13], off offset:8
.LBB103_234:
	s_or_b64 exec, exec, s[16:17]
	s_lshl_b64 s[12:13], s[14:15], 12
	v_mov_b32_e32 v3, s13
	v_add_co_u32_e32 v10, vcc, s12, v6
	s_movk_i32 s12, 0xff1f
	v_addc_co_u32_e32 v11, vcc, v7, v3, vcc
	v_and_or_b32 v0, v0, s12, 32
	s_mov_b32 s12, 0
	v_mov_b32_e32 v3, v2
	v_readfirstlane_b32 s16, v10
	v_readfirstlane_b32 s17, v11
	s_mov_b32 s13, s12
	v_add_co_u32_e32 v6, vcc, v10, v34
	s_mov_b32 s14, s12
	s_mov_b32 s15, s12
	s_nop 0
	global_store_dwordx4 v34, v[0:3], s[16:17]
	v_addc_co_u32_e32 v7, vcc, 0, v11, vcc
	v_pk_mov_b32 v[0:1], s[12:13], s[12:13] op_sel:[0,1]
	v_pk_mov_b32 v[2:3], s[14:15], s[14:15] op_sel:[0,1]
	global_store_dwordx4 v34, v[0:3], s[16:17] offset:16
	global_store_dwordx4 v34, v[0:3], s[16:17] offset:32
	;; [unrolled: 1-line block ×3, first 2 shown]
	s_and_saveexec_b64 s[12:13], s[4:5]
	s_cbranch_execz .LBB103_242
; %bb.235:
	v_mov_b32_e32 v10, 0
	global_load_dwordx2 v[14:15], v10, s[10:11] offset:32 glc
	global_load_dwordx2 v[0:1], v10, s[10:11] offset:40
	v_mov_b32_e32 v12, s6
	v_mov_b32_e32 v13, s7
	s_waitcnt vmcnt(0)
	v_readfirstlane_b32 s14, v0
	v_readfirstlane_b32 s15, v1
	s_and_b64 s[14:15], s[14:15], s[6:7]
	s_mul_i32 s15, s15, 24
	s_mul_hi_u32 s16, s14, 24
	s_mul_i32 s14, s14, 24
	s_add_i32 s15, s16, s15
	v_mov_b32_e32 v0, s15
	v_add_co_u32_e32 v4, vcc, s14, v4
	v_addc_co_u32_e32 v5, vcc, v5, v0, vcc
	global_store_dwordx2 v[4:5], v[14:15], off
	buffer_wbl2
	s_waitcnt vmcnt(0)
	global_atomic_cmpswap_x2 v[2:3], v10, v[12:15], s[10:11] offset:32 glc
	s_waitcnt vmcnt(0)
	v_cmp_ne_u64_e32 vcc, v[2:3], v[14:15]
	s_and_saveexec_b64 s[14:15], vcc
	s_cbranch_execz .LBB103_238
; %bb.236:
	s_mov_b64 s[16:17], 0
.LBB103_237:                            ; =>This Inner Loop Header: Depth=1
	s_sleep 1
	global_store_dwordx2 v[4:5], v[2:3], off
	v_mov_b32_e32 v0, s6
	v_mov_b32_e32 v1, s7
	buffer_wbl2
	s_waitcnt vmcnt(0)
	global_atomic_cmpswap_x2 v[0:1], v10, v[0:3], s[10:11] offset:32 glc
	s_waitcnt vmcnt(0)
	v_cmp_eq_u64_e32 vcc, v[0:1], v[2:3]
	s_or_b64 s[16:17], vcc, s[16:17]
	v_pk_mov_b32 v[2:3], v[0:1], v[0:1] op_sel:[0,1]
	s_andn2_b64 exec, exec, s[16:17]
	s_cbranch_execnz .LBB103_237
.LBB103_238:
	s_or_b64 exec, exec, s[14:15]
	v_mov_b32_e32 v3, 0
	global_load_dwordx2 v[0:1], v3, s[10:11] offset:16
	s_mov_b64 s[14:15], exec
	v_mbcnt_lo_u32_b32 v2, s14, 0
	v_mbcnt_hi_u32_b32 v2, s15, v2
	v_cmp_eq_u32_e32 vcc, 0, v2
	s_and_saveexec_b64 s[16:17], vcc
	s_cbranch_execz .LBB103_240
; %bb.239:
	s_bcnt1_i32_b64 s14, s[14:15]
	v_mov_b32_e32 v2, s14
	buffer_wbl2
	s_waitcnt vmcnt(0)
	global_atomic_add_x2 v[0:1], v[2:3], off offset:8
.LBB103_240:
	s_or_b64 exec, exec, s[16:17]
	s_waitcnt vmcnt(0)
	global_load_dwordx2 v[2:3], v[0:1], off offset:16
	s_waitcnt vmcnt(0)
	v_cmp_eq_u64_e32 vcc, 0, v[2:3]
	s_cbranch_vccnz .LBB103_242
; %bb.241:
	global_load_dword v0, v[0:1], off offset:24
	v_mov_b32_e32 v1, 0
	buffer_wbl2
	s_waitcnt vmcnt(0)
	global_store_dwordx2 v[2:3], v[0:1], off
	v_and_b32_e32 v0, 0xffffff, v0
	v_readfirstlane_b32 m0, v0
	s_sendmsg sendmsg(MSG_INTERRUPT)
.LBB103_242:
	s_or_b64 exec, exec, s[12:13]
	s_branch .LBB103_246
.LBB103_243:                            ;   in Loop: Header=BB103_246 Depth=1
	s_or_b64 exec, exec, s[12:13]
	v_readfirstlane_b32 s12, v0
	s_cmp_eq_u32 s12, 0
	s_cbranch_scc1 .LBB103_245
; %bb.244:                              ;   in Loop: Header=BB103_246 Depth=1
	s_sleep 1
	s_cbranch_execnz .LBB103_246
	s_branch .LBB103_248
.LBB103_245:
	s_branch .LBB103_248
.LBB103_246:                            ; =>This Inner Loop Header: Depth=1
	v_mov_b32_e32 v0, 1
	s_and_saveexec_b64 s[12:13], s[4:5]
	s_cbranch_execz .LBB103_243
; %bb.247:                              ;   in Loop: Header=BB103_246 Depth=1
	global_load_dword v0, v[8:9], off offset:20 glc
	s_waitcnt vmcnt(0)
	buffer_invl2
	buffer_wbinvl1_vol
	v_and_b32_e32 v0, 1, v0
	s_branch .LBB103_243
.LBB103_248:
	global_load_dwordx2 v[2:3], v[6:7], off
	s_and_saveexec_b64 s[12:13], s[4:5]
	s_cbranch_execz .LBB103_251
; %bb.249:
	v_mov_b32_e32 v8, 0
	global_load_dwordx2 v[0:1], v8, s[10:11] offset:40
	global_load_dwordx2 v[10:11], v8, s[10:11] offset:24 glc
	global_load_dwordx2 v[12:13], v8, s[10:11]
	v_mov_b32_e32 v5, s7
	s_mov_b64 s[4:5], 0
	s_waitcnt vmcnt(2)
	v_add_co_u32_e32 v7, vcc, 1, v0
	v_addc_co_u32_e32 v9, vcc, 0, v1, vcc
	v_add_co_u32_e32 v4, vcc, s6, v7
	v_addc_co_u32_e32 v5, vcc, v9, v5, vcc
	v_cmp_eq_u64_e32 vcc, 0, v[4:5]
	v_cndmask_b32_e32 v5, v5, v9, vcc
	v_cndmask_b32_e32 v4, v4, v7, vcc
	v_and_b32_e32 v1, v5, v1
	v_and_b32_e32 v0, v4, v0
	v_mul_lo_u32 v1, v1, 24
	v_mul_hi_u32 v7, v0, 24
	v_mul_lo_u32 v0, v0, 24
	v_add_u32_e32 v1, v7, v1
	s_waitcnt vmcnt(0)
	v_add_co_u32_e32 v0, vcc, v12, v0
	v_addc_co_u32_e32 v1, vcc, v13, v1, vcc
	v_mov_b32_e32 v6, v10
	global_store_dwordx2 v[0:1], v[10:11], off
	v_mov_b32_e32 v7, v11
	buffer_wbl2
	s_waitcnt vmcnt(0)
	global_atomic_cmpswap_x2 v[6:7], v8, v[4:7], s[10:11] offset:24 glc
	s_waitcnt vmcnt(0)
	v_cmp_ne_u64_e32 vcc, v[6:7], v[10:11]
	s_and_b64 exec, exec, vcc
	s_cbranch_execz .LBB103_251
.LBB103_250:                            ; =>This Inner Loop Header: Depth=1
	s_sleep 1
	global_store_dwordx2 v[0:1], v[6:7], off
	buffer_wbl2
	s_waitcnt vmcnt(0)
	global_atomic_cmpswap_x2 v[10:11], v8, v[4:7], s[10:11] offset:24 glc
	s_waitcnt vmcnt(0)
	v_cmp_eq_u64_e32 vcc, v[10:11], v[6:7]
	s_or_b64 s[4:5], vcc, s[4:5]
	v_pk_mov_b32 v[6:7], v[10:11], v[10:11] op_sel:[0,1]
	s_andn2_b64 exec, exec, s[4:5]
	s_cbranch_execnz .LBB103_250
.LBB103_251:
	s_or_b64 exec, exec, s[12:13]
.LBB103_252:
	v_readfirstlane_b32 s4, v35
	v_cmp_eq_u32_e64 s[4:5], s4, v35
	s_waitcnt vmcnt(0)
	v_pk_mov_b32 v[0:1], 0, 0
	s_and_saveexec_b64 s[6:7], s[4:5]
	s_cbranch_execz .LBB103_258
; %bb.253:
	v_mov_b32_e32 v4, 0
	global_load_dwordx2 v[8:9], v4, s[10:11] offset:24 glc
	s_waitcnt vmcnt(0)
	buffer_invl2
	buffer_wbinvl1_vol
	global_load_dwordx2 v[0:1], v4, s[10:11] offset:40
	global_load_dwordx2 v[6:7], v4, s[10:11]
	s_waitcnt vmcnt(1)
	v_and_b32_e32 v0, v0, v8
	v_and_b32_e32 v1, v1, v9
	v_mul_lo_u32 v1, v1, 24
	v_mul_hi_u32 v5, v0, 24
	v_mul_lo_u32 v0, v0, 24
	v_add_u32_e32 v1, v5, v1
	s_waitcnt vmcnt(0)
	v_add_co_u32_e32 v0, vcc, v6, v0
	v_addc_co_u32_e32 v1, vcc, v7, v1, vcc
	global_load_dwordx2 v[6:7], v[0:1], off glc
	s_waitcnt vmcnt(0)
	global_atomic_cmpswap_x2 v[0:1], v4, v[6:9], s[10:11] offset:24 glc
	s_waitcnt vmcnt(0)
	buffer_invl2
	buffer_wbinvl1_vol
	v_cmp_ne_u64_e32 vcc, v[0:1], v[8:9]
	s_and_saveexec_b64 s[12:13], vcc
	s_cbranch_execz .LBB103_257
; %bb.254:
	s_mov_b64 s[14:15], 0
.LBB103_255:                            ; =>This Inner Loop Header: Depth=1
	s_sleep 1
	global_load_dwordx2 v[6:7], v4, s[10:11] offset:40
	global_load_dwordx2 v[10:11], v4, s[10:11]
	v_pk_mov_b32 v[8:9], v[0:1], v[0:1] op_sel:[0,1]
	s_waitcnt vmcnt(1)
	v_and_b32_e32 v0, v6, v8
	s_waitcnt vmcnt(0)
	v_mad_u64_u32 v[0:1], s[16:17], v0, 24, v[10:11]
	v_and_b32_e32 v5, v7, v9
	v_mov_b32_e32 v6, v1
	v_mad_u64_u32 v[6:7], s[16:17], v5, 24, v[6:7]
	v_mov_b32_e32 v1, v6
	global_load_dwordx2 v[6:7], v[0:1], off glc
	s_waitcnt vmcnt(0)
	global_atomic_cmpswap_x2 v[0:1], v4, v[6:9], s[10:11] offset:24 glc
	s_waitcnt vmcnt(0)
	buffer_invl2
	buffer_wbinvl1_vol
	v_cmp_eq_u64_e32 vcc, v[0:1], v[8:9]
	s_or_b64 s[14:15], vcc, s[14:15]
	s_andn2_b64 exec, exec, s[14:15]
	s_cbranch_execnz .LBB103_255
; %bb.256:
	s_or_b64 exec, exec, s[14:15]
.LBB103_257:
	s_or_b64 exec, exec, s[12:13]
.LBB103_258:
	s_or_b64 exec, exec, s[6:7]
	v_mov_b32_e32 v5, 0
	global_load_dwordx2 v[10:11], v5, s[10:11] offset:40
	global_load_dwordx4 v[6:9], v5, s[10:11]
	v_readfirstlane_b32 s6, v0
	v_readfirstlane_b32 s7, v1
	s_mov_b64 s[12:13], exec
	s_waitcnt vmcnt(1)
	v_readfirstlane_b32 s14, v10
	v_readfirstlane_b32 s15, v11
	s_and_b64 s[14:15], s[6:7], s[14:15]
	s_mul_i32 s16, s15, 24
	s_mul_hi_u32 s17, s14, 24
	s_mul_i32 s18, s14, 24
	s_add_i32 s16, s17, s16
	v_mov_b32_e32 v0, s16
	s_waitcnt vmcnt(0)
	v_add_co_u32_e32 v10, vcc, s18, v6
	v_addc_co_u32_e32 v11, vcc, v7, v0, vcc
	s_and_saveexec_b64 s[16:17], s[4:5]
	s_cbranch_execz .LBB103_260
; %bb.259:
	v_pk_mov_b32 v[12:13], s[12:13], s[12:13] op_sel:[0,1]
	v_mov_b32_e32 v14, 2
	v_mov_b32_e32 v15, 1
	global_store_dwordx4 v[10:11], v[12:15], off offset:8
.LBB103_260:
	s_or_b64 exec, exec, s[16:17]
	s_lshl_b64 s[12:13], s[14:15], 12
	v_mov_b32_e32 v1, s13
	v_add_co_u32_e32 v0, vcc, s12, v8
	s_movk_i32 s12, 0xff1f
	v_addc_co_u32_e32 v1, vcc, v9, v1, vcc
	v_and_or_b32 v2, v2, s12, 32
	s_mov_b32 s12, 0
	v_add_co_u32_e32 v8, vcc, v0, v34
	v_mov_b32_e32 v4, 0xb5
	v_readfirstlane_b32 s16, v0
	v_readfirstlane_b32 s17, v1
	s_mov_b32 s13, s12
	v_addc_co_u32_e32 v9, vcc, 0, v1, vcc
	s_mov_b32 s14, s12
	s_mov_b32 s15, s12
	s_nop 0
	global_store_dwordx4 v34, v[2:5], s[16:17]
	v_pk_mov_b32 v[0:1], s[12:13], s[12:13] op_sel:[0,1]
	v_pk_mov_b32 v[2:3], s[14:15], s[14:15] op_sel:[0,1]
	global_store_dwordx4 v34, v[0:3], s[16:17] offset:16
	global_store_dwordx4 v34, v[0:3], s[16:17] offset:32
	;; [unrolled: 1-line block ×3, first 2 shown]
	s_and_saveexec_b64 s[12:13], s[4:5]
	s_cbranch_execz .LBB103_268
; %bb.261:
	v_mov_b32_e32 v12, 0
	global_load_dwordx2 v[16:17], v12, s[10:11] offset:32 glc
	global_load_dwordx2 v[0:1], v12, s[10:11] offset:40
	v_mov_b32_e32 v14, s6
	v_mov_b32_e32 v15, s7
	s_waitcnt vmcnt(0)
	v_readfirstlane_b32 s14, v0
	v_readfirstlane_b32 s15, v1
	s_and_b64 s[14:15], s[14:15], s[6:7]
	s_mul_i32 s15, s15, 24
	s_mul_hi_u32 s16, s14, 24
	s_mul_i32 s14, s14, 24
	s_add_i32 s15, s16, s15
	v_mov_b32_e32 v0, s15
	v_add_co_u32_e32 v4, vcc, s14, v6
	v_addc_co_u32_e32 v5, vcc, v7, v0, vcc
	global_store_dwordx2 v[4:5], v[16:17], off
	buffer_wbl2
	s_waitcnt vmcnt(0)
	global_atomic_cmpswap_x2 v[2:3], v12, v[14:17], s[10:11] offset:32 glc
	s_waitcnt vmcnt(0)
	v_cmp_ne_u64_e32 vcc, v[2:3], v[16:17]
	s_and_saveexec_b64 s[14:15], vcc
	s_cbranch_execz .LBB103_264
; %bb.262:
	s_mov_b64 s[16:17], 0
.LBB103_263:                            ; =>This Inner Loop Header: Depth=1
	s_sleep 1
	global_store_dwordx2 v[4:5], v[2:3], off
	v_mov_b32_e32 v0, s6
	v_mov_b32_e32 v1, s7
	buffer_wbl2
	s_waitcnt vmcnt(0)
	global_atomic_cmpswap_x2 v[0:1], v12, v[0:3], s[10:11] offset:32 glc
	s_waitcnt vmcnt(0)
	v_cmp_eq_u64_e32 vcc, v[0:1], v[2:3]
	s_or_b64 s[16:17], vcc, s[16:17]
	v_pk_mov_b32 v[2:3], v[0:1], v[0:1] op_sel:[0,1]
	s_andn2_b64 exec, exec, s[16:17]
	s_cbranch_execnz .LBB103_263
.LBB103_264:
	s_or_b64 exec, exec, s[14:15]
	v_mov_b32_e32 v3, 0
	global_load_dwordx2 v[0:1], v3, s[10:11] offset:16
	s_mov_b64 s[14:15], exec
	v_mbcnt_lo_u32_b32 v2, s14, 0
	v_mbcnt_hi_u32_b32 v2, s15, v2
	v_cmp_eq_u32_e32 vcc, 0, v2
	s_and_saveexec_b64 s[16:17], vcc
	s_cbranch_execz .LBB103_266
; %bb.265:
	s_bcnt1_i32_b64 s14, s[14:15]
	v_mov_b32_e32 v2, s14
	buffer_wbl2
	s_waitcnt vmcnt(0)
	global_atomic_add_x2 v[0:1], v[2:3], off offset:8
.LBB103_266:
	s_or_b64 exec, exec, s[16:17]
	s_waitcnt vmcnt(0)
	global_load_dwordx2 v[2:3], v[0:1], off offset:16
	s_waitcnt vmcnt(0)
	v_cmp_eq_u64_e32 vcc, 0, v[2:3]
	s_cbranch_vccnz .LBB103_268
; %bb.267:
	global_load_dword v0, v[0:1], off offset:24
	v_mov_b32_e32 v1, 0
	buffer_wbl2
	s_waitcnt vmcnt(0)
	global_store_dwordx2 v[2:3], v[0:1], off
	v_and_b32_e32 v0, 0xffffff, v0
	v_readfirstlane_b32 m0, v0
	s_sendmsg sendmsg(MSG_INTERRUPT)
.LBB103_268:
	s_or_b64 exec, exec, s[12:13]
	s_branch .LBB103_272
.LBB103_269:                            ;   in Loop: Header=BB103_272 Depth=1
	s_or_b64 exec, exec, s[12:13]
	v_readfirstlane_b32 s12, v0
	s_cmp_eq_u32 s12, 0
	s_cbranch_scc1 .LBB103_271
; %bb.270:                              ;   in Loop: Header=BB103_272 Depth=1
	s_sleep 1
	s_cbranch_execnz .LBB103_272
	s_branch .LBB103_274
.LBB103_271:
	s_branch .LBB103_274
.LBB103_272:                            ; =>This Inner Loop Header: Depth=1
	v_mov_b32_e32 v0, 1
	s_and_saveexec_b64 s[12:13], s[4:5]
	s_cbranch_execz .LBB103_269
; %bb.273:                              ;   in Loop: Header=BB103_272 Depth=1
	global_load_dword v0, v[10:11], off offset:20 glc
	s_waitcnt vmcnt(0)
	buffer_invl2
	buffer_wbinvl1_vol
	v_and_b32_e32 v0, 1, v0
	s_branch .LBB103_269
.LBB103_274:
	global_load_dwordx2 v[4:5], v[8:9], off
	s_and_saveexec_b64 s[12:13], s[4:5]
	s_cbranch_execz .LBB103_277
; %bb.275:
	v_mov_b32_e32 v8, 0
	global_load_dwordx2 v[6:7], v8, s[10:11] offset:40
	global_load_dwordx2 v[10:11], v8, s[10:11] offset:24 glc
	global_load_dwordx2 v[12:13], v8, s[10:11]
	v_mov_b32_e32 v1, s7
	s_mov_b64 s[4:5], 0
	s_waitcnt vmcnt(2)
	v_add_co_u32_e32 v3, vcc, 1, v6
	v_addc_co_u32_e32 v9, vcc, 0, v7, vcc
	v_add_co_u32_e32 v0, vcc, s6, v3
	v_addc_co_u32_e32 v1, vcc, v9, v1, vcc
	v_cmp_eq_u64_e32 vcc, 0, v[0:1]
	v_cndmask_b32_e32 v1, v1, v9, vcc
	v_cndmask_b32_e32 v0, v0, v3, vcc
	v_and_b32_e32 v3, v1, v7
	v_and_b32_e32 v6, v0, v6
	v_mul_lo_u32 v3, v3, 24
	v_mul_hi_u32 v7, v6, 24
	v_mul_lo_u32 v6, v6, 24
	v_add_u32_e32 v3, v7, v3
	s_waitcnt vmcnt(0)
	v_add_co_u32_e32 v6, vcc, v12, v6
	v_addc_co_u32_e32 v7, vcc, v13, v3, vcc
	v_mov_b32_e32 v2, v10
	global_store_dwordx2 v[6:7], v[10:11], off
	v_mov_b32_e32 v3, v11
	buffer_wbl2
	s_waitcnt vmcnt(0)
	global_atomic_cmpswap_x2 v[2:3], v8, v[0:3], s[10:11] offset:24 glc
	s_waitcnt vmcnt(0)
	v_cmp_ne_u64_e32 vcc, v[2:3], v[10:11]
	s_and_b64 exec, exec, vcc
	s_cbranch_execz .LBB103_277
.LBB103_276:                            ; =>This Inner Loop Header: Depth=1
	s_sleep 1
	global_store_dwordx2 v[6:7], v[2:3], off
	buffer_wbl2
	s_waitcnt vmcnt(0)
	global_atomic_cmpswap_x2 v[10:11], v8, v[0:3], s[10:11] offset:24 glc
	s_waitcnt vmcnt(0)
	v_cmp_eq_u64_e32 vcc, v[10:11], v[2:3]
	s_or_b64 s[4:5], vcc, s[4:5]
	v_pk_mov_b32 v[2:3], v[10:11], v[10:11] op_sel:[0,1]
	s_andn2_b64 exec, exec, s[4:5]
	s_cbranch_execnz .LBB103_276
.LBB103_277:
	s_or_b64 exec, exec, s[12:13]
	v_mov_b32_e32 v0, 0
	s_getpc_b64 s[4:5]
	s_add_u32 s4, s4, __PRETTY_FUNCTION__._ZN4vllm3moe7moeTopKILi256EEEvPKfPKbPfPiS7_iiiib@rel32@lo+4
	s_addc_u32 s5, s5, __PRETTY_FUNCTION__._ZN4vllm3moe7moeTopKILi256EEEvPKfPKbPfPiS7_iiiib@rel32@hi+12
.LBB103_278:                            ; =>This Inner Loop Header: Depth=1
	global_load_ubyte v1, v0, s[4:5]
	s_add_u32 s12, s4, 1
	s_addc_u32 s13, s5, 0
	s_mov_b64 s[4:5], s[12:13]
	s_waitcnt vmcnt(0)
	v_cmp_ne_u16_e32 vcc, 0, v1
	s_cbranch_vccnz .LBB103_278
; %bb.279:
	s_getpc_b64 s[6:7]
	s_add_u32 s6, s6, __PRETTY_FUNCTION__._ZN4vllm3moe7moeTopKILi256EEEvPKfPKbPfPiS7_iiiib@rel32@lo+4
	s_addc_u32 s7, s7, __PRETTY_FUNCTION__._ZN4vllm3moe7moeTopKILi256EEEvPKfPKbPfPiS7_iiiib@rel32@hi+12
	s_cmp_lg_u64 s[6:7], 0
	s_cbranch_scc0 .LBB103_363
; %bb.280:
	s_sub_i32 s12, s12, s6
	s_ashr_i32 s13, s12, 31
	v_and_b32_e32 v26, 2, v4
	v_mov_b32_e32 v29, 0
	v_and_b32_e32 v0, -3, v4
	v_mov_b32_e32 v1, v5
	v_mov_b32_e32 v8, 2
	;; [unrolled: 1-line block ×3, first 2 shown]
	s_branch .LBB103_282
.LBB103_281:                            ;   in Loop: Header=BB103_282 Depth=1
	s_or_b64 exec, exec, s[18:19]
	s_sub_u32 s12, s12, s14
	s_subb_u32 s13, s13, s15
	s_add_u32 s6, s6, s14
	s_addc_u32 s7, s7, s15
	s_cmp_lg_u64 s[12:13], 0
	s_cbranch_scc0 .LBB103_364
.LBB103_282:                            ; =>This Loop Header: Depth=1
                                        ;     Child Loop BB103_285 Depth 2
                                        ;     Child Loop BB103_292 Depth 2
	;; [unrolled: 1-line block ×11, first 2 shown]
	v_cmp_lt_u64_e64 s[4:5], s[12:13], 56
	s_and_b64 s[4:5], s[4:5], exec
	v_cmp_gt_u64_e64 s[4:5], s[12:13], 7
	s_cselect_b32 s15, s13, 0
	s_cselect_b32 s14, s12, 56
	s_and_b64 vcc, exec, s[4:5]
	s_cbranch_vccnz .LBB103_287
; %bb.283:                              ;   in Loop: Header=BB103_282 Depth=1
	s_mov_b64 s[4:5], 0
	s_cmp_eq_u64 s[12:13], 0
	s_waitcnt vmcnt(0)
	v_pk_mov_b32 v[2:3], 0, 0
	s_cbranch_scc1 .LBB103_286
; %bb.284:                              ;   in Loop: Header=BB103_282 Depth=1
	s_lshl_b64 s[16:17], s[14:15], 3
	s_mov_b64 s[18:19], 0
	v_pk_mov_b32 v[2:3], 0, 0
	s_mov_b64 s[20:21], s[6:7]
.LBB103_285:                            ;   Parent Loop BB103_282 Depth=1
                                        ; =>  This Inner Loop Header: Depth=2
	global_load_ubyte v6, v29, s[20:21]
	s_waitcnt vmcnt(0)
	v_and_b32_e32 v28, 0xffff, v6
	v_lshlrev_b64 v[6:7], s18, v[28:29]
	s_add_u32 s18, s18, 8
	s_addc_u32 s19, s19, 0
	s_add_u32 s20, s20, 1
	s_addc_u32 s21, s21, 0
	v_or_b32_e32 v2, v6, v2
	s_cmp_lg_u32 s16, s18
	v_or_b32_e32 v3, v7, v3
	s_cbranch_scc1 .LBB103_285
.LBB103_286:                            ;   in Loop: Header=BB103_282 Depth=1
	s_mov_b32 s20, 0
	s_andn2_b64 vcc, exec, s[4:5]
	s_mov_b64 s[4:5], s[6:7]
	s_cbranch_vccz .LBB103_288
	s_branch .LBB103_289
.LBB103_287:                            ;   in Loop: Header=BB103_282 Depth=1
                                        ; implicit-def: $vgpr2_vgpr3
                                        ; implicit-def: $sgpr20
	s_mov_b64 s[4:5], s[6:7]
.LBB103_288:                            ;   in Loop: Header=BB103_282 Depth=1
	global_load_dwordx2 v[2:3], v29, s[6:7]
	s_add_i32 s20, s14, -8
	s_add_u32 s4, s6, 8
	s_addc_u32 s5, s7, 0
.LBB103_289:                            ;   in Loop: Header=BB103_282 Depth=1
	s_cmp_gt_u32 s20, 7
	s_cbranch_scc1 .LBB103_293
; %bb.290:                              ;   in Loop: Header=BB103_282 Depth=1
	s_cmp_eq_u32 s20, 0
	s_cbranch_scc1 .LBB103_294
; %bb.291:                              ;   in Loop: Header=BB103_282 Depth=1
	s_mov_b64 s[16:17], 0
	v_pk_mov_b32 v[10:11], 0, 0
	s_mov_b64 s[18:19], 0
.LBB103_292:                            ;   Parent Loop BB103_282 Depth=1
                                        ; =>  This Inner Loop Header: Depth=2
	s_add_u32 s22, s4, s18
	s_addc_u32 s23, s5, s19
	global_load_ubyte v6, v29, s[22:23]
	s_add_u32 s18, s18, 1
	s_addc_u32 s19, s19, 0
	s_waitcnt vmcnt(0)
	v_and_b32_e32 v28, 0xffff, v6
	v_lshlrev_b64 v[6:7], s16, v[28:29]
	s_add_u32 s16, s16, 8
	s_addc_u32 s17, s17, 0
	v_or_b32_e32 v10, v6, v10
	s_cmp_lg_u32 s20, s18
	v_or_b32_e32 v11, v7, v11
	s_cbranch_scc1 .LBB103_292
	s_branch .LBB103_295
.LBB103_293:                            ;   in Loop: Header=BB103_282 Depth=1
                                        ; implicit-def: $vgpr10_vgpr11
                                        ; implicit-def: $sgpr21
	s_branch .LBB103_296
.LBB103_294:                            ;   in Loop: Header=BB103_282 Depth=1
	v_pk_mov_b32 v[10:11], 0, 0
.LBB103_295:                            ;   in Loop: Header=BB103_282 Depth=1
	s_mov_b32 s21, 0
	s_cbranch_execnz .LBB103_297
.LBB103_296:                            ;   in Loop: Header=BB103_282 Depth=1
	global_load_dwordx2 v[10:11], v29, s[4:5]
	s_add_i32 s21, s20, -8
	s_add_u32 s4, s4, 8
	s_addc_u32 s5, s5, 0
.LBB103_297:                            ;   in Loop: Header=BB103_282 Depth=1
	s_cmp_gt_u32 s21, 7
	s_cbranch_scc1 .LBB103_301
; %bb.298:                              ;   in Loop: Header=BB103_282 Depth=1
	s_cmp_eq_u32 s21, 0
	s_cbranch_scc1 .LBB103_302
; %bb.299:                              ;   in Loop: Header=BB103_282 Depth=1
	s_mov_b64 s[16:17], 0
	v_pk_mov_b32 v[12:13], 0, 0
	s_mov_b64 s[18:19], 0
.LBB103_300:                            ;   Parent Loop BB103_282 Depth=1
                                        ; =>  This Inner Loop Header: Depth=2
	s_add_u32 s22, s4, s18
	s_addc_u32 s23, s5, s19
	global_load_ubyte v6, v29, s[22:23]
	s_add_u32 s18, s18, 1
	s_addc_u32 s19, s19, 0
	s_waitcnt vmcnt(0)
	v_and_b32_e32 v28, 0xffff, v6
	v_lshlrev_b64 v[6:7], s16, v[28:29]
	s_add_u32 s16, s16, 8
	s_addc_u32 s17, s17, 0
	v_or_b32_e32 v12, v6, v12
	s_cmp_lg_u32 s21, s18
	v_or_b32_e32 v13, v7, v13
	s_cbranch_scc1 .LBB103_300
	s_branch .LBB103_303
.LBB103_301:                            ;   in Loop: Header=BB103_282 Depth=1
                                        ; implicit-def: $sgpr20
	s_branch .LBB103_304
.LBB103_302:                            ;   in Loop: Header=BB103_282 Depth=1
	v_pk_mov_b32 v[12:13], 0, 0
.LBB103_303:                            ;   in Loop: Header=BB103_282 Depth=1
	s_mov_b32 s20, 0
	s_cbranch_execnz .LBB103_305
.LBB103_304:                            ;   in Loop: Header=BB103_282 Depth=1
	global_load_dwordx2 v[12:13], v29, s[4:5]
	s_add_i32 s20, s21, -8
	s_add_u32 s4, s4, 8
	s_addc_u32 s5, s5, 0
.LBB103_305:                            ;   in Loop: Header=BB103_282 Depth=1
	s_cmp_gt_u32 s20, 7
	s_cbranch_scc1 .LBB103_309
; %bb.306:                              ;   in Loop: Header=BB103_282 Depth=1
	s_cmp_eq_u32 s20, 0
	s_cbranch_scc1 .LBB103_310
; %bb.307:                              ;   in Loop: Header=BB103_282 Depth=1
	s_mov_b64 s[16:17], 0
	v_pk_mov_b32 v[14:15], 0, 0
	s_mov_b64 s[18:19], 0
.LBB103_308:                            ;   Parent Loop BB103_282 Depth=1
                                        ; =>  This Inner Loop Header: Depth=2
	s_add_u32 s22, s4, s18
	s_addc_u32 s23, s5, s19
	global_load_ubyte v6, v29, s[22:23]
	s_add_u32 s18, s18, 1
	s_addc_u32 s19, s19, 0
	s_waitcnt vmcnt(0)
	v_and_b32_e32 v28, 0xffff, v6
	v_lshlrev_b64 v[6:7], s16, v[28:29]
	s_add_u32 s16, s16, 8
	s_addc_u32 s17, s17, 0
	v_or_b32_e32 v14, v6, v14
	s_cmp_lg_u32 s20, s18
	v_or_b32_e32 v15, v7, v15
	s_cbranch_scc1 .LBB103_308
	s_branch .LBB103_311
.LBB103_309:                            ;   in Loop: Header=BB103_282 Depth=1
                                        ; implicit-def: $vgpr14_vgpr15
                                        ; implicit-def: $sgpr21
	s_branch .LBB103_312
.LBB103_310:                            ;   in Loop: Header=BB103_282 Depth=1
	v_pk_mov_b32 v[14:15], 0, 0
.LBB103_311:                            ;   in Loop: Header=BB103_282 Depth=1
	s_mov_b32 s21, 0
	s_cbranch_execnz .LBB103_313
.LBB103_312:                            ;   in Loop: Header=BB103_282 Depth=1
	global_load_dwordx2 v[14:15], v29, s[4:5]
	s_add_i32 s21, s20, -8
	s_add_u32 s4, s4, 8
	s_addc_u32 s5, s5, 0
.LBB103_313:                            ;   in Loop: Header=BB103_282 Depth=1
	s_cmp_gt_u32 s21, 7
	s_cbranch_scc1 .LBB103_317
; %bb.314:                              ;   in Loop: Header=BB103_282 Depth=1
	s_cmp_eq_u32 s21, 0
	s_cbranch_scc1 .LBB103_318
; %bb.315:                              ;   in Loop: Header=BB103_282 Depth=1
	s_mov_b64 s[16:17], 0
	v_pk_mov_b32 v[16:17], 0, 0
	s_mov_b64 s[18:19], 0
.LBB103_316:                            ;   Parent Loop BB103_282 Depth=1
                                        ; =>  This Inner Loop Header: Depth=2
	s_add_u32 s22, s4, s18
	s_addc_u32 s23, s5, s19
	global_load_ubyte v6, v29, s[22:23]
	s_add_u32 s18, s18, 1
	s_addc_u32 s19, s19, 0
	s_waitcnt vmcnt(0)
	v_and_b32_e32 v28, 0xffff, v6
	v_lshlrev_b64 v[6:7], s16, v[28:29]
	s_add_u32 s16, s16, 8
	s_addc_u32 s17, s17, 0
	v_or_b32_e32 v16, v6, v16
	s_cmp_lg_u32 s21, s18
	v_or_b32_e32 v17, v7, v17
	s_cbranch_scc1 .LBB103_316
	s_branch .LBB103_319
.LBB103_317:                            ;   in Loop: Header=BB103_282 Depth=1
                                        ; implicit-def: $sgpr20
	s_branch .LBB103_320
.LBB103_318:                            ;   in Loop: Header=BB103_282 Depth=1
	v_pk_mov_b32 v[16:17], 0, 0
.LBB103_319:                            ;   in Loop: Header=BB103_282 Depth=1
	s_mov_b32 s20, 0
	s_cbranch_execnz .LBB103_321
.LBB103_320:                            ;   in Loop: Header=BB103_282 Depth=1
	global_load_dwordx2 v[16:17], v29, s[4:5]
	s_add_i32 s20, s21, -8
	s_add_u32 s4, s4, 8
	s_addc_u32 s5, s5, 0
.LBB103_321:                            ;   in Loop: Header=BB103_282 Depth=1
	s_cmp_gt_u32 s20, 7
	s_cbranch_scc1 .LBB103_325
; %bb.322:                              ;   in Loop: Header=BB103_282 Depth=1
	s_cmp_eq_u32 s20, 0
	s_cbranch_scc1 .LBB103_326
; %bb.323:                              ;   in Loop: Header=BB103_282 Depth=1
	s_mov_b64 s[16:17], 0
	v_pk_mov_b32 v[18:19], 0, 0
	s_mov_b64 s[18:19], 0
.LBB103_324:                            ;   Parent Loop BB103_282 Depth=1
                                        ; =>  This Inner Loop Header: Depth=2
	s_add_u32 s22, s4, s18
	s_addc_u32 s23, s5, s19
	global_load_ubyte v6, v29, s[22:23]
	s_add_u32 s18, s18, 1
	s_addc_u32 s19, s19, 0
	s_waitcnt vmcnt(0)
	v_and_b32_e32 v28, 0xffff, v6
	v_lshlrev_b64 v[6:7], s16, v[28:29]
	s_add_u32 s16, s16, 8
	s_addc_u32 s17, s17, 0
	v_or_b32_e32 v18, v6, v18
	s_cmp_lg_u32 s20, s18
	v_or_b32_e32 v19, v7, v19
	s_cbranch_scc1 .LBB103_324
	s_branch .LBB103_327
.LBB103_325:                            ;   in Loop: Header=BB103_282 Depth=1
                                        ; implicit-def: $vgpr18_vgpr19
                                        ; implicit-def: $sgpr21
	s_branch .LBB103_328
.LBB103_326:                            ;   in Loop: Header=BB103_282 Depth=1
	v_pk_mov_b32 v[18:19], 0, 0
.LBB103_327:                            ;   in Loop: Header=BB103_282 Depth=1
	s_mov_b32 s21, 0
	s_cbranch_execnz .LBB103_329
.LBB103_328:                            ;   in Loop: Header=BB103_282 Depth=1
	global_load_dwordx2 v[18:19], v29, s[4:5]
	s_add_i32 s21, s20, -8
	s_add_u32 s4, s4, 8
	s_addc_u32 s5, s5, 0
.LBB103_329:                            ;   in Loop: Header=BB103_282 Depth=1
	s_cmp_gt_u32 s21, 7
	s_cbranch_scc1 .LBB103_333
; %bb.330:                              ;   in Loop: Header=BB103_282 Depth=1
	s_cmp_eq_u32 s21, 0
	s_cbranch_scc1 .LBB103_334
; %bb.331:                              ;   in Loop: Header=BB103_282 Depth=1
	s_mov_b64 s[16:17], 0
	v_pk_mov_b32 v[20:21], 0, 0
	s_mov_b64 s[18:19], s[4:5]
.LBB103_332:                            ;   Parent Loop BB103_282 Depth=1
                                        ; =>  This Inner Loop Header: Depth=2
	global_load_ubyte v6, v29, s[18:19]
	s_add_i32 s21, s21, -1
	s_waitcnt vmcnt(0)
	v_and_b32_e32 v28, 0xffff, v6
	v_lshlrev_b64 v[6:7], s16, v[28:29]
	s_add_u32 s16, s16, 8
	s_addc_u32 s17, s17, 0
	s_add_u32 s18, s18, 1
	s_addc_u32 s19, s19, 0
	v_or_b32_e32 v20, v6, v20
	s_cmp_lg_u32 s21, 0
	v_or_b32_e32 v21, v7, v21
	s_cbranch_scc1 .LBB103_332
	s_branch .LBB103_335
.LBB103_333:                            ;   in Loop: Header=BB103_282 Depth=1
	s_branch .LBB103_336
.LBB103_334:                            ;   in Loop: Header=BB103_282 Depth=1
	v_pk_mov_b32 v[20:21], 0, 0
.LBB103_335:                            ;   in Loop: Header=BB103_282 Depth=1
	s_cbranch_execnz .LBB103_337
.LBB103_336:                            ;   in Loop: Header=BB103_282 Depth=1
	global_load_dwordx2 v[20:21], v29, s[4:5]
.LBB103_337:                            ;   in Loop: Header=BB103_282 Depth=1
	v_readfirstlane_b32 s4, v35
	v_cmp_eq_u32_e64 s[4:5], s4, v35
	v_pk_mov_b32 v[6:7], 0, 0
	s_and_saveexec_b64 s[16:17], s[4:5]
	s_cbranch_execz .LBB103_343
; %bb.338:                              ;   in Loop: Header=BB103_282 Depth=1
	global_load_dwordx2 v[24:25], v29, s[10:11] offset:24 glc
	s_waitcnt vmcnt(0)
	buffer_invl2
	buffer_wbinvl1_vol
	global_load_dwordx2 v[6:7], v29, s[10:11] offset:40
	global_load_dwordx2 v[22:23], v29, s[10:11]
	s_waitcnt vmcnt(1)
	v_and_b32_e32 v6, v6, v24
	v_and_b32_e32 v7, v7, v25
	v_mul_lo_u32 v7, v7, 24
	v_mul_hi_u32 v27, v6, 24
	v_mul_lo_u32 v6, v6, 24
	v_add_u32_e32 v7, v27, v7
	s_waitcnt vmcnt(0)
	v_add_co_u32_e32 v6, vcc, v22, v6
	v_addc_co_u32_e32 v7, vcc, v23, v7, vcc
	global_load_dwordx2 v[22:23], v[6:7], off glc
	s_waitcnt vmcnt(0)
	global_atomic_cmpswap_x2 v[6:7], v29, v[22:25], s[10:11] offset:24 glc
	s_waitcnt vmcnt(0)
	buffer_invl2
	buffer_wbinvl1_vol
	v_cmp_ne_u64_e32 vcc, v[6:7], v[24:25]
	s_and_saveexec_b64 s[18:19], vcc
	s_cbranch_execz .LBB103_342
; %bb.339:                              ;   in Loop: Header=BB103_282 Depth=1
	s_mov_b64 s[20:21], 0
.LBB103_340:                            ;   Parent Loop BB103_282 Depth=1
                                        ; =>  This Inner Loop Header: Depth=2
	s_sleep 1
	global_load_dwordx2 v[22:23], v29, s[10:11] offset:40
	global_load_dwordx2 v[30:31], v29, s[10:11]
	v_pk_mov_b32 v[24:25], v[6:7], v[6:7] op_sel:[0,1]
	s_waitcnt vmcnt(1)
	v_and_b32_e32 v6, v22, v24
	s_waitcnt vmcnt(0)
	v_mad_u64_u32 v[6:7], s[22:23], v6, 24, v[30:31]
	v_and_b32_e32 v23, v23, v25
	v_mov_b32_e32 v22, v7
	v_mad_u64_u32 v[22:23], s[22:23], v23, 24, v[22:23]
	v_mov_b32_e32 v7, v22
	global_load_dwordx2 v[22:23], v[6:7], off glc
	s_waitcnt vmcnt(0)
	global_atomic_cmpswap_x2 v[6:7], v29, v[22:25], s[10:11] offset:24 glc
	s_waitcnt vmcnt(0)
	buffer_invl2
	buffer_wbinvl1_vol
	v_cmp_eq_u64_e32 vcc, v[6:7], v[24:25]
	s_or_b64 s[20:21], vcc, s[20:21]
	s_andn2_b64 exec, exec, s[20:21]
	s_cbranch_execnz .LBB103_340
; %bb.341:                              ;   in Loop: Header=BB103_282 Depth=1
	s_or_b64 exec, exec, s[20:21]
.LBB103_342:                            ;   in Loop: Header=BB103_282 Depth=1
	s_or_b64 exec, exec, s[18:19]
.LBB103_343:                            ;   in Loop: Header=BB103_282 Depth=1
	s_or_b64 exec, exec, s[16:17]
	global_load_dwordx2 v[30:31], v29, s[10:11] offset:40
	global_load_dwordx4 v[22:25], v29, s[10:11]
	v_readfirstlane_b32 s16, v6
	v_readfirstlane_b32 s17, v7
	s_mov_b64 s[18:19], exec
	s_waitcnt vmcnt(1)
	v_readfirstlane_b32 s20, v30
	v_readfirstlane_b32 s21, v31
	s_and_b64 s[20:21], s[16:17], s[20:21]
	s_mul_i32 s22, s21, 24
	s_mul_hi_u32 s23, s20, 24
	s_mul_i32 s24, s20, 24
	s_add_i32 s22, s23, s22
	v_mov_b32_e32 v6, s22
	s_waitcnt vmcnt(0)
	v_add_co_u32_e32 v30, vcc, s24, v22
	v_addc_co_u32_e32 v31, vcc, v23, v6, vcc
	s_and_saveexec_b64 s[22:23], s[4:5]
	s_cbranch_execz .LBB103_345
; %bb.344:                              ;   in Loop: Header=BB103_282 Depth=1
	v_pk_mov_b32 v[6:7], s[18:19], s[18:19] op_sel:[0,1]
	global_store_dwordx4 v[30:31], v[6:9], off offset:8
.LBB103_345:                            ;   in Loop: Header=BB103_282 Depth=1
	s_or_b64 exec, exec, s[22:23]
	s_lshl_b64 s[18:19], s[20:21], 12
	v_mov_b32_e32 v7, s19
	v_add_co_u32_e32 v6, vcc, s18, v24
	v_addc_co_u32_e32 v7, vcc, v25, v7, vcc
	v_or_b32_e32 v25, v0, v26
	v_cmp_gt_u64_e64 vcc, s[12:13], 56
	s_lshl_b32 s18, s14, 2
	v_cndmask_b32_e32 v0, v25, v0, vcc
	s_add_i32 s18, s18, 28
	v_or_b32_e32 v24, 0, v1
	s_and_b32 s18, s18, 0x1e0
	v_and_b32_e32 v0, 0xffffff1f, v0
	v_cndmask_b32_e32 v1, v24, v1, vcc
	v_or_b32_e32 v0, s18, v0
	v_readfirstlane_b32 s18, v6
	v_readfirstlane_b32 s19, v7
	s_nop 4
	global_store_dwordx4 v34, v[0:3], s[18:19]
	global_store_dwordx4 v34, v[10:13], s[18:19] offset:16
	global_store_dwordx4 v34, v[14:17], s[18:19] offset:32
	;; [unrolled: 1-line block ×3, first 2 shown]
	s_and_saveexec_b64 s[18:19], s[4:5]
	s_cbranch_execz .LBB103_353
; %bb.346:                              ;   in Loop: Header=BB103_282 Depth=1
	global_load_dwordx2 v[14:15], v29, s[10:11] offset:32 glc
	global_load_dwordx2 v[0:1], v29, s[10:11] offset:40
	v_mov_b32_e32 v12, s16
	v_mov_b32_e32 v13, s17
	s_waitcnt vmcnt(0)
	v_readfirstlane_b32 s20, v0
	v_readfirstlane_b32 s21, v1
	s_and_b64 s[20:21], s[20:21], s[16:17]
	s_mul_i32 s21, s21, 24
	s_mul_hi_u32 s22, s20, 24
	s_mul_i32 s20, s20, 24
	s_add_i32 s21, s22, s21
	v_mov_b32_e32 v0, s21
	v_add_co_u32_e32 v10, vcc, s20, v22
	v_addc_co_u32_e32 v11, vcc, v23, v0, vcc
	global_store_dwordx2 v[10:11], v[14:15], off
	buffer_wbl2
	s_waitcnt vmcnt(0)
	global_atomic_cmpswap_x2 v[2:3], v29, v[12:15], s[10:11] offset:32 glc
	s_waitcnt vmcnt(0)
	v_cmp_ne_u64_e32 vcc, v[2:3], v[14:15]
	s_and_saveexec_b64 s[20:21], vcc
	s_cbranch_execz .LBB103_349
; %bb.347:                              ;   in Loop: Header=BB103_282 Depth=1
	s_mov_b64 s[22:23], 0
.LBB103_348:                            ;   Parent Loop BB103_282 Depth=1
                                        ; =>  This Inner Loop Header: Depth=2
	s_sleep 1
	global_store_dwordx2 v[10:11], v[2:3], off
	v_mov_b32_e32 v0, s16
	v_mov_b32_e32 v1, s17
	buffer_wbl2
	s_waitcnt vmcnt(0)
	global_atomic_cmpswap_x2 v[0:1], v29, v[0:3], s[10:11] offset:32 glc
	s_waitcnt vmcnt(0)
	v_cmp_eq_u64_e32 vcc, v[0:1], v[2:3]
	s_or_b64 s[22:23], vcc, s[22:23]
	v_pk_mov_b32 v[2:3], v[0:1], v[0:1] op_sel:[0,1]
	s_andn2_b64 exec, exec, s[22:23]
	s_cbranch_execnz .LBB103_348
.LBB103_349:                            ;   in Loop: Header=BB103_282 Depth=1
	s_or_b64 exec, exec, s[20:21]
	global_load_dwordx2 v[0:1], v29, s[10:11] offset:16
	s_mov_b64 s[22:23], exec
	v_mbcnt_lo_u32_b32 v2, s22, 0
	v_mbcnt_hi_u32_b32 v2, s23, v2
	v_cmp_eq_u32_e32 vcc, 0, v2
	s_and_saveexec_b64 s[20:21], vcc
	s_cbranch_execz .LBB103_351
; %bb.350:                              ;   in Loop: Header=BB103_282 Depth=1
	s_bcnt1_i32_b64 s22, s[22:23]
	v_mov_b32_e32 v28, s22
	buffer_wbl2
	s_waitcnt vmcnt(0)
	global_atomic_add_x2 v[0:1], v[28:29], off offset:8
.LBB103_351:                            ;   in Loop: Header=BB103_282 Depth=1
	s_or_b64 exec, exec, s[20:21]
	s_waitcnt vmcnt(0)
	global_load_dwordx2 v[2:3], v[0:1], off offset:16
	s_waitcnt vmcnt(0)
	v_cmp_eq_u64_e32 vcc, 0, v[2:3]
	s_cbranch_vccnz .LBB103_353
; %bb.352:                              ;   in Loop: Header=BB103_282 Depth=1
	global_load_dword v28, v[0:1], off offset:24
	s_waitcnt vmcnt(0)
	v_and_b32_e32 v0, 0xffffff, v28
	v_readfirstlane_b32 m0, v0
	buffer_wbl2
	global_store_dwordx2 v[2:3], v[28:29], off
	s_sendmsg sendmsg(MSG_INTERRUPT)
.LBB103_353:                            ;   in Loop: Header=BB103_282 Depth=1
	s_or_b64 exec, exec, s[18:19]
	v_add_co_u32_e32 v0, vcc, v6, v34
	v_addc_co_u32_e32 v1, vcc, 0, v7, vcc
	s_branch .LBB103_357
.LBB103_354:                            ;   in Loop: Header=BB103_357 Depth=2
	s_or_b64 exec, exec, s[18:19]
	v_readfirstlane_b32 s18, v2
	s_cmp_eq_u32 s18, 0
	s_cbranch_scc1 .LBB103_356
; %bb.355:                              ;   in Loop: Header=BB103_357 Depth=2
	s_sleep 1
	s_cbranch_execnz .LBB103_357
	s_branch .LBB103_359
.LBB103_356:                            ;   in Loop: Header=BB103_282 Depth=1
	s_branch .LBB103_359
.LBB103_357:                            ;   Parent Loop BB103_282 Depth=1
                                        ; =>  This Inner Loop Header: Depth=2
	v_mov_b32_e32 v2, 1
	s_and_saveexec_b64 s[18:19], s[4:5]
	s_cbranch_execz .LBB103_354
; %bb.358:                              ;   in Loop: Header=BB103_357 Depth=2
	global_load_dword v2, v[30:31], off offset:20 glc
	s_waitcnt vmcnt(0)
	buffer_invl2
	buffer_wbinvl1_vol
	v_and_b32_e32 v2, 1, v2
	s_branch .LBB103_354
.LBB103_359:                            ;   in Loop: Header=BB103_282 Depth=1
	global_load_dwordx4 v[0:3], v[0:1], off
	s_and_saveexec_b64 s[18:19], s[4:5]
	s_cbranch_execz .LBB103_281
; %bb.360:                              ;   in Loop: Header=BB103_282 Depth=1
	global_load_dwordx2 v[2:3], v29, s[10:11] offset:40
	global_load_dwordx2 v[6:7], v29, s[10:11] offset:24 glc
	global_load_dwordx2 v[14:15], v29, s[10:11]
	v_mov_b32_e32 v11, s17
	s_waitcnt vmcnt(2)
	v_add_co_u32_e32 v13, vcc, 1, v2
	v_addc_co_u32_e32 v16, vcc, 0, v3, vcc
	v_add_co_u32_e32 v10, vcc, s16, v13
	v_addc_co_u32_e32 v11, vcc, v16, v11, vcc
	v_cmp_eq_u64_e32 vcc, 0, v[10:11]
	v_cndmask_b32_e32 v11, v11, v16, vcc
	v_cndmask_b32_e32 v10, v10, v13, vcc
	v_and_b32_e32 v3, v11, v3
	v_and_b32_e32 v2, v10, v2
	v_mul_lo_u32 v3, v3, 24
	v_mul_hi_u32 v13, v2, 24
	v_mul_lo_u32 v2, v2, 24
	v_add_u32_e32 v3, v13, v3
	s_waitcnt vmcnt(0)
	v_add_co_u32_e32 v2, vcc, v14, v2
	v_addc_co_u32_e32 v3, vcc, v15, v3, vcc
	v_mov_b32_e32 v12, v6
	global_store_dwordx2 v[2:3], v[6:7], off
	v_mov_b32_e32 v13, v7
	buffer_wbl2
	s_waitcnt vmcnt(0)
	global_atomic_cmpswap_x2 v[12:13], v29, v[10:13], s[10:11] offset:24 glc
	s_waitcnt vmcnt(0)
	v_cmp_ne_u64_e32 vcc, v[12:13], v[6:7]
	s_and_b64 exec, exec, vcc
	s_cbranch_execz .LBB103_281
; %bb.361:                              ;   in Loop: Header=BB103_282 Depth=1
	s_mov_b64 s[4:5], 0
.LBB103_362:                            ;   Parent Loop BB103_282 Depth=1
                                        ; =>  This Inner Loop Header: Depth=2
	s_sleep 1
	global_store_dwordx2 v[2:3], v[12:13], off
	buffer_wbl2
	s_waitcnt vmcnt(0)
	global_atomic_cmpswap_x2 v[6:7], v29, v[10:13], s[10:11] offset:24 glc
	s_waitcnt vmcnt(0)
	v_cmp_eq_u64_e32 vcc, v[6:7], v[12:13]
	s_or_b64 s[4:5], vcc, s[4:5]
	v_pk_mov_b32 v[12:13], v[6:7], v[6:7] op_sel:[0,1]
	s_andn2_b64 exec, exec, s[4:5]
	s_cbranch_execnz .LBB103_362
	s_branch .LBB103_281
.LBB103_363:
                                        ; implicit-def: $vgpr0_vgpr1
	s_cbranch_execnz .LBB103_365
	s_branch .LBB103_391
.LBB103_364:
	s_branch .LBB103_391
.LBB103_365:
	v_readfirstlane_b32 s4, v35
	v_cmp_eq_u32_e64 s[4:5], s4, v35
	v_pk_mov_b32 v[8:9], 0, 0
	s_and_saveexec_b64 s[6:7], s[4:5]
	s_cbranch_execz .LBB103_371
; %bb.366:
	s_waitcnt vmcnt(0)
	v_mov_b32_e32 v0, 0
	global_load_dwordx2 v[10:11], v0, s[10:11] offset:24 glc
	s_waitcnt vmcnt(0)
	buffer_invl2
	buffer_wbinvl1_vol
	global_load_dwordx2 v[2:3], v0, s[10:11] offset:40
	global_load_dwordx2 v[6:7], v0, s[10:11]
	s_waitcnt vmcnt(1)
	v_and_b32_e32 v1, v2, v10
	v_and_b32_e32 v2, v3, v11
	v_mul_lo_u32 v2, v2, 24
	v_mul_hi_u32 v3, v1, 24
	v_mul_lo_u32 v1, v1, 24
	v_add_u32_e32 v3, v3, v2
	s_waitcnt vmcnt(0)
	v_add_co_u32_e32 v2, vcc, v6, v1
	v_addc_co_u32_e32 v3, vcc, v7, v3, vcc
	global_load_dwordx2 v[8:9], v[2:3], off glc
	s_waitcnt vmcnt(0)
	global_atomic_cmpswap_x2 v[8:9], v0, v[8:11], s[10:11] offset:24 glc
	s_waitcnt vmcnt(0)
	buffer_invl2
	buffer_wbinvl1_vol
	v_cmp_ne_u64_e32 vcc, v[8:9], v[10:11]
	s_and_saveexec_b64 s[12:13], vcc
	s_cbranch_execz .LBB103_370
; %bb.367:
	s_mov_b64 s[14:15], 0
.LBB103_368:                            ; =>This Inner Loop Header: Depth=1
	s_sleep 1
	global_load_dwordx2 v[2:3], v0, s[10:11] offset:40
	global_load_dwordx2 v[6:7], v0, s[10:11]
	v_pk_mov_b32 v[10:11], v[8:9], v[8:9] op_sel:[0,1]
	s_waitcnt vmcnt(1)
	v_and_b32_e32 v2, v2, v10
	v_and_b32_e32 v1, v3, v11
	s_waitcnt vmcnt(0)
	v_mad_u64_u32 v[2:3], s[16:17], v2, 24, v[6:7]
	v_mov_b32_e32 v6, v3
	v_mad_u64_u32 v[6:7], s[16:17], v1, 24, v[6:7]
	v_mov_b32_e32 v3, v6
	global_load_dwordx2 v[8:9], v[2:3], off glc
	s_waitcnt vmcnt(0)
	global_atomic_cmpswap_x2 v[8:9], v0, v[8:11], s[10:11] offset:24 glc
	s_waitcnt vmcnt(0)
	buffer_invl2
	buffer_wbinvl1_vol
	v_cmp_eq_u64_e32 vcc, v[8:9], v[10:11]
	s_or_b64 s[14:15], vcc, s[14:15]
	s_andn2_b64 exec, exec, s[14:15]
	s_cbranch_execnz .LBB103_368
; %bb.369:
	s_or_b64 exec, exec, s[14:15]
.LBB103_370:
	s_or_b64 exec, exec, s[12:13]
.LBB103_371:
	s_or_b64 exec, exec, s[6:7]
	v_mov_b32_e32 v6, 0
	global_load_dwordx2 v[10:11], v6, s[10:11] offset:40
	global_load_dwordx4 v[0:3], v6, s[10:11]
	v_readfirstlane_b32 s6, v8
	v_readfirstlane_b32 s7, v9
	s_mov_b64 s[12:13], exec
	s_waitcnt vmcnt(1)
	v_readfirstlane_b32 s14, v10
	v_readfirstlane_b32 s15, v11
	s_and_b64 s[14:15], s[6:7], s[14:15]
	s_mul_i32 s16, s15, 24
	s_mul_hi_u32 s17, s14, 24
	s_mul_i32 s18, s14, 24
	s_add_i32 s16, s17, s16
	v_mov_b32_e32 v7, s16
	s_waitcnt vmcnt(0)
	v_add_co_u32_e32 v8, vcc, s18, v0
	v_addc_co_u32_e32 v9, vcc, v1, v7, vcc
	s_and_saveexec_b64 s[16:17], s[4:5]
	s_cbranch_execz .LBB103_373
; %bb.372:
	v_pk_mov_b32 v[10:11], s[12:13], s[12:13] op_sel:[0,1]
	v_mov_b32_e32 v12, 2
	v_mov_b32_e32 v13, 1
	global_store_dwordx4 v[8:9], v[10:13], off offset:8
.LBB103_373:
	s_or_b64 exec, exec, s[16:17]
	s_lshl_b64 s[12:13], s[14:15], 12
	v_mov_b32_e32 v7, s13
	v_add_co_u32_e32 v2, vcc, s12, v2
	s_movk_i32 s12, 0xff1f
	v_addc_co_u32_e32 v3, vcc, v3, v7, vcc
	v_and_or_b32 v4, v4, s12, 32
	s_mov_b32 s12, 0
	v_add_co_u32_e32 v10, vcc, v2, v34
	v_mov_b32_e32 v7, v6
	v_readfirstlane_b32 s16, v2
	v_readfirstlane_b32 s17, v3
	s_mov_b32 s13, s12
	v_addc_co_u32_e32 v11, vcc, 0, v3, vcc
	s_mov_b32 s14, s12
	s_mov_b32 s15, s12
	s_nop 0
	global_store_dwordx4 v34, v[4:7], s[16:17]
	v_pk_mov_b32 v[2:3], s[12:13], s[12:13] op_sel:[0,1]
	v_pk_mov_b32 v[4:5], s[14:15], s[14:15] op_sel:[0,1]
	global_store_dwordx4 v34, v[2:5], s[16:17] offset:16
	global_store_dwordx4 v34, v[2:5], s[16:17] offset:32
	global_store_dwordx4 v34, v[2:5], s[16:17] offset:48
	s_and_saveexec_b64 s[12:13], s[4:5]
	s_cbranch_execz .LBB103_381
; %bb.374:
	v_mov_b32_e32 v6, 0
	global_load_dwordx2 v[14:15], v6, s[10:11] offset:32 glc
	global_load_dwordx2 v[2:3], v6, s[10:11] offset:40
	v_mov_b32_e32 v12, s6
	v_mov_b32_e32 v13, s7
	s_waitcnt vmcnt(0)
	v_readfirstlane_b32 s14, v2
	v_readfirstlane_b32 s15, v3
	s_and_b64 s[14:15], s[14:15], s[6:7]
	s_mul_i32 s15, s15, 24
	s_mul_hi_u32 s16, s14, 24
	s_mul_i32 s14, s14, 24
	s_add_i32 s15, s16, s15
	v_mov_b32_e32 v2, s15
	v_add_co_u32_e32 v4, vcc, s14, v0
	v_addc_co_u32_e32 v5, vcc, v1, v2, vcc
	global_store_dwordx2 v[4:5], v[14:15], off
	buffer_wbl2
	s_waitcnt vmcnt(0)
	global_atomic_cmpswap_x2 v[2:3], v6, v[12:15], s[10:11] offset:32 glc
	s_waitcnt vmcnt(0)
	v_cmp_ne_u64_e32 vcc, v[2:3], v[14:15]
	s_and_saveexec_b64 s[14:15], vcc
	s_cbranch_execz .LBB103_377
; %bb.375:
	s_mov_b64 s[16:17], 0
.LBB103_376:                            ; =>This Inner Loop Header: Depth=1
	s_sleep 1
	global_store_dwordx2 v[4:5], v[2:3], off
	v_mov_b32_e32 v0, s6
	v_mov_b32_e32 v1, s7
	buffer_wbl2
	s_waitcnt vmcnt(0)
	global_atomic_cmpswap_x2 v[0:1], v6, v[0:3], s[10:11] offset:32 glc
	s_waitcnt vmcnt(0)
	v_cmp_eq_u64_e32 vcc, v[0:1], v[2:3]
	s_or_b64 s[16:17], vcc, s[16:17]
	v_pk_mov_b32 v[2:3], v[0:1], v[0:1] op_sel:[0,1]
	s_andn2_b64 exec, exec, s[16:17]
	s_cbranch_execnz .LBB103_376
.LBB103_377:
	s_or_b64 exec, exec, s[14:15]
	v_mov_b32_e32 v3, 0
	global_load_dwordx2 v[0:1], v3, s[10:11] offset:16
	s_mov_b64 s[14:15], exec
	v_mbcnt_lo_u32_b32 v2, s14, 0
	v_mbcnt_hi_u32_b32 v2, s15, v2
	v_cmp_eq_u32_e32 vcc, 0, v2
	s_and_saveexec_b64 s[16:17], vcc
	s_cbranch_execz .LBB103_379
; %bb.378:
	s_bcnt1_i32_b64 s14, s[14:15]
	v_mov_b32_e32 v2, s14
	buffer_wbl2
	s_waitcnt vmcnt(0)
	global_atomic_add_x2 v[0:1], v[2:3], off offset:8
.LBB103_379:
	s_or_b64 exec, exec, s[16:17]
	s_waitcnt vmcnt(0)
	global_load_dwordx2 v[2:3], v[0:1], off offset:16
	s_waitcnt vmcnt(0)
	v_cmp_eq_u64_e32 vcc, 0, v[2:3]
	s_cbranch_vccnz .LBB103_381
; %bb.380:
	global_load_dword v0, v[0:1], off offset:24
	v_mov_b32_e32 v1, 0
	buffer_wbl2
	s_waitcnt vmcnt(0)
	global_store_dwordx2 v[2:3], v[0:1], off
	v_and_b32_e32 v0, 0xffffff, v0
	v_readfirstlane_b32 m0, v0
	s_sendmsg sendmsg(MSG_INTERRUPT)
.LBB103_381:
	s_or_b64 exec, exec, s[12:13]
	s_branch .LBB103_385
.LBB103_382:                            ;   in Loop: Header=BB103_385 Depth=1
	s_or_b64 exec, exec, s[12:13]
	v_readfirstlane_b32 s12, v0
	s_cmp_eq_u32 s12, 0
	s_cbranch_scc1 .LBB103_384
; %bb.383:                              ;   in Loop: Header=BB103_385 Depth=1
	s_sleep 1
	s_cbranch_execnz .LBB103_385
	s_branch .LBB103_387
.LBB103_384:
	s_branch .LBB103_387
.LBB103_385:                            ; =>This Inner Loop Header: Depth=1
	v_mov_b32_e32 v0, 1
	s_and_saveexec_b64 s[12:13], s[4:5]
	s_cbranch_execz .LBB103_382
; %bb.386:                              ;   in Loop: Header=BB103_385 Depth=1
	global_load_dword v0, v[8:9], off offset:20 glc
	s_waitcnt vmcnt(0)
	buffer_invl2
	buffer_wbinvl1_vol
	v_and_b32_e32 v0, 1, v0
	s_branch .LBB103_382
.LBB103_387:
	global_load_dwordx2 v[0:1], v[10:11], off
	s_and_saveexec_b64 s[12:13], s[4:5]
	s_cbranch_execz .LBB103_390
; %bb.388:
	v_mov_b32_e32 v8, 0
	global_load_dwordx2 v[6:7], v8, s[10:11] offset:40
	global_load_dwordx2 v[10:11], v8, s[10:11] offset:24 glc
	global_load_dwordx2 v[12:13], v8, s[10:11]
	v_mov_b32_e32 v3, s7
	s_mov_b64 s[4:5], 0
	s_waitcnt vmcnt(2)
	v_add_co_u32_e32 v5, vcc, 1, v6
	v_addc_co_u32_e32 v9, vcc, 0, v7, vcc
	v_add_co_u32_e32 v2, vcc, s6, v5
	v_addc_co_u32_e32 v3, vcc, v9, v3, vcc
	v_cmp_eq_u64_e32 vcc, 0, v[2:3]
	v_cndmask_b32_e32 v3, v3, v9, vcc
	v_cndmask_b32_e32 v2, v2, v5, vcc
	v_and_b32_e32 v5, v3, v7
	v_and_b32_e32 v6, v2, v6
	v_mul_lo_u32 v5, v5, 24
	v_mul_hi_u32 v7, v6, 24
	v_mul_lo_u32 v6, v6, 24
	v_add_u32_e32 v5, v7, v5
	s_waitcnt vmcnt(0)
	v_add_co_u32_e32 v6, vcc, v12, v6
	v_addc_co_u32_e32 v7, vcc, v13, v5, vcc
	v_mov_b32_e32 v4, v10
	global_store_dwordx2 v[6:7], v[10:11], off
	v_mov_b32_e32 v5, v11
	buffer_wbl2
	s_waitcnt vmcnt(0)
	global_atomic_cmpswap_x2 v[4:5], v8, v[2:5], s[10:11] offset:24 glc
	s_waitcnt vmcnt(0)
	v_cmp_ne_u64_e32 vcc, v[4:5], v[10:11]
	s_and_b64 exec, exec, vcc
	s_cbranch_execz .LBB103_390
.LBB103_389:                            ; =>This Inner Loop Header: Depth=1
	s_sleep 1
	global_store_dwordx2 v[6:7], v[4:5], off
	buffer_wbl2
	s_waitcnt vmcnt(0)
	global_atomic_cmpswap_x2 v[10:11], v8, v[2:5], s[10:11] offset:24 glc
	s_waitcnt vmcnt(0)
	v_cmp_eq_u64_e32 vcc, v[10:11], v[4:5]
	s_or_b64 s[4:5], vcc, s[4:5]
	v_pk_mov_b32 v[4:5], v[10:11], v[10:11] op_sel:[0,1]
	s_andn2_b64 exec, exec, s[4:5]
	s_cbranch_execnz .LBB103_389
.LBB103_390:
	s_or_b64 exec, exec, s[12:13]
.LBB103_391:
	s_getpc_b64 s[4:5]
	s_add_u32 s4, s4, .str.1@rel32@lo+4
	s_addc_u32 s5, s5, .str.1@rel32@hi+12
	s_getpc_b64 s[6:7]
	s_add_u32 s6, s6, .str.1@rel32@lo+22
	s_addc_u32 s7, s7, .str.1@rel32@hi+30
	s_sub_i32 s10, s6, s4
	s_ashr_i32 s11, s10, 31
	s_waitcnt vmcnt(0)
	v_mov_b32_e32 v2, s4
	v_mov_b32_e32 v3, s5
	;; [unrolled: 1-line block ×5, first 2 shown]
	s_getpc_b64 s[6:7]
	s_add_u32 s6, s6, __ockl_fprintf_append_string_n@rel32@lo+4
	s_addc_u32 s7, s7, __ockl_fprintf_append_string_n@rel32@hi+12
	s_swappc_b64 s[30:31], s[6:7]
	s_trap 2
.Lfunc_end103:
	.size	__assert_fail, .Lfunc_end103-__assert_fail
                                        ; -- End function
	.section	.AMDGPU.csdata,"",@progbits
; Function info:
; codeLenInByte = 14644
; NumSgprs: 38
; NumVgprs: 39
; NumAgprs: 0
; TotalNumVgprs: 39
; ScratchSize: 64
; MemoryBound: 0
	.section	.text._ZN4vllm3moe7moeTopKILi256EEEvPKfPKbPfPiS7_iiiib,"axG",@progbits,_ZN4vllm3moe7moeTopKILi256EEEvPKfPKbPfPiS7_iiiib,comdat
	.protected	_ZN4vllm3moe7moeTopKILi256EEEvPKfPKbPfPiS7_iiiib ; -- Begin function _ZN4vllm3moe7moeTopKILi256EEEvPKfPKbPfPiS7_iiiib
	.globl	_ZN4vllm3moe7moeTopKILi256EEEvPKfPKbPfPiS7_iiiib
	.p2align	8
	.type	_ZN4vllm3moe7moeTopKILi256EEEvPKfPKbPfPiS7_iiiib,@function
_ZN4vllm3moe7moeTopKILi256EEEvPKfPKbPfPiS7_iiiib: ; @_ZN4vllm3moe7moeTopKILi256EEEvPKfPKbPfPiS7_iiiib
; %bb.0:
	s_add_u32 flat_scratch_lo, s6, s9
	s_load_dwordx8 s[24:31], s[4:5], 0x0
	s_load_dwordx2 s[34:35], s[4:5], 0x20
	s_addc_u32 flat_scratch_hi, s7, 0
	s_add_u32 s0, s0, s9
	s_addc_u32 s1, s1, 0
	s_mov_b64 s[42:43], -1
	s_mov_b64 s[10:11], 0
	s_waitcnt lgkmcnt(0)
	s_cmp_eq_u64 s[26:27], 0
	s_mov_b64 s[40:41], -1
	s_mov_b32 s32, 0
	s_cbranch_scc1 .LBB104_2
; %bb.1:
	s_ashr_i32 s7, s8, 31
	s_add_u32 s6, s26, s8
	s_addc_u32 s7, s27, s7
	v_mov_b32_e32 v1, 0
	global_load_ubyte v1, v1, s[6:7]
	s_waitcnt vmcnt(0)
	v_readfirstlane_b32 s6, v1
	s_bitcmp1_b32 s6, 0
	s_cselect_b64 s[6:7], -1, 0
	s_xor_b64 s[40:41], s[6:7], -1
.LBB104_2:
	s_load_dword s6, s[4:5], 0x38
	s_load_dwordx4 s[36:39], s[4:5], 0x28
	s_mov_b32 s9, 0
	s_waitcnt lgkmcnt(0)
	s_bitcmp1_b32 s6, 0
	s_cselect_b64 s[6:7], -1, 0
	s_cmp_gt_i32 s37, 0
	s_cselect_b64 s[22:23], -1, 0
	s_cmp_lt_i32 s37, 1
	s_cbranch_scc1 .LBB104_28
; %bb.3:
	v_mbcnt_lo_u32_b32 v1, -1, 0
	v_mbcnt_hi_u32_b32 v1, -1, v1
	v_and_b32_e32 v6, 3, v1
	v_cmp_ne_u32_e32 vcc, 3, v6
	s_load_dword s33, s[4:5], 0x40
	s_mul_i32 s26, s8, s37
	v_addc_co_u32_e32 v5, vcc, 0, v1, vcc
	v_cmp_gt_u32_e32 vcc, 2, v6
	s_ashr_i32 s27, s26, 31
	v_lshlrev_b32_e32 v4, 3, v6
	v_cndmask_b32_e64 v6, 0, 1, vcc
	s_lshl_b64 s[16:17], s[26:27], 2
	v_bfrev_b32_e32 v2, 0.5
	v_lshrrev_b32_e32 v3, 3, v0
	v_lshlrev_b32_e32 v6, 1, v6
	s_add_u32 s44, s30, s16
	s_mul_i32 s54, s8, s36
	v_cmp_gt_i32_e64 s[18:19], s36, v0
	v_lshl_or_b32 v2, v1, 2, v2
	v_cmp_eq_u32_e64 s[10:11], 0, v1
	v_and_b32_e32 v3, 24, v3
	v_cmp_gt_u32_e64 s[12:13], 64, v0
	v_lshlrev_b32_e32 v5, 2, v5
	v_add_lshl_u32 v6, v6, v1, 2
	v_cmp_eq_u32_e64 s[14:15], 0, v0
	s_addc_u32 s45, s31, s17
	s_mov_b64 s[46:47], 0
	v_mov_b32_e32 v7, 0
	v_mov_b32_e32 v1, 0
                                        ; implicit-def: $sgpr42_sgpr43
	s_branch .LBB104_5
.LBB104_4:                              ;   in Loop: Header=BB104_5 Depth=1
	s_or_b64 exec, exec, s[48:49]
	s_xor_b64 s[16:17], s[16:17], -1
	s_and_b64 s[20:21], exec, s[20:21]
	s_or_b64 s[46:47], s[20:21], s[46:47]
	s_andn2_b64 s[20:21], s[42:43], exec
	s_and_b64 s[16:17], s[16:17], exec
	s_or_b64 s[42:43], s[20:21], s[16:17]
	s_andn2_b64 exec, exec, s[46:47]
	s_cbranch_execz .LBB104_25
.LBB104_5:                              ; =>This Loop Header: Depth=1
                                        ;     Child Loop BB104_8 Depth 2
                                        ;       Child Loop BB104_10 Depth 3
	v_mov_b32_e32 v8, -1.0
	v_mov_b32_e32 v9, 0
	s_and_saveexec_b64 s[48:49], s[18:19]
	s_cbranch_execz .LBB104_15
; %bb.6:                                ;   in Loop: Header=BB104_5 Depth=1
	s_cmp_lg_u32 s9, 0
	s_cselect_b64 s[16:17], -1, 0
	v_cndmask_b32_e64 v10, 0, 1, s[16:17]
	s_mov_b64 s[50:51], 0
	v_mov_b32_e32 v8, -1.0
	v_mov_b32_e32 v9, 0
	v_cmp_ne_u32_e64 s[16:17], 1, v10
	v_mov_b32_e32 v10, v0
	s_branch .LBB104_8
.LBB104_7:                              ;   in Loop: Header=BB104_8 Depth=2
	s_or_b64 exec, exec, s[52:53]
	v_add_u32_e32 v10, 0x100, v10
	v_cmp_le_i32_e32 vcc, s36, v10
	s_or_b64 s[50:51], vcc, s[50:51]
	s_andn2_b64 exec, exec, s[50:51]
	s_cbranch_execz .LBB104_14
.LBB104_8:                              ;   Parent Loop BB104_5 Depth=1
                                        ; =>  This Loop Header: Depth=2
                                        ;       Child Loop BB104_10 Depth 3
	v_add_u32_e32 v12, s54, v10
	v_ashrrev_i32_e32 v13, 31, v12
	v_lshlrev_b64 v[12:13], 2, v[12:13]
	v_mov_b32_e32 v11, s25
	v_add_co_u32_e32 v12, vcc, s24, v12
	v_addc_co_u32_e32 v13, vcc, v11, v13, vcc
	global_load_dword v11, v[12:13], off
	s_and_b64 vcc, exec, s[16:17]
	s_cbranch_vccnz .LBB104_12
; %bb.9:                                ;   in Loop: Header=BB104_8 Depth=2
	s_mov_b32 s27, 0
	s_mov_b64 s[20:21], s[44:45]
	v_mov_b32_e32 v12, v10
.LBB104_10:                             ;   Parent Loop BB104_5 Depth=1
                                        ;     Parent Loop BB104_8 Depth=2
                                        ; =>    This Inner Loop Header: Depth=3
	global_load_dword v13, v7, s[20:21]
	s_add_i32 s27, s27, 1
	s_add_u32 s20, s20, 4
	s_addc_u32 s21, s21, 0
	s_cmp_ge_u32 s27, s9
	s_waitcnt vmcnt(0)
	v_cmp_eq_u32_e32 vcc, v13, v10
	v_cndmask_b32_e32 v12, v12, v9, vcc
	v_cndmask_b32_e32 v11, v11, v8, vcc
	s_cbranch_scc0 .LBB104_10
; %bb.11:                               ;   in Loop: Header=BB104_8 Depth=2
	v_cmp_ngt_f32_e32 vcc, v8, v11
	s_and_saveexec_b64 s[52:53], vcc
	s_cbranch_execz .LBB104_7
	s_branch .LBB104_13
.LBB104_12:                             ;   in Loop: Header=BB104_8 Depth=2
	v_mov_b32_e32 v12, v10
	s_waitcnt vmcnt(0)
	v_cmp_ngt_f32_e32 vcc, v8, v11
	s_and_saveexec_b64 s[52:53], vcc
	s_cbranch_execz .LBB104_7
.LBB104_13:                             ;   in Loop: Header=BB104_8 Depth=2
	v_cmp_eq_f32_e32 vcc, v11, v8
	v_cmp_lt_i32_e64 s[20:21], v9, v12
	s_and_b64 vcc, vcc, s[20:21]
	v_cndmask_b32_e32 v8, v11, v8, vcc
	v_cndmask_b32_e32 v9, v12, v9, vcc
	s_branch .LBB104_7
.LBB104_14:                             ;   in Loop: Header=BB104_5 Depth=1
	s_or_b64 exec, exec, s[50:51]
.LBB104_15:                             ;   in Loop: Header=BB104_5 Depth=1
	s_or_b64 exec, exec, s[48:49]
	v_mov_b32_dpp v10, v9 quad_perm:[1,0,3,2] row_mask:0xf bank_mask:0xf
	v_mov_b32_dpp v11, v8 quad_perm:[1,0,3,2] row_mask:0xf bank_mask:0xf
	v_cmp_eq_f32_e32 vcc, v8, v11
	v_cmp_lt_i32_e64 s[16:17], v9, v10
	s_and_b64 vcc, vcc, s[16:17]
	v_cmp_gt_f32_e64 s[16:17], v8, v11
	v_cndmask_b32_e32 v12, v11, v8, vcc
	s_or_b64 vcc, s[16:17], vcc
	v_cndmask_b32_e64 v8, v12, v8, s[16:17]
	v_cndmask_b32_e32 v9, v10, v9, vcc
	s_nop 0
	v_mov_b32_dpp v11, v8 quad_perm:[2,3,0,1] row_mask:0xf bank_mask:0xf
	v_mov_b32_dpp v10, v9 quad_perm:[2,3,0,1] row_mask:0xf bank_mask:0xf
	v_cmp_eq_f32_e32 vcc, v8, v11
	v_cmp_lt_i32_e64 s[16:17], v9, v10
	s_and_b64 vcc, vcc, s[16:17]
	v_cmp_gt_f32_e64 s[16:17], v8, v11
	v_cndmask_b32_e32 v12, v11, v8, vcc
	s_or_b64 vcc, s[16:17], vcc
	v_cndmask_b32_e64 v8, v12, v8, s[16:17]
	v_cndmask_b32_e32 v9, v10, v9, vcc
	s_nop 0
	v_mov_b32_dpp v11, v8 row_ror:4 row_mask:0xf bank_mask:0xf
	v_mov_b32_dpp v10, v9 row_ror:4 row_mask:0xf bank_mask:0xf
	v_cmp_eq_f32_e32 vcc, v8, v11
	v_cmp_lt_i32_e64 s[16:17], v9, v10
	s_and_b64 vcc, vcc, s[16:17]
	v_cmp_gt_f32_e64 s[16:17], v8, v11
	v_cndmask_b32_e32 v12, v11, v8, vcc
	s_or_b64 vcc, s[16:17], vcc
	v_cndmask_b32_e64 v8, v12, v8, s[16:17]
	v_cndmask_b32_e32 v9, v10, v9, vcc
	s_nop 0
	v_mov_b32_dpp v11, v8 row_ror:8 row_mask:0xf bank_mask:0xf
	v_mov_b32_dpp v10, v9 row_ror:8 row_mask:0xf bank_mask:0xf
	v_cmp_eq_f32_e32 vcc, v8, v11
	v_cmp_lt_i32_e64 s[16:17], v9, v10
	s_and_b64 vcc, vcc, s[16:17]
	v_cmp_gt_f32_e64 s[16:17], v8, v11
	v_cndmask_b32_e32 v12, v11, v8, vcc
	s_or_b64 vcc, s[16:17], vcc
	v_cndmask_b32_e64 v8, v12, v8, s[16:17]
	v_cndmask_b32_e32 v9, v10, v9, vcc
	s_nop 0
	v_mov_b32_dpp v11, v8 row_bcast:15 row_mask:0xf bank_mask:0xf
	v_mov_b32_dpp v10, v9 row_bcast:15 row_mask:0xf bank_mask:0xf
	v_cmp_eq_f32_e32 vcc, v8, v11
	v_cmp_lt_i32_e64 s[16:17], v9, v10
	s_and_b64 vcc, vcc, s[16:17]
	v_cmp_gt_f32_e64 s[16:17], v8, v11
	v_cndmask_b32_e32 v12, v11, v8, vcc
	s_or_b64 vcc, s[16:17], vcc
	v_cndmask_b32_e64 v8, v12, v8, s[16:17]
	v_cndmask_b32_e32 v9, v10, v9, vcc
	s_nop 0
	v_mov_b32_dpp v11, v8 row_bcast:31 row_mask:0xf bank_mask:0xf
	v_mov_b32_dpp v10, v9 row_bcast:31 row_mask:0xf bank_mask:0xf
	v_cmp_eq_f32_e32 vcc, v8, v11
	v_cmp_lt_i32_e64 s[16:17], v9, v10
	s_and_b64 vcc, vcc, s[16:17]
	v_cmp_gt_f32_e64 s[16:17], v8, v11
	v_cndmask_b32_e32 v12, v11, v8, vcc
	s_or_b64 vcc, s[16:17], vcc
	v_cndmask_b32_e64 v8, v12, v8, s[16:17]
	v_cndmask_b32_e32 v9, v10, v9, vcc
	ds_bpermute_b32 v9, v2, v9
	ds_bpermute_b32 v8, v2, v8
	s_and_saveexec_b64 s[16:17], s[10:11]
	s_cbranch_execz .LBB104_17
; %bb.16:                               ;   in Loop: Header=BB104_5 Depth=1
	s_waitcnt lgkmcnt(0)
	ds_write2_b32 v3, v9, v8 offset1:1
.LBB104_17:                             ;   in Loop: Header=BB104_5 Depth=1
	s_or_b64 exec, exec, s[16:17]
	s_waitcnt lgkmcnt(0)
	s_barrier
	s_and_saveexec_b64 s[48:49], s[12:13]
	s_cbranch_execz .LBB104_19
; %bb.18:                               ;   in Loop: Header=BB104_5 Depth=1
	ds_read2_b32 v[8:9], v4 offset1:1
	s_waitcnt lgkmcnt(0)
	ds_bpermute_b32 v10, v5, v9
	ds_bpermute_b32 v11, v5, v8
	s_waitcnt lgkmcnt(1)
	v_cmp_eq_f32_e64 s[16:17], v9, v10
	s_waitcnt lgkmcnt(0)
	v_cmp_lt_i32_e64 s[20:21], v11, v8
	v_cmp_lt_f32_e32 vcc, v9, v10
	s_and_b64 s[16:17], s[16:17], s[20:21]
	s_or_b64 vcc, vcc, s[16:17]
	v_cndmask_b32_e32 v9, v9, v10, vcc
	v_cndmask_b32_e32 v11, v8, v11, vcc
	ds_bpermute_b32 v10, v6, v9
	ds_bpermute_b32 v12, v6, v11
	s_waitcnt lgkmcnt(1)
	v_cmp_eq_f32_e64 s[16:17], v9, v10
	s_waitcnt lgkmcnt(0)
	v_cmp_lt_i32_e64 s[20:21], v12, v11
	v_cmp_lt_f32_e32 vcc, v9, v10
	s_and_b64 s[16:17], s[16:17], s[20:21]
	s_or_b64 vcc, vcc, s[16:17]
	v_cndmask_b32_e32 v8, v9, v10, vcc
	v_cndmask_b32_e32 v9, v11, v12, vcc
.LBB104_19:                             ;   in Loop: Header=BB104_5 Depth=1
	s_or_b64 exec, exec, s[48:49]
	s_mov_b64 s[20:21], -1
	s_mov_b64 s[50:51], -1
                                        ; implicit-def: $sgpr16_sgpr17
	s_and_saveexec_b64 s[48:49], s[14:15]
	s_cbranch_execz .LBB104_23
; %bb.20:                               ;   in Loop: Header=BB104_5 Depth=1
	v_cmp_le_i32_e32 vcc, s38, v9
	v_cmp_gt_i32_e64 s[16:17], s39, v9
	s_and_b64 s[50:51], vcc, s[16:17]
	s_add_i32 s16, s9, s26
	s_ashr_i32 s17, s16, 31
	s_lshl_b64 s[16:17], s[16:17], 2
	s_and_b64 vcc, s[40:41], s[50:51]
	s_add_u32 s50, s28, s16
	s_addc_u32 s51, s29, s17
	v_subrev_u32_e32 v9, s38, v9
	v_mov_b32_e32 v10, s36
	global_store_dword v7, v8, s[50:51]
	s_add_u32 s50, s30, s16
	v_cndmask_b32_e32 v9, v10, v9, vcc
	s_addc_u32 s51, s31, s17
	global_store_dword v7, v9, s[50:51]
	v_cmp_lt_i32_e32 vcc, -1, v9
	s_mov_b64 s[50:51], 0
	s_and_saveexec_b64 s[52:53], vcc
	s_cbranch_execz .LBB104_22
; %bb.21:                               ;   in Loop: Header=BB104_5 Depth=1
	s_mul_i32 s27, s9, s33
	s_add_i32 s27, s27, s8
	s_add_u32 s16, s34, s16
	v_add_f32_e32 v8, v1, v8
	s_mov_b64 s[50:51], exec
	s_addc_u32 s17, s35, s17
	v_mov_b32_e32 v9, s27
	v_cndmask_b32_e64 v1, v1, v8, s[6:7]
	global_store_dword v7, v9, s[16:17]
.LBB104_22:                             ;   in Loop: Header=BB104_5 Depth=1
	s_or_b64 exec, exec, s[52:53]
	s_mov_b64 s[16:17], -1
	s_orn2_b64 s[50:51], s[50:51], exec
.LBB104_23:                             ;   in Loop: Header=BB104_5 Depth=1
	s_or_b64 exec, exec, s[48:49]
	s_and_saveexec_b64 s[48:49], s[50:51]
	s_cbranch_execz .LBB104_4
; %bb.24:                               ;   in Loop: Header=BB104_5 Depth=1
	s_add_i32 s9, s9, 1
	s_cmp_eq_u32 s9, s37
	s_cselect_b64 s[20:21], -1, 0
	s_andn2_b64 s[16:17], s[16:17], exec
	s_orn2_b64 s[20:21], s[20:21], exec
	s_barrier
	s_branch .LBB104_4
.LBB104_25:
	s_or_b64 exec, exec, s[46:47]
	s_mov_b64 s[10:11], -1
	s_and_saveexec_b64 s[12:13], s[42:43]
	s_cbranch_execnz .LBB104_29
.LBB104_26:
	s_or_b64 exec, exec, s[12:13]
	s_and_saveexec_b64 s[6:7], s[10:11]
	s_cbranch_execnz .LBB104_44
.LBB104_27:
	s_endpgm
.LBB104_28:
	v_mov_b32_e32 v1, 0
	s_and_saveexec_b64 s[12:13], s[42:43]
	s_cbranch_execz .LBB104_26
.LBB104_29:
	s_and_b64 vcc, exec, s[6:7]
	s_cbranch_vccz .LBB104_43
; %bb.30:
	v_cmp_eq_u32_e32 vcc, 0, v0
	v_cmp_neq_f32_e64 s[6:7], 0, v1
	s_and_b64 s[14:15], vcc, s[6:7]
	s_and_saveexec_b64 s[6:7], s[14:15]
	s_cbranch_execz .LBB104_42
; %bb.31:
	s_andn2_b64 vcc, exec, s[22:23]
	s_cbranch_vccnz .LBB104_42
; %bb.32:
	v_div_scale_f32 v0, s[14:15], v1, v1, 1.0
	v_rcp_f32_e32 v2, v0
	v_div_scale_f32 v3, vcc, 1.0, v1, 1.0
	s_cmp_gt_u32 s37, 3
	v_fma_f32 v4, -v0, v2, 1.0
	v_fmac_f32_e32 v2, v4, v2
	v_mul_f32_e32 v4, v3, v2
	v_fma_f32 v5, -v0, v4, v3
	v_fmac_f32_e32 v4, v5, v2
	v_fma_f32 v0, -v0, v4, v3
	v_div_fmas_f32 v0, v0, v2, v4
	v_div_fixup_f32 v0, v0, v1, 1.0
	s_mul_i32 s8, s8, s37
	s_cbranch_scc0 .LBB104_36
; %bb.33:
	s_ashr_i32 s9, s8, 31
	s_and_b32 s18, s37, 0x7ffffffc
	s_lshl_b64 s[14:15], s[8:9], 2
	s_add_u32 s14, s14, s28
	s_addc_u32 s15, s15, s29
	s_add_u32 s14, s14, 8
	v_mov_b32_e32 v1, v0
	s_addc_u32 s15, s15, 0
	v_mov_b32_e32 v2, 0
	s_mov_b32 s16, s18
.LBB104_34:                             ; =>This Inner Loop Header: Depth=1
	global_load_dwordx4 v[4:7], v2, s[14:15] offset:-8
	s_waitcnt vmcnt(0)
	v_pk_mul_f32 v[4:5], v[0:1], v[4:5]
	v_pk_mul_f32 v[6:7], v[0:1], v[6:7]
	global_store_dwordx4 v2, v[4:7], s[14:15] offset:-8
	s_add_u32 s14, s14, 16
	s_addc_u32 s15, s15, 0
	s_add_i32 s16, s16, -4
	s_cmp_lg_u32 s16, 0
	s_cbranch_scc1 .LBB104_34
; %bb.35:
	s_cmp_lg_u32 s18, s37
	s_mov_b64 s[16:17], 0
	s_cselect_b64 s[14:15], -1, 0
	s_branch .LBB104_37
.LBB104_36:
	s_mov_b64 s[16:17], -1
	s_mov_b64 s[14:15], 0
                                        ; implicit-def: $sgpr18
.LBB104_37:
	s_and_b64 vcc, exec, s[16:17]
	s_cbranch_vccz .LBB104_39
; %bb.38:
	s_ashr_i32 s9, s8, 31
	s_mov_b64 s[14:15], -1
	s_mov_b32 s18, 0
.LBB104_39:
	s_andn2_b64 vcc, exec, s[14:15]
	s_cbranch_vccnz .LBB104_42
; %bb.40:
	s_sub_i32 s14, s37, s18
	s_add_u32 s8, s8, s18
	s_addc_u32 s9, s9, 0
	s_lshl_b64 s[8:9], s[8:9], 2
	s_add_u32 s8, s28, s8
	s_addc_u32 s9, s29, s9
	v_mov_b32_e32 v1, 0
.LBB104_41:                             ; =>This Inner Loop Header: Depth=1
	global_load_dword v2, v1, s[8:9]
	s_add_i32 s14, s14, -1
	s_waitcnt vmcnt(0)
	v_mul_f32_e32 v2, v0, v2
	global_store_dword v1, v2, s[8:9]
	s_add_u32 s8, s8, 4
	s_addc_u32 s9, s9, 0
	s_cmp_lg_u32 s14, 0
	s_cbranch_scc1 .LBB104_41
.LBB104_42:
	s_or_b64 exec, exec, s[6:7]
.LBB104_43:
	s_andn2_b64 s[10:11], s[10:11], exec
	s_or_b64 exec, exec, s[12:13]
	s_and_saveexec_b64 s[6:7], s[10:11]
	s_cbranch_execz .LBB104_27
.LBB104_44:
	s_add_u32 s8, s4, 64
	s_addc_u32 s9, s5, 0
	s_getpc_b64 s[4:5]
	s_add_u32 s4, s4, __assert_fail@rel32@lo+4
	s_addc_u32 s5, s5, __assert_fail@rel32@hi+12
	s_swappc_b64 s[30:31], s[4:5]
	; divergent unreachable
	s_endpgm
	.section	.rodata,"a",@progbits
	.p2align	6, 0x0
	.amdhsa_kernel _ZN4vllm3moe7moeTopKILi256EEEvPKfPKbPfPiS7_iiiib
		.amdhsa_group_segment_fixed_size 32
		.amdhsa_private_segment_fixed_size 64
		.amdhsa_kernarg_size 320
		.amdhsa_user_sgpr_count 8
		.amdhsa_user_sgpr_private_segment_buffer 1
		.amdhsa_user_sgpr_dispatch_ptr 0
		.amdhsa_user_sgpr_queue_ptr 0
		.amdhsa_user_sgpr_kernarg_segment_ptr 1
		.amdhsa_user_sgpr_dispatch_id 0
		.amdhsa_user_sgpr_flat_scratch_init 1
		.amdhsa_user_sgpr_kernarg_preload_length 0
		.amdhsa_user_sgpr_kernarg_preload_offset 0
		.amdhsa_user_sgpr_private_segment_size 0
		.amdhsa_uses_dynamic_stack 0
		.amdhsa_system_sgpr_private_segment_wavefront_offset 1
		.amdhsa_system_sgpr_workgroup_id_x 1
		.amdhsa_system_sgpr_workgroup_id_y 0
		.amdhsa_system_sgpr_workgroup_id_z 0
		.amdhsa_system_sgpr_workgroup_info 0
		.amdhsa_system_vgpr_workitem_id 0
		.amdhsa_next_free_vgpr 39
		.amdhsa_next_free_sgpr 55
		.amdhsa_accum_offset 40
		.amdhsa_reserve_vcc 1
		.amdhsa_reserve_flat_scratch 1
		.amdhsa_float_round_mode_32 0
		.amdhsa_float_round_mode_16_64 0
		.amdhsa_float_denorm_mode_32 3
		.amdhsa_float_denorm_mode_16_64 3
		.amdhsa_dx10_clamp 1
		.amdhsa_ieee_mode 1
		.amdhsa_fp16_overflow 0
		.amdhsa_tg_split 0
		.amdhsa_exception_fp_ieee_invalid_op 0
		.amdhsa_exception_fp_denorm_src 0
		.amdhsa_exception_fp_ieee_div_zero 0
		.amdhsa_exception_fp_ieee_overflow 0
		.amdhsa_exception_fp_ieee_underflow 0
		.amdhsa_exception_fp_ieee_inexact 0
		.amdhsa_exception_int_div_zero 0
	.end_amdhsa_kernel
	.section	.text._ZN4vllm3moe7moeTopKILi256EEEvPKfPKbPfPiS7_iiiib,"axG",@progbits,_ZN4vllm3moe7moeTopKILi256EEEvPKfPKbPfPiS7_iiiib,comdat
.Lfunc_end104:
	.size	_ZN4vllm3moe7moeTopKILi256EEEvPKfPKbPfPiS7_iiiib, .Lfunc_end104-_ZN4vllm3moe7moeTopKILi256EEEvPKfPKbPfPiS7_iiiib
                                        ; -- End function
	.section	.AMDGPU.csdata,"",@progbits
; Kernel info:
; codeLenInByte = 1832
; NumSgprs: 61
; NumVgprs: 39
; NumAgprs: 0
; TotalNumVgprs: 39
; ScratchSize: 64
; MemoryBound: 0
; FloatMode: 240
; IeeeMode: 1
; LDSByteSize: 32 bytes/workgroup (compile time only)
; SGPRBlocks: 7
; VGPRBlocks: 4
; NumSGPRsForWavesPerEU: 61
; NumVGPRsForWavesPerEU: 39
; AccumOffset: 40
; Occupancy: 8
; WaveLimiterHint : 1
; COMPUTE_PGM_RSRC2:SCRATCH_EN: 1
; COMPUTE_PGM_RSRC2:USER_SGPR: 8
; COMPUTE_PGM_RSRC2:TRAP_HANDLER: 0
; COMPUTE_PGM_RSRC2:TGID_X_EN: 1
; COMPUTE_PGM_RSRC2:TGID_Y_EN: 0
; COMPUTE_PGM_RSRC2:TGID_Z_EN: 0
; COMPUTE_PGM_RSRC2:TIDIG_COMP_CNT: 0
; COMPUTE_PGM_RSRC3_GFX90A:ACCUM_OFFSET: 9
; COMPUTE_PGM_RSRC3_GFX90A:TG_SPLIT: 0
	.section	.text._ZN4vllm3moe24applySharedExpertSigmoidIfLi256EEEvPKT_Pfiiiii,"axG",@progbits,_ZN4vllm3moe24applySharedExpertSigmoidIfLi256EEEvPKT_Pfiiiii,comdat
	.protected	_ZN4vllm3moe24applySharedExpertSigmoidIfLi256EEEvPKT_Pfiiiii ; -- Begin function _ZN4vllm3moe24applySharedExpertSigmoidIfLi256EEEvPKT_Pfiiiii
	.globl	_ZN4vllm3moe24applySharedExpertSigmoidIfLi256EEEvPKT_Pfiiiii
	.p2align	8
	.type	_ZN4vllm3moe24applySharedExpertSigmoidIfLi256EEEvPKT_Pfiiiii,@function
_ZN4vllm3moe24applySharedExpertSigmoidIfLi256EEEvPKT_Pfiiiii: ; @_ZN4vllm3moe24applySharedExpertSigmoidIfLi256EEEvPKT_Pfiiiii
; %bb.0:
	s_load_dwordx4 s[0:3], s[4:5], 0x10
	s_waitcnt lgkmcnt(0)
	s_cmp_ge_i32 s6, s0
	s_cbranch_scc1 .LBB105_4
; %bb.1:
	s_load_dword s0, s[4:5], 0x20
	v_cmp_gt_i32_e32 vcc, s1, v0
	s_and_saveexec_b64 s[8:9], vcc
	s_cbranch_execz .LBB105_4
; %bb.2:
	s_load_dwordx4 s[8:11], s[4:5], 0x0
	s_mul_i32 s2, s6, s2
	s_mul_i32 s6, s6, s3
	v_add_u32_e32 v2, s6, v0
	v_ashrrev_i32_e32 v3, 31, v2
	v_lshlrev_b64 v[2:3], 2, v[2:3]
	s_waitcnt lgkmcnt(0)
	v_mov_b32_e32 v1, s11
	v_add_co_u32_e32 v2, vcc, s10, v2
	s_add_i32 s0, s2, s0
	v_addc_co_u32_e32 v3, vcc, v1, v3, vcc
	s_mov_b64 s[2:3], 0
	v_mov_b32_e32 v1, s9
	s_mov_b32 s4, 0xbfb8aa3b
	s_mov_b32 s5, 0x42ce8ed0
	;; [unrolled: 1-line block ×3, first 2 shown]
	v_mov_b32_e32 v4, 0x7f800000
.LBB105_3:                              ; =>This Inner Loop Header: Depth=1
	v_add_u32_e32 v6, s0, v0
	v_ashrrev_i32_e32 v7, 31, v6
	v_lshlrev_b64 v[6:7], 2, v[6:7]
	v_add_co_u32_e32 v6, vcc, s8, v6
	v_addc_co_u32_e32 v7, vcc, v1, v7, vcc
	global_load_dword v5, v[6:7], off
	v_add_u32_e32 v0, 0x100, v0
	v_cmp_le_i32_e32 vcc, s1, v0
	s_or_b64 s[2:3], vcc, s[2:3]
	s_waitcnt vmcnt(0)
	v_mul_f32_e32 v6, 0xbfb8aa3b, v5
	v_fma_f32 v7, v5, s4, -v6
	v_rndne_f32_e32 v8, v6
	v_fmac_f32_e32 v7, 0xb2a5705f, v5
	v_sub_f32_e32 v6, v6, v8
	v_add_f32_e32 v6, v6, v7
	v_cvt_i32_f32_e32 v8, v8
	v_exp_f32_e32 v6, v6
	v_cmp_nlt_f32_e32 vcc, s5, v5
	v_ldexp_f32 v6, v6, v8
	v_cndmask_b32_e32 v6, 0, v6, vcc
	v_cmp_ngt_f32_e32 vcc, s6, v5
	v_cndmask_b32_e32 v5, v4, v6, vcc
	v_add_f32_e32 v5, 1.0, v5
	v_div_scale_f32 v6, s[10:11], v5, v5, 1.0
	v_rcp_f32_e32 v8, v6
	v_div_scale_f32 v7, vcc, 1.0, v5, 1.0
	v_fma_f32 v9, -v6, v8, 1.0
	v_fmac_f32_e32 v8, v9, v8
	v_mul_f32_e32 v9, v7, v8
	v_fma_f32 v10, -v6, v9, v7
	v_fmac_f32_e32 v9, v10, v8
	v_fma_f32 v6, -v6, v9, v7
	v_div_fmas_f32 v6, v6, v8, v9
	v_div_fixup_f32 v5, v6, v5, 1.0
	global_store_dword v[2:3], v5, off
	v_add_co_u32_e32 v2, vcc, 0x400, v2
	v_addc_co_u32_e32 v3, vcc, 0, v3, vcc
	s_andn2_b64 exec, exec, s[2:3]
	s_cbranch_execnz .LBB105_3
.LBB105_4:
	s_endpgm
	.section	.rodata,"a",@progbits
	.p2align	6, 0x0
	.amdhsa_kernel _ZN4vllm3moe24applySharedExpertSigmoidIfLi256EEEvPKT_Pfiiiii
		.amdhsa_group_segment_fixed_size 0
		.amdhsa_private_segment_fixed_size 0
		.amdhsa_kernarg_size 36
		.amdhsa_user_sgpr_count 6
		.amdhsa_user_sgpr_private_segment_buffer 1
		.amdhsa_user_sgpr_dispatch_ptr 0
		.amdhsa_user_sgpr_queue_ptr 0
		.amdhsa_user_sgpr_kernarg_segment_ptr 1
		.amdhsa_user_sgpr_dispatch_id 0
		.amdhsa_user_sgpr_flat_scratch_init 0
		.amdhsa_user_sgpr_kernarg_preload_length 0
		.amdhsa_user_sgpr_kernarg_preload_offset 0
		.amdhsa_user_sgpr_private_segment_size 0
		.amdhsa_uses_dynamic_stack 0
		.amdhsa_system_sgpr_private_segment_wavefront_offset 0
		.amdhsa_system_sgpr_workgroup_id_x 1
		.amdhsa_system_sgpr_workgroup_id_y 0
		.amdhsa_system_sgpr_workgroup_id_z 0
		.amdhsa_system_sgpr_workgroup_info 0
		.amdhsa_system_vgpr_workitem_id 0
		.amdhsa_next_free_vgpr 11
		.amdhsa_next_free_sgpr 12
		.amdhsa_accum_offset 12
		.amdhsa_reserve_vcc 1
		.amdhsa_reserve_flat_scratch 0
		.amdhsa_float_round_mode_32 0
		.amdhsa_float_round_mode_16_64 0
		.amdhsa_float_denorm_mode_32 3
		.amdhsa_float_denorm_mode_16_64 3
		.amdhsa_dx10_clamp 1
		.amdhsa_ieee_mode 1
		.amdhsa_fp16_overflow 0
		.amdhsa_tg_split 0
		.amdhsa_exception_fp_ieee_invalid_op 0
		.amdhsa_exception_fp_denorm_src 0
		.amdhsa_exception_fp_ieee_div_zero 0
		.amdhsa_exception_fp_ieee_overflow 0
		.amdhsa_exception_fp_ieee_underflow 0
		.amdhsa_exception_fp_ieee_inexact 0
		.amdhsa_exception_int_div_zero 0
	.end_amdhsa_kernel
	.section	.text._ZN4vllm3moe24applySharedExpertSigmoidIfLi256EEEvPKT_Pfiiiii,"axG",@progbits,_ZN4vllm3moe24applySharedExpertSigmoidIfLi256EEEvPKT_Pfiiiii,comdat
.Lfunc_end105:
	.size	_ZN4vllm3moe24applySharedExpertSigmoidIfLi256EEEvPKT_Pfiiiii, .Lfunc_end105-_ZN4vllm3moe24applySharedExpertSigmoidIfLi256EEEvPKT_Pfiiiii
                                        ; -- End function
	.section	.AMDGPU.csdata,"",@progbits
; Kernel info:
; codeLenInByte = 360
; NumSgprs: 16
; NumVgprs: 11
; NumAgprs: 0
; TotalNumVgprs: 11
; ScratchSize: 0
; MemoryBound: 0
; FloatMode: 240
; IeeeMode: 1
; LDSByteSize: 0 bytes/workgroup (compile time only)
; SGPRBlocks: 1
; VGPRBlocks: 1
; NumSGPRsForWavesPerEU: 16
; NumVGPRsForWavesPerEU: 11
; AccumOffset: 12
; Occupancy: 8
; WaveLimiterHint : 0
; COMPUTE_PGM_RSRC2:SCRATCH_EN: 0
; COMPUTE_PGM_RSRC2:USER_SGPR: 6
; COMPUTE_PGM_RSRC2:TRAP_HANDLER: 0
; COMPUTE_PGM_RSRC2:TGID_X_EN: 1
; COMPUTE_PGM_RSRC2:TGID_Y_EN: 0
; COMPUTE_PGM_RSRC2:TGID_Z_EN: 0
; COMPUTE_PGM_RSRC2:TIDIG_COMP_CNT: 0
; COMPUTE_PGM_RSRC3_GFX90A:ACCUM_OFFSET: 2
; COMPUTE_PGM_RSRC3_GFX90A:TG_SPLIT: 0
	.section	.text._ZN4vllm3moe17topkGatingSoftmaxIDF16_Li1ELi1ELi8ELi2ELb1ELi0ELNS0_23SharedExpertScoringFuncE0EEEvPKT_PKbPfiPiS9_iiiiii,"axG",@progbits,_ZN4vllm3moe17topkGatingSoftmaxIDF16_Li1ELi1ELi8ELi2ELb1ELi0ELNS0_23SharedExpertScoringFuncE0EEEvPKT_PKbPfiPiS9_iiiiii,comdat
	.protected	_ZN4vllm3moe17topkGatingSoftmaxIDF16_Li1ELi1ELi8ELi2ELb1ELi0ELNS0_23SharedExpertScoringFuncE0EEEvPKT_PKbPfiPiS9_iiiiii ; -- Begin function _ZN4vllm3moe17topkGatingSoftmaxIDF16_Li1ELi1ELi8ELi2ELb1ELi0ELNS0_23SharedExpertScoringFuncE0EEEvPKT_PKbPfiPiS9_iiiiii
	.globl	_ZN4vllm3moe17topkGatingSoftmaxIDF16_Li1ELi1ELi8ELi2ELb1ELi0ELNS0_23SharedExpertScoringFuncE0EEEvPKT_PKbPfiPiS9_iiiiii
	.p2align	8
	.type	_ZN4vllm3moe17topkGatingSoftmaxIDF16_Li1ELi1ELi8ELi2ELb1ELi0ELNS0_23SharedExpertScoringFuncE0EEEvPKT_PKbPfiPiS9_iiiiii,@function
_ZN4vllm3moe17topkGatingSoftmaxIDF16_Li1ELi1ELi8ELi2ELb1ELi0ELNS0_23SharedExpertScoringFuncE0EEEvPKT_PKbPfiPiS9_iiiiii: ; @_ZN4vllm3moe17topkGatingSoftmaxIDF16_Li1ELi1ELi8ELi2ELb1ELi0ELNS0_23SharedExpertScoringFuncE0EEEvPKT_PKbPfiPiS9_iiiiii
; %bb.0:
	s_load_dword s16, s[4:5], 0x18
	v_bfe_u32 v1, v0, 10, 10
	s_lshl_b32 s17, s6, 9
	v_lshlrev_b32_e32 v9, 6, v1
	v_and_b32_e32 v10, 0x3ff, v0
	v_add3_u32 v8, v9, v10, s17
	s_waitcnt lgkmcnt(0)
	v_cmp_gt_i32_e32 vcc, s16, v8
	s_and_saveexec_b64 s[0:1], vcc
	s_cbranch_execz .LBB106_20
; %bb.1:
	s_load_dwordx4 s[0:3], s[4:5], 0x0
	s_load_dwordx2 s[12:13], s[4:5], 0x10
	s_waitcnt lgkmcnt(0)
	s_cmp_eq_u64 s[2:3], 0
	s_cbranch_scc1 .LBB106_3
; %bb.2:
	v_ashrrev_i32_e32 v1, 31, v8
	v_mov_b32_e32 v2, s3
	v_add_co_u32_e32 v0, vcc, s2, v8
	v_addc_co_u32_e32 v1, vcc, v2, v1, vcc
	global_load_ubyte v0, v[0:1], off
	s_waitcnt vmcnt(0)
	v_and_b32_e32 v0, 1, v0
	v_cmp_eq_u32_e32 vcc, 1, v0
	s_xor_b64 s[2:3], vcc, -1
	s_orn2_b64 s[14:15], s[2:3], exec
	s_branch .LBB106_4
.LBB106_3:
	s_mov_b64 s[14:15], -1
.LBB106_4:
	s_load_dwordx4 s[8:11], s[4:5], 0x30
	s_waitcnt lgkmcnt(0)
	s_cmp_gt_i32 s8, 0
	s_cselect_b64 s[2:3], -1, 0
	s_cmp_lt_i32 s8, 1
	s_cbranch_scc1 .LBB106_9
; %bb.5:
	s_load_dwordx2 s[22:23], s[4:5], 0x40
	v_mov_b32_e32 v2, s1
	s_cmp_lt_i32 s9, 1
	v_mov_b32_e32 v6, s13
	s_load_dwordx4 s[4:7], s[4:5], 0x20
	s_waitcnt lgkmcnt(0)
	v_mul_lo_u32 v0, v8, s23
	v_ashrrev_i32_e32 v1, 31, v0
	v_lshlrev_b64 v[0:1], 1, v[0:1]
	v_add_co_u32_e32 v0, vcc, s0, v0
	v_addc_co_u32_e32 v1, vcc, v2, v1, vcc
	global_load_ushort v11, v[0:1], off
	v_mul_lo_u32 v0, v8, s11
	v_mul_lo_u32 v2, v8, s8
	v_ashrrev_i32_e32 v1, 31, v0
	s_cselect_b64 s[0:1], -1, 0
	s_cmp_gt_i32 s10, 0
	v_ashrrev_i32_e32 v3, 31, v2
	v_lshlrev_b64 v[0:1], 2, v[0:1]
	s_cselect_b64 s[24:25], -1, 0
	v_lshlrev_b64 v[4:5], 2, v[2:3]
	v_add_co_u32_e32 v2, vcc, s12, v0
	s_sub_i32 s9, 0, s9
	s_and_b64 s[24:25], s[0:1], s[24:25]
	v_addc_co_u32_e64 v3, s[0:1], v6, v1, vcc
	v_mov_b32_e32 v0, s9
	s_and_b64 s[0:1], s[14:15], s[24:25]
	v_cndmask_b32_e64 v12, 1, v0, s[0:1]
	s_mov_b32 s18, 0x3fb8aa3b
	v_mul_lo_u32 v6, v8, s22
	v_mov_b32_e32 v15, s7
	v_ashrrev_i32_e32 v7, 31, v6
	v_add_co_u32_e64 v14, s[0:1], s6, v4
	v_addc_co_u32_e64 v15, s[0:1], v15, v5, s[0:1]
	v_lshlrev_b64 v[6:7], 2, v[6:7]
	v_mov_b32_e32 v17, s5
	s_mov_b32 s19, 0xc2ce8ed0
	s_mov_b32 s20, 0x42b17218
	v_mov_b32_e32 v13, 0x7f800000
	s_cmp_eq_u32 s8, 1
	s_waitcnt vmcnt(0)
	v_cvt_f32_f16_e32 v0, v11
	v_sub_f32_e32 v11, v0, v0
	v_mul_f32_e32 v16, 0x3fb8aa3b, v11
	v_fma_f32 v18, v11, s18, -v16
	v_rndne_f32_e32 v19, v16
	v_fmac_f32_e32 v18, 0x32a5705f, v11
	v_sub_f32_e32 v16, v16, v19
	v_add_f32_e32 v16, v16, v18
	v_cvt_i32_f32_e32 v19, v19
	v_exp_f32_e32 v18, v16
	v_add_co_u32_e64 v16, s[0:1], s4, v6
	v_addc_co_u32_e64 v17, s[0:1], v17, v7, s[0:1]
	global_store_dword v[16:17], v12, off
	v_ldexp_f32 v16, v18, v19
	v_cmp_ngt_f32_e64 s[0:1], s19, v11
	v_cndmask_b32_e64 v16, 0, v16, s[0:1]
	v_cmp_nlt_f32_e64 s[0:1], s20, v11
	v_cndmask_b32_e64 v11, v13, v16, s[0:1]
	global_store_dword v[2:3], v11, off
	global_store_dword v[14:15], v8, off
	s_cbranch_scc1 .LBB106_8
; %bb.6:
	v_sub_f32_e32 v0, 0xff800000, v0
	v_mul_f32_e32 v3, 0x3fb8aa3b, v0
	v_fma_f32 v14, v0, s18, -v3
	v_rndne_f32_e32 v15, v3
	v_fmac_f32_e32 v14, 0x32a5705f, v0
	v_sub_f32_e32 v3, v3, v15
	v_add_f32_e32 v3, v3, v14
	v_cvt_i32_f32_e32 v14, v15
	v_exp_f32_e32 v3, v3
	v_cmp_ngt_f32_e64 s[0:1], s19, v0
	s_add_i32 s17, s17, s16
	v_ldexp_f32 v3, v3, v14
	v_cndmask_b32_e64 v3, 0, v3, s[0:1]
	v_cmp_nlt_f32_e64 s[0:1], s20, v0
	v_cndmask_b32_e64 v3, v13, v3, s[0:1]
	v_mov_b32_e32 v0, s7
	v_add_co_u32_e64 v4, s[0:1], s6, v4
	v_addc_co_u32_e64 v0, s[0:1], v5, v0, s[0:1]
	v_add_co_u32_e64 v4, s[0:1], 4, v4
	v_addc_co_u32_e64 v5, s[0:1], 0, v0, s[0:1]
	v_mov_b32_e32 v0, s5
	v_add_co_u32_e64 v6, s[0:1], s4, v6
	v_addc_co_u32_e64 v0, s[0:1], v7, v0, s[0:1]
	v_add_co_u32_e64 v6, s[0:1], 4, v6
	v_addc_co_u32_e64 v7, s[0:1], 0, v0, s[0:1]
	v_mov_b32_e32 v0, s13
	v_addc_co_u32_e32 v1, vcc, v1, v0, vcc
	v_add_co_u32_e32 v0, vcc, 4, v2
	v_addc_co_u32_e32 v1, vcc, 0, v1, vcc
	s_add_i32 s0, s8, -1
	v_add3_u32 v2, s17, v10, v9
.LBB106_7:                              ; =>This Inner Loop Header: Depth=1
	global_store_dword v[0:1], v3, off
	global_store_dword v[6:7], v12, off
	;; [unrolled: 1-line block ×3, first 2 shown]
	v_add_co_u32_e32 v4, vcc, 4, v4
	v_addc_co_u32_e32 v5, vcc, 0, v5, vcc
	v_add_co_u32_e32 v6, vcc, 4, v6
	v_addc_co_u32_e32 v7, vcc, 0, v7, vcc
	v_add_co_u32_e32 v0, vcc, 4, v0
	s_add_i32 s0, s0, -1
	v_add_f32_e32 v11, v11, v3
	v_addc_co_u32_e32 v1, vcc, 0, v1, vcc
	s_cmp_eq_u32 s0, 0
	v_add_u32_e32 v2, s16, v2
	s_cbranch_scc0 .LBB106_7
.LBB106_8:
	v_cmp_neq_f32_e32 vcc, 0, v11
	s_and_b64 exec, exec, vcc
	s_cbranch_execnz .LBB106_10
	s_branch .LBB106_20
.LBB106_9:
	v_mov_b32_e32 v11, 0
	v_cmp_neq_f32_e32 vcc, 0, v11
	s_and_b64 exec, exec, vcc
	s_cbranch_execz .LBB106_20
.LBB106_10:
	s_andn2_b64 vcc, exec, s[2:3]
	s_cbranch_vccnz .LBB106_20
; %bb.11:
	v_div_scale_f32 v0, s[0:1], v11, v11, 1.0
	v_rcp_f32_e32 v1, v0
	v_div_scale_f32 v2, vcc, 1.0, v11, 1.0
	s_cmp_gt_u32 s8, 3
	v_fma_f32 v3, -v0, v1, 1.0
	v_fmac_f32_e32 v1, v3, v1
	v_mul_f32_e32 v3, v2, v1
	v_fma_f32 v4, -v0, v3, v2
	v_fmac_f32_e32 v3, v4, v1
	v_fma_f32 v0, -v0, v3, v2
	v_div_fmas_f32 v0, v0, v1, v3
	v_mul_lo_u32 v2, v8, s11
	v_div_fixup_f32 v0, v0, v11, 1.0
	v_ashrrev_i32_e32 v3, 31, v2
	s_cbranch_scc0 .LBB106_15
; %bb.12:
	v_lshlrev_b64 v[4:5], 2, v[2:3]
	v_mov_b32_e32 v6, s13
	v_add_co_u32_e32 v4, vcc, s12, v4
	v_addc_co_u32_e32 v5, vcc, v5, v6, vcc
	s_and_b32 s4, s8, 0x7ffffffc
	v_add_co_u32_e32 v4, vcc, 8, v4
	v_mov_b32_e32 v1, v0
	v_addc_co_u32_e32 v5, vcc, 0, v5, vcc
	s_mov_b32 s0, s4
.LBB106_13:                             ; =>This Inner Loop Header: Depth=1
	global_load_dwordx4 v[6:9], v[4:5], off offset:-8
	s_add_i32 s0, s0, -4
	s_cmp_lg_u32 s0, 0
	s_waitcnt vmcnt(0)
	v_pk_mul_f32 v[6:7], v[0:1], v[6:7]
	v_pk_mul_f32 v[8:9], v[0:1], v[8:9]
	global_store_dwordx4 v[4:5], v[6:9], off offset:-8
	v_add_co_u32_e32 v4, vcc, 16, v4
	v_addc_co_u32_e32 v5, vcc, 0, v5, vcc
	s_cbranch_scc1 .LBB106_13
; %bb.14:
	s_cmp_lg_u32 s4, s8
	s_cselect_b64 s[0:1], -1, 0
	s_branch .LBB106_17
.LBB106_15:
	s_mov_b64 s[0:1], 0
                                        ; implicit-def: $sgpr4
	s_cbranch_execz .LBB106_17
; %bb.16:
	s_mov_b64 s[0:1], -1
	s_mov_b32 s4, 0
.LBB106_17:
	s_andn2_b64 vcc, exec, s[0:1]
	s_cbranch_vccnz .LBB106_20
; %bb.18:
	v_add_co_u32_e32 v2, vcc, s4, v2
	v_addc_co_u32_e32 v3, vcc, 0, v3, vcc
	v_lshlrev_b64 v[2:3], 2, v[2:3]
	v_mov_b32_e32 v1, s13
	v_add_co_u32_e32 v2, vcc, s12, v2
	s_sub_i32 s0, s8, s4
	v_addc_co_u32_e32 v3, vcc, v1, v3, vcc
.LBB106_19:                             ; =>This Inner Loop Header: Depth=1
	global_load_dword v1, v[2:3], off
	s_add_i32 s0, s0, -1
	s_cmp_lg_u32 s0, 0
	s_waitcnt vmcnt(0)
	v_mul_f32_e32 v1, v0, v1
	global_store_dword v[2:3], v1, off
	v_add_co_u32_e32 v2, vcc, 4, v2
	v_addc_co_u32_e32 v3, vcc, 0, v3, vcc
	s_cbranch_scc1 .LBB106_19
.LBB106_20:
	s_endpgm
	.section	.rodata,"a",@progbits
	.p2align	6, 0x0
	.amdhsa_kernel _ZN4vllm3moe17topkGatingSoftmaxIDF16_Li1ELi1ELi8ELi2ELb1ELi0ELNS0_23SharedExpertScoringFuncE0EEEvPKT_PKbPfiPiS9_iiiiii
		.amdhsa_group_segment_fixed_size 0
		.amdhsa_private_segment_fixed_size 0
		.amdhsa_kernarg_size 72
		.amdhsa_user_sgpr_count 6
		.amdhsa_user_sgpr_private_segment_buffer 1
		.amdhsa_user_sgpr_dispatch_ptr 0
		.amdhsa_user_sgpr_queue_ptr 0
		.amdhsa_user_sgpr_kernarg_segment_ptr 1
		.amdhsa_user_sgpr_dispatch_id 0
		.amdhsa_user_sgpr_flat_scratch_init 0
		.amdhsa_user_sgpr_kernarg_preload_length 0
		.amdhsa_user_sgpr_kernarg_preload_offset 0
		.amdhsa_user_sgpr_private_segment_size 0
		.amdhsa_uses_dynamic_stack 0
		.amdhsa_system_sgpr_private_segment_wavefront_offset 0
		.amdhsa_system_sgpr_workgroup_id_x 1
		.amdhsa_system_sgpr_workgroup_id_y 0
		.amdhsa_system_sgpr_workgroup_id_z 0
		.amdhsa_system_sgpr_workgroup_info 0
		.amdhsa_system_vgpr_workitem_id 1
		.amdhsa_next_free_vgpr 20
		.amdhsa_next_free_sgpr 26
		.amdhsa_accum_offset 20
		.amdhsa_reserve_vcc 1
		.amdhsa_reserve_flat_scratch 0
		.amdhsa_float_round_mode_32 0
		.amdhsa_float_round_mode_16_64 0
		.amdhsa_float_denorm_mode_32 3
		.amdhsa_float_denorm_mode_16_64 3
		.amdhsa_dx10_clamp 1
		.amdhsa_ieee_mode 1
		.amdhsa_fp16_overflow 0
		.amdhsa_tg_split 0
		.amdhsa_exception_fp_ieee_invalid_op 0
		.amdhsa_exception_fp_denorm_src 0
		.amdhsa_exception_fp_ieee_div_zero 0
		.amdhsa_exception_fp_ieee_overflow 0
		.amdhsa_exception_fp_ieee_underflow 0
		.amdhsa_exception_fp_ieee_inexact 0
		.amdhsa_exception_int_div_zero 0
	.end_amdhsa_kernel
	.section	.text._ZN4vllm3moe17topkGatingSoftmaxIDF16_Li1ELi1ELi8ELi2ELb1ELi0ELNS0_23SharedExpertScoringFuncE0EEEvPKT_PKbPfiPiS9_iiiiii,"axG",@progbits,_ZN4vllm3moe17topkGatingSoftmaxIDF16_Li1ELi1ELi8ELi2ELb1ELi0ELNS0_23SharedExpertScoringFuncE0EEEvPKT_PKbPfiPiS9_iiiiii,comdat
.Lfunc_end106:
	.size	_ZN4vllm3moe17topkGatingSoftmaxIDF16_Li1ELi1ELi8ELi2ELb1ELi0ELNS0_23SharedExpertScoringFuncE0EEEvPKT_PKbPfiPiS9_iiiiii, .Lfunc_end106-_ZN4vllm3moe17topkGatingSoftmaxIDF16_Li1ELi1ELi8ELi2ELb1ELi0ELNS0_23SharedExpertScoringFuncE0EEEvPKT_PKbPfiPiS9_iiiiii
                                        ; -- End function
	.section	.AMDGPU.csdata,"",@progbits
; Kernel info:
; codeLenInByte = 1152
; NumSgprs: 30
; NumVgprs: 20
; NumAgprs: 0
; TotalNumVgprs: 20
; ScratchSize: 0
; MemoryBound: 0
; FloatMode: 240
; IeeeMode: 1
; LDSByteSize: 0 bytes/workgroup (compile time only)
; SGPRBlocks: 3
; VGPRBlocks: 2
; NumSGPRsForWavesPerEU: 30
; NumVGPRsForWavesPerEU: 20
; AccumOffset: 20
; Occupancy: 8
; WaveLimiterHint : 0
; COMPUTE_PGM_RSRC2:SCRATCH_EN: 0
; COMPUTE_PGM_RSRC2:USER_SGPR: 6
; COMPUTE_PGM_RSRC2:TRAP_HANDLER: 0
; COMPUTE_PGM_RSRC2:TGID_X_EN: 1
; COMPUTE_PGM_RSRC2:TGID_Y_EN: 0
; COMPUTE_PGM_RSRC2:TGID_Z_EN: 0
; COMPUTE_PGM_RSRC2:TIDIG_COMP_CNT: 1
; COMPUTE_PGM_RSRC3_GFX90A:ACCUM_OFFSET: 4
; COMPUTE_PGM_RSRC3_GFX90A:TG_SPLIT: 0
	.section	.text._ZN4vllm3moe17topkGatingSoftmaxIDF16_Li1ELi1ELi8ELi2ELb0ELi0ELNS0_23SharedExpertScoringFuncE0EEEvPKT_PKbPfiPiS9_iiiiii,"axG",@progbits,_ZN4vllm3moe17topkGatingSoftmaxIDF16_Li1ELi1ELi8ELi2ELb0ELi0ELNS0_23SharedExpertScoringFuncE0EEEvPKT_PKbPfiPiS9_iiiiii,comdat
	.protected	_ZN4vllm3moe17topkGatingSoftmaxIDF16_Li1ELi1ELi8ELi2ELb0ELi0ELNS0_23SharedExpertScoringFuncE0EEEvPKT_PKbPfiPiS9_iiiiii ; -- Begin function _ZN4vllm3moe17topkGatingSoftmaxIDF16_Li1ELi1ELi8ELi2ELb0ELi0ELNS0_23SharedExpertScoringFuncE0EEEvPKT_PKbPfiPiS9_iiiiii
	.globl	_ZN4vllm3moe17topkGatingSoftmaxIDF16_Li1ELi1ELi8ELi2ELb0ELi0ELNS0_23SharedExpertScoringFuncE0EEEvPKT_PKbPfiPiS9_iiiiii
	.p2align	8
	.type	_ZN4vllm3moe17topkGatingSoftmaxIDF16_Li1ELi1ELi8ELi2ELb0ELi0ELNS0_23SharedExpertScoringFuncE0EEEvPKT_PKbPfiPiS9_iiiiii,@function
_ZN4vllm3moe17topkGatingSoftmaxIDF16_Li1ELi1ELi8ELi2ELb0ELi0ELNS0_23SharedExpertScoringFuncE0EEEvPKT_PKbPfiPiS9_iiiiii: ; @_ZN4vllm3moe17topkGatingSoftmaxIDF16_Li1ELi1ELi8ELi2ELb0ELi0ELNS0_23SharedExpertScoringFuncE0EEEvPKT_PKbPfiPiS9_iiiiii
; %bb.0:
	s_load_dword s18, s[4:5], 0x18
	v_bfe_u32 v1, v0, 10, 10
	s_lshl_b32 s19, s6, 9
	v_lshlrev_b32_e32 v10, 6, v1
	v_and_b32_e32 v11, 0x3ff, v0
	v_add3_u32 v8, v10, v11, s19
	s_waitcnt lgkmcnt(0)
	v_cmp_gt_i32_e32 vcc, s18, v8
	s_and_saveexec_b64 s[0:1], vcc
	s_cbranch_execz .LBB107_21
; %bb.1:
	s_load_dwordx4 s[0:3], s[4:5], 0x0
	s_load_dwordx2 s[12:13], s[4:5], 0x10
	s_waitcnt lgkmcnt(0)
	s_cmp_eq_u64 s[2:3], 0
	s_cbranch_scc1 .LBB107_3
; %bb.2:
	v_ashrrev_i32_e32 v1, 31, v8
	v_mov_b32_e32 v2, s3
	v_add_co_u32_e32 v0, vcc, s2, v8
	v_addc_co_u32_e32 v1, vcc, v2, v1, vcc
	global_load_ubyte v0, v[0:1], off
	s_waitcnt vmcnt(0)
	v_and_b32_e32 v0, 1, v0
	v_cmp_eq_u32_e32 vcc, 1, v0
	s_xor_b64 s[2:3], vcc, -1
	s_orn2_b64 s[14:15], s[2:3], exec
	s_branch .LBB107_4
.LBB107_3:
	s_mov_b64 s[14:15], -1
.LBB107_4:
	s_load_dwordx2 s[16:17], s[4:5], 0x40
	s_load_dwordx4 s[8:11], s[4:5], 0x30
	v_mov_b32_e32 v2, s1
	s_waitcnt lgkmcnt(0)
	v_mul_lo_u32 v0, v8, s17
	v_ashrrev_i32_e32 v1, 31, v0
	v_lshlrev_b64 v[0:1], 1, v[0:1]
	v_add_co_u32_e32 v0, vcc, s0, v0
	v_addc_co_u32_e32 v1, vcc, v2, v1, vcc
	global_load_ushort v0, v[0:1], off
	s_cmp_gt_i32 s8, 0
	s_cselect_b64 s[2:3], -1, 0
	s_cmp_lt_i32 s8, 1
	s_waitcnt vmcnt(0)
	v_cvt_f32_f16_e32 v9, v0
	s_cbranch_scc1 .LBB107_9
; %bb.5:
	v_sub_f32_e32 v1, v9, v9
	v_mul_f32_e32 v2, 0x3fb8aa3b, v1
	v_mul_lo_u32 v4, v8, s16
	s_mov_b32 s16, 0x3fb8aa3b
	v_rndne_f32_e32 v3, v2
	v_sub_f32_e32 v5, v2, v3
	v_fma_f32 v2, v1, s16, -v2
	v_fmac_f32_e32 v2, 0x32a5705f, v1
	v_add_f32_e32 v2, v5, v2
	v_exp_f32_e32 v2, v2
	v_cvt_i32_f32_e32 v3, v3
	s_cmp_lt_i32 s9, 1
	s_cselect_b64 s[0:1], -1, 0
	s_cmp_gt_i32 s10, 0
	s_mov_b32 s10, 0xc2ce8ed0
	v_mul_lo_u32 v0, v8, s11
	v_ldexp_f32 v2, v2, v3
	v_cmp_ngt_f32_e32 vcc, s10, v1
	s_mov_b32 s17, 0x42b17218
	v_cndmask_b32_e32 v2, 0, v2, vcc
	v_cmp_nlt_f32_e32 vcc, s17, v1
	v_ashrrev_i32_e32 v1, 31, v0
	s_load_dwordx4 s[4:7], s[4:5], 0x20
	v_mov_b32_e32 v13, 0x7f800000
	v_lshlrev_b64 v[0:1], 2, v[0:1]
	s_cselect_b64 s[20:21], -1, 0
	v_cndmask_b32_e32 v12, v13, v2, vcc
	v_mov_b32_e32 v3, s13
	v_add_co_u32_e32 v2, vcc, s12, v0
	s_and_b64 s[20:21], s[0:1], s[20:21]
	v_addc_co_u32_e64 v3, s[0:1], v3, v1, vcc
	s_sub_i32 s0, 0, s9
	v_ashrrev_i32_e32 v5, 31, v4
	v_mov_b32_e32 v0, s0
	s_and_b64 s[0:1], s[14:15], s[20:21]
	v_lshlrev_b64 v[6:7], 2, v[4:5]
	v_mul_lo_u32 v14, v8, s8
	global_store_dword v[2:3], v12, off
	v_cndmask_b32_e64 v3, 1, v0, s[0:1]
	s_waitcnt lgkmcnt(0)
	v_mov_b32_e32 v0, s5
	v_add_co_u32_e64 v4, s[0:1], s4, v6
	v_addc_co_u32_e64 v5, s[0:1], v0, v7, s[0:1]
	v_ashrrev_i32_e32 v15, 31, v14
	global_store_dword v[4:5], v3, off
	v_lshlrev_b64 v[4:5], 2, v[14:15]
	v_mov_b32_e32 v0, s7
	v_add_co_u32_e64 v14, s[0:1], s6, v4
	v_addc_co_u32_e64 v15, s[0:1], v0, v5, s[0:1]
	s_cmp_eq_u32 s8, 1
	global_store_dword v[14:15], v8, off
	s_cbranch_scc1 .LBB107_8
; %bb.6:
	v_sub_f32_e32 v0, 0xff800000, v9
	v_mul_f32_e32 v14, 0x3fb8aa3b, v0
	v_fma_f32 v15, v0, s16, -v14
	v_rndne_f32_e32 v16, v14
	v_fmac_f32_e32 v15, 0x32a5705f, v0
	v_sub_f32_e32 v14, v14, v16
	v_add_f32_e32 v14, v14, v15
	v_cvt_i32_f32_e32 v15, v16
	v_exp_f32_e32 v14, v14
	v_cmp_ngt_f32_e64 s[0:1], s10, v0
	s_add_i32 s19, s19, s18
	v_ldexp_f32 v14, v14, v15
	v_cndmask_b32_e64 v14, 0, v14, s[0:1]
	v_cmp_nlt_f32_e64 s[0:1], s17, v0
	v_cndmask_b32_e64 v13, v13, v14, s[0:1]
	v_mov_b32_e32 v0, s7
	v_add_co_u32_e64 v4, s[0:1], s6, v4
	v_addc_co_u32_e64 v0, s[0:1], v5, v0, s[0:1]
	v_add_co_u32_e64 v4, s[0:1], 4, v4
	v_addc_co_u32_e64 v5, s[0:1], 0, v0, s[0:1]
	v_mov_b32_e32 v0, s5
	v_add_co_u32_e64 v6, s[0:1], s4, v6
	v_addc_co_u32_e64 v0, s[0:1], v7, v0, s[0:1]
	v_add_co_u32_e64 v6, s[0:1], 4, v6
	v_addc_co_u32_e64 v7, s[0:1], 0, v0, s[0:1]
	v_mov_b32_e32 v0, s13
	v_addc_co_u32_e32 v1, vcc, v1, v0, vcc
	v_add_co_u32_e32 v0, vcc, 4, v2
	v_addc_co_u32_e32 v1, vcc, 0, v1, vcc
	s_add_i32 s0, s8, -1
	v_add3_u32 v2, s19, v11, v10
.LBB107_7:                              ; =>This Inner Loop Header: Depth=1
	global_store_dword v[0:1], v13, off
	global_store_dword v[6:7], v3, off
	;; [unrolled: 1-line block ×3, first 2 shown]
	v_add_co_u32_e32 v4, vcc, 4, v4
	v_addc_co_u32_e32 v5, vcc, 0, v5, vcc
	v_add_co_u32_e32 v6, vcc, 4, v6
	v_addc_co_u32_e32 v7, vcc, 0, v7, vcc
	v_add_co_u32_e32 v0, vcc, 4, v0
	s_add_i32 s0, s0, -1
	v_add_f32_e32 v12, v12, v13
	v_addc_co_u32_e32 v1, vcc, 0, v1, vcc
	s_cmp_eq_u32 s0, 0
	v_add_u32_e32 v2, s18, v2
	s_cbranch_scc0 .LBB107_7
.LBB107_8:
	v_mov_b32_e32 v0, 0xff800000
	s_branch .LBB107_10
.LBB107_9:
	v_mov_b32_e32 v12, 0
	v_mov_b32_e32 v0, v9
.LBB107_10:
	v_sub_f32_e32 v0, v0, v9
	s_mov_b32 s0, 0x3fb8aa3b
	v_mul_f32_e32 v1, 0x3fb8aa3b, v0
	v_fma_f32 v2, v0, s0, -v1
	v_rndne_f32_e32 v3, v1
	v_fmac_f32_e32 v2, 0x32a5705f, v0
	v_sub_f32_e32 v1, v1, v3
	v_add_f32_e32 v1, v1, v2
	v_exp_f32_e32 v1, v1
	v_cvt_i32_f32_e32 v2, v3
	s_mov_b32 s0, 0xc2ce8ed0
	v_cmp_ngt_f32_e32 vcc, s0, v0
	s_mov_b32 s0, 0x42b17218
	v_ldexp_f32 v1, v1, v2
	v_cndmask_b32_e32 v1, 0, v1, vcc
	v_mov_b32_e32 v2, 0x7f800000
	v_cmp_nlt_f32_e32 vcc, s0, v0
	v_cndmask_b32_e32 v0, v2, v1, vcc
	v_add_f32_e32 v0, v12, v0
	v_cmp_neq_f32_e32 vcc, 0, v0
	s_and_b64 exec, exec, vcc
	s_cbranch_execz .LBB107_21
; %bb.11:
	s_andn2_b64 vcc, exec, s[2:3]
	s_cbranch_vccnz .LBB107_21
; %bb.12:
	v_div_scale_f32 v1, s[0:1], v0, v0, 1.0
	v_rcp_f32_e32 v2, v1
	v_div_scale_f32 v3, vcc, 1.0, v0, 1.0
	s_cmp_gt_u32 s8, 3
	v_fma_f32 v4, -v1, v2, 1.0
	v_fmac_f32_e32 v2, v4, v2
	v_mul_f32_e32 v4, v3, v2
	v_fma_f32 v5, -v1, v4, v3
	v_fmac_f32_e32 v4, v5, v2
	v_fma_f32 v1, -v1, v4, v3
	v_div_fmas_f32 v1, v1, v2, v4
	v_mul_lo_u32 v2, v8, s11
	v_div_fixup_f32 v0, v1, v0, 1.0
	v_ashrrev_i32_e32 v3, 31, v2
	s_cbranch_scc0 .LBB107_16
; %bb.13:
	v_lshlrev_b64 v[4:5], 2, v[2:3]
	v_mov_b32_e32 v6, s13
	v_add_co_u32_e32 v4, vcc, s12, v4
	v_addc_co_u32_e32 v5, vcc, v5, v6, vcc
	s_and_b32 s4, s8, 0x7ffffffc
	v_add_co_u32_e32 v4, vcc, 8, v4
	v_mov_b32_e32 v1, v0
	v_addc_co_u32_e32 v5, vcc, 0, v5, vcc
	s_mov_b32 s0, s4
.LBB107_14:                             ; =>This Inner Loop Header: Depth=1
	global_load_dwordx4 v[6:9], v[4:5], off offset:-8
	s_add_i32 s0, s0, -4
	s_cmp_lg_u32 s0, 0
	s_waitcnt vmcnt(0)
	v_pk_mul_f32 v[6:7], v[0:1], v[6:7]
	v_pk_mul_f32 v[8:9], v[0:1], v[8:9]
	global_store_dwordx4 v[4:5], v[6:9], off offset:-8
	v_add_co_u32_e32 v4, vcc, 16, v4
	v_addc_co_u32_e32 v5, vcc, 0, v5, vcc
	s_cbranch_scc1 .LBB107_14
; %bb.15:
	s_cmp_lg_u32 s4, s8
	s_cselect_b64 s[0:1], -1, 0
	s_branch .LBB107_18
.LBB107_16:
	s_mov_b64 s[0:1], 0
                                        ; implicit-def: $sgpr4
	s_cbranch_execz .LBB107_18
; %bb.17:
	s_mov_b64 s[0:1], -1
	s_mov_b32 s4, 0
.LBB107_18:
	s_andn2_b64 vcc, exec, s[0:1]
	s_cbranch_vccnz .LBB107_21
; %bb.19:
	v_add_co_u32_e32 v2, vcc, s4, v2
	v_addc_co_u32_e32 v3, vcc, 0, v3, vcc
	v_lshlrev_b64 v[2:3], 2, v[2:3]
	v_mov_b32_e32 v1, s13
	v_add_co_u32_e32 v2, vcc, s12, v2
	s_sub_i32 s0, s8, s4
	v_addc_co_u32_e32 v3, vcc, v1, v3, vcc
.LBB107_20:                             ; =>This Inner Loop Header: Depth=1
	global_load_dword v1, v[2:3], off
	s_add_i32 s0, s0, -1
	s_cmp_lg_u32 s0, 0
	s_waitcnt vmcnt(0)
	v_mul_f32_e32 v1, v0, v1
	global_store_dword v[2:3], v1, off
	v_add_co_u32_e32 v2, vcc, 4, v2
	v_addc_co_u32_e32 v3, vcc, 0, v3, vcc
	s_cbranch_scc1 .LBB107_20
.LBB107_21:
	s_endpgm
	.section	.rodata,"a",@progbits
	.p2align	6, 0x0
	.amdhsa_kernel _ZN4vllm3moe17topkGatingSoftmaxIDF16_Li1ELi1ELi8ELi2ELb0ELi0ELNS0_23SharedExpertScoringFuncE0EEEvPKT_PKbPfiPiS9_iiiiii
		.amdhsa_group_segment_fixed_size 0
		.amdhsa_private_segment_fixed_size 0
		.amdhsa_kernarg_size 72
		.amdhsa_user_sgpr_count 6
		.amdhsa_user_sgpr_private_segment_buffer 1
		.amdhsa_user_sgpr_dispatch_ptr 0
		.amdhsa_user_sgpr_queue_ptr 0
		.amdhsa_user_sgpr_kernarg_segment_ptr 1
		.amdhsa_user_sgpr_dispatch_id 0
		.amdhsa_user_sgpr_flat_scratch_init 0
		.amdhsa_user_sgpr_kernarg_preload_length 0
		.amdhsa_user_sgpr_kernarg_preload_offset 0
		.amdhsa_user_sgpr_private_segment_size 0
		.amdhsa_uses_dynamic_stack 0
		.amdhsa_system_sgpr_private_segment_wavefront_offset 0
		.amdhsa_system_sgpr_workgroup_id_x 1
		.amdhsa_system_sgpr_workgroup_id_y 0
		.amdhsa_system_sgpr_workgroup_id_z 0
		.amdhsa_system_sgpr_workgroup_info 0
		.amdhsa_system_vgpr_workitem_id 1
		.amdhsa_next_free_vgpr 17
		.amdhsa_next_free_sgpr 22
		.amdhsa_accum_offset 20
		.amdhsa_reserve_vcc 1
		.amdhsa_reserve_flat_scratch 0
		.amdhsa_float_round_mode_32 0
		.amdhsa_float_round_mode_16_64 0
		.amdhsa_float_denorm_mode_32 3
		.amdhsa_float_denorm_mode_16_64 3
		.amdhsa_dx10_clamp 1
		.amdhsa_ieee_mode 1
		.amdhsa_fp16_overflow 0
		.amdhsa_tg_split 0
		.amdhsa_exception_fp_ieee_invalid_op 0
		.amdhsa_exception_fp_denorm_src 0
		.amdhsa_exception_fp_ieee_div_zero 0
		.amdhsa_exception_fp_ieee_overflow 0
		.amdhsa_exception_fp_ieee_underflow 0
		.amdhsa_exception_fp_ieee_inexact 0
		.amdhsa_exception_int_div_zero 0
	.end_amdhsa_kernel
	.section	.text._ZN4vllm3moe17topkGatingSoftmaxIDF16_Li1ELi1ELi8ELi2ELb0ELi0ELNS0_23SharedExpertScoringFuncE0EEEvPKT_PKbPfiPiS9_iiiiii,"axG",@progbits,_ZN4vllm3moe17topkGatingSoftmaxIDF16_Li1ELi1ELi8ELi2ELb0ELi0ELNS0_23SharedExpertScoringFuncE0EEEvPKT_PKbPfiPiS9_iiiiii,comdat
.Lfunc_end107:
	.size	_ZN4vllm3moe17topkGatingSoftmaxIDF16_Li1ELi1ELi8ELi2ELb0ELi0ELNS0_23SharedExpertScoringFuncE0EEEvPKT_PKbPfiPiS9_iiiiii, .Lfunc_end107-_ZN4vllm3moe17topkGatingSoftmaxIDF16_Li1ELi1ELi8ELi2ELb0ELi0ELNS0_23SharedExpertScoringFuncE0EEEvPKT_PKbPfiPiS9_iiiiii
                                        ; -- End function
	.section	.AMDGPU.csdata,"",@progbits
; Kernel info:
; codeLenInByte = 1244
; NumSgprs: 26
; NumVgprs: 17
; NumAgprs: 0
; TotalNumVgprs: 17
; ScratchSize: 0
; MemoryBound: 0
; FloatMode: 240
; IeeeMode: 1
; LDSByteSize: 0 bytes/workgroup (compile time only)
; SGPRBlocks: 3
; VGPRBlocks: 2
; NumSGPRsForWavesPerEU: 26
; NumVGPRsForWavesPerEU: 17
; AccumOffset: 20
; Occupancy: 8
; WaveLimiterHint : 0
; COMPUTE_PGM_RSRC2:SCRATCH_EN: 0
; COMPUTE_PGM_RSRC2:USER_SGPR: 6
; COMPUTE_PGM_RSRC2:TRAP_HANDLER: 0
; COMPUTE_PGM_RSRC2:TGID_X_EN: 1
; COMPUTE_PGM_RSRC2:TGID_Y_EN: 0
; COMPUTE_PGM_RSRC2:TGID_Z_EN: 0
; COMPUTE_PGM_RSRC2:TIDIG_COMP_CNT: 1
; COMPUTE_PGM_RSRC3_GFX90A:ACCUM_OFFSET: 4
; COMPUTE_PGM_RSRC3_GFX90A:TG_SPLIT: 0
	.section	.text._ZN4vllm3moe17topkGatingSoftmaxIDF16_Li1ELi1ELi8ELi2ELb1ELi1ELNS0_23SharedExpertScoringFuncE1EEEvPKT_PKbPfiPiS9_iiiiii,"axG",@progbits,_ZN4vllm3moe17topkGatingSoftmaxIDF16_Li1ELi1ELi8ELi2ELb1ELi1ELNS0_23SharedExpertScoringFuncE1EEEvPKT_PKbPfiPiS9_iiiiii,comdat
	.protected	_ZN4vllm3moe17topkGatingSoftmaxIDF16_Li1ELi1ELi8ELi2ELb1ELi1ELNS0_23SharedExpertScoringFuncE1EEEvPKT_PKbPfiPiS9_iiiiii ; -- Begin function _ZN4vllm3moe17topkGatingSoftmaxIDF16_Li1ELi1ELi8ELi2ELb1ELi1ELNS0_23SharedExpertScoringFuncE1EEEvPKT_PKbPfiPiS9_iiiiii
	.globl	_ZN4vllm3moe17topkGatingSoftmaxIDF16_Li1ELi1ELi8ELi2ELb1ELi1ELNS0_23SharedExpertScoringFuncE1EEEvPKT_PKbPfiPiS9_iiiiii
	.p2align	8
	.type	_ZN4vllm3moe17topkGatingSoftmaxIDF16_Li1ELi1ELi8ELi2ELb1ELi1ELNS0_23SharedExpertScoringFuncE1EEEvPKT_PKbPfiPiS9_iiiiii,@function
_ZN4vllm3moe17topkGatingSoftmaxIDF16_Li1ELi1ELi8ELi2ELb1ELi1ELNS0_23SharedExpertScoringFuncE1EEEvPKT_PKbPfiPiS9_iiiiii: ; @_ZN4vllm3moe17topkGatingSoftmaxIDF16_Li1ELi1ELi8ELi2ELb1ELi1ELNS0_23SharedExpertScoringFuncE1EEEvPKT_PKbPfiPiS9_iiiiii
; %bb.0:
	s_load_dword s18, s[4:5], 0x18
	v_bfe_u32 v1, v0, 10, 10
	s_lshl_b32 s19, s6, 9
	v_lshlrev_b32_e32 v10, 6, v1
	v_and_b32_e32 v11, 0x3ff, v0
	v_add3_u32 v13, v10, v11, s19
	s_waitcnt lgkmcnt(0)
	v_cmp_gt_i32_e32 vcc, s18, v13
	s_and_saveexec_b64 s[0:1], vcc
	s_cbranch_execz .LBB108_19
; %bb.1:
	s_load_dwordx4 s[0:3], s[4:5], 0x0
	s_load_dwordx2 s[12:13], s[4:5], 0x10
	s_waitcnt lgkmcnt(0)
	s_cmp_eq_u64 s[2:3], 0
	s_cbranch_scc1 .LBB108_3
; %bb.2:
	v_ashrrev_i32_e32 v1, 31, v13
	v_mov_b32_e32 v2, s3
	v_add_co_u32_e32 v0, vcc, s2, v13
	v_addc_co_u32_e32 v1, vcc, v2, v1, vcc
	global_load_ubyte v0, v[0:1], off
	s_waitcnt vmcnt(0)
	v_and_b32_e32 v0, 1, v0
	v_cmp_eq_u32_e32 vcc, 1, v0
	s_xor_b64 s[2:3], vcc, -1
	s_orn2_b64 s[14:15], s[2:3], exec
	s_branch .LBB108_4
.LBB108_3:
	s_mov_b64 s[14:15], -1
.LBB108_4:
	s_load_dwordx2 s[16:17], s[4:5], 0x40
	s_load_dwordx4 s[8:11], s[4:5], 0x30
	v_mov_b32_e32 v2, s1
	s_mov_b32 s2, 0x32a5705f
	s_mov_b32 s1, 0xc2ce8ed0
	s_waitcnt lgkmcnt(0)
	v_mul_lo_u32 v0, v13, s17
	v_ashrrev_i32_e32 v1, 31, v0
	v_lshlrev_b64 v[0:1], 1, v[0:1]
	v_add_co_u32_e32 v0, vcc, s0, v0
	v_addc_co_u32_e32 v1, vcc, v2, v1, vcc
	global_load_dword v2, v[0:1], off
	s_mov_b32 s0, 0x3fb8aa3b
	s_mov_b32 s17, 0x42b17218
	v_mov_b32_e32 v1, 0x7f800000
	v_mul_lo_u32 v0, v13, s11
	v_add_u32_e32 v4, s8, v0
	v_mov_b32_e32 v3, s13
	s_cmp_gt_i32 s8, 0
	v_mov_b32_e32 v12, 0
	s_waitcnt vmcnt(0)
	v_cvt_f32_f16_sdwa v6, -v2 dst_sel:DWORD dst_unused:UNUSED_PAD src0_sel:WORD_1
	v_mul_f32_e32 v5, 0x3fb8aa3b, v6
	v_fma_mix_f32 v7, -v2, s0, -v5 op_sel:[1,0,0] op_sel_hi:[1,0,0]
	v_rndne_f32_e32 v8, v5
	v_fma_mix_f32 v7, -v2, s2, v7 op_sel:[1,0,0] op_sel_hi:[1,0,0]
	v_sub_f32_e32 v5, v5, v8
	v_add_f32_e32 v5, v5, v7
	v_cvt_i32_f32_e32 v8, v8
	v_exp_f32_e32 v7, v5
	v_cmp_ngt_f32_e32 vcc, s1, v6
	v_ashrrev_i32_e32 v5, 31, v4
	v_lshlrev_b64 v[4:5], 2, v[4:5]
	v_ldexp_f32 v7, v7, v8
	v_cndmask_b32_e32 v7, 0, v7, vcc
	v_cmp_nlt_f32_e32 vcc, s17, v6
	v_cndmask_b32_e32 v6, v1, v7, vcc
	v_add_f32_e32 v6, 1.0, v6
	v_div_scale_f32 v7, s[6:7], v6, v6, 1.0
	v_rcp_f32_e32 v8, v7
	v_add_co_u32_e32 v4, vcc, s12, v4
	v_addc_co_u32_e32 v5, vcc, v3, v5, vcc
	v_fma_f32 v9, -v7, v8, 1.0
	v_div_scale_f32 v3, vcc, 1.0, v6, 1.0
	v_fmac_f32_e32 v8, v9, v8
	v_mul_f32_e32 v9, v3, v8
	v_fma_f32 v14, -v7, v9, v3
	v_fmac_f32_e32 v9, v14, v8
	v_fma_f32 v3, -v7, v9, v3
	v_div_fmas_f32 v3, v3, v8, v9
	s_cselect_b64 s[2:3], -1, 0
	v_div_fixup_f32 v3, v3, v6, 1.0
	s_cmp_lt_i32 s8, 1
	global_store_dword v[4:5], v3, off
	s_cbranch_scc1 .LBB108_8
; %bb.5:
	v_cvt_f32_f16_e32 v14, v2
	s_load_dwordx4 s[4:7], s[4:5], 0x20
	s_cmp_lt_i32 s9, 1
	s_cselect_b64 s[20:21], -1, 0
	v_sub_f32_e32 v2, v14, v14
	v_mul_f32_e32 v3, 0x3fb8aa3b, v2
	v_rndne_f32_e32 v4, v3
	v_sub_f32_e32 v5, v3, v4
	v_fma_f32 v3, v2, s0, -v3
	v_fmac_f32_e32 v3, 0x32a5705f, v2
	v_add_f32_e32 v3, v5, v3
	v_exp_f32_e32 v3, v3
	v_cvt_i32_f32_e32 v4, v4
	v_cmp_ngt_f32_e32 vcc, s1, v2
	s_cmp_gt_i32 s10, 0
	v_mul_lo_u32 v6, v13, s16
	v_ldexp_f32 v3, v3, v4
	v_cndmask_b32_e32 v3, 0, v3, vcc
	v_cmp_nlt_f32_e32 vcc, s17, v2
	v_cndmask_b32_e32 v12, v1, v3, vcc
	v_ashrrev_i32_e32 v1, 31, v0
	v_lshlrev_b64 v[2:3], 2, v[0:1]
	v_mov_b32_e32 v1, s13
	v_add_co_u32_e32 v4, vcc, s12, v2
	s_cselect_b64 s[10:11], -1, 0
	v_addc_co_u32_e64 v5, s[0:1], v1, v3, vcc
	s_and_b64 s[10:11], s[20:21], s[10:11]
	s_sub_i32 s0, 0, s9
	v_ashrrev_i32_e32 v7, 31, v6
	v_mov_b32_e32 v1, s0
	s_and_b64 s[0:1], s[14:15], s[10:11]
	v_lshlrev_b64 v[8:9], 2, v[6:7]
	v_mul_lo_u32 v16, v13, s8
	v_cndmask_b32_e64 v1, 1, v1, s[0:1]
	s_waitcnt lgkmcnt(0)
	v_mov_b32_e32 v2, s5
	v_add_co_u32_e64 v6, s[0:1], s4, v8
	v_addc_co_u32_e64 v7, s[0:1], v2, v9, s[0:1]
	v_ashrrev_i32_e32 v17, 31, v16
	global_store_dword v[6:7], v1, off
	v_lshlrev_b64 v[6:7], 2, v[16:17]
	v_mov_b32_e32 v2, s7
	v_add_co_u32_e64 v16, s[0:1], s6, v6
	v_addc_co_u32_e64 v17, s[0:1], v2, v7, s[0:1]
	s_cmp_eq_u32 s8, 1
	global_store_dword v[4:5], v12, off
	global_store_dword v[16:17], v13, off
	s_cbranch_scc1 .LBB108_8
; %bb.6:
	v_sub_f32_e32 v2, 0xff800000, v14
	s_mov_b32 s0, 0x3fb8aa3b
	v_mul_f32_e32 v5, 0x3fb8aa3b, v2
	v_fma_f32 v13, v2, s0, -v5
	v_rndne_f32_e32 v14, v5
	v_fmac_f32_e32 v13, 0x32a5705f, v2
	v_sub_f32_e32 v5, v5, v14
	v_add_f32_e32 v5, v5, v13
	v_exp_f32_e32 v5, v5
	v_cvt_i32_f32_e32 v13, v14
	s_mov_b32 s0, 0xc2ce8ed0
	v_cmp_ngt_f32_e64 s[0:1], s0, v2
	s_add_i32 s19, s19, s18
	v_ldexp_f32 v5, v5, v13
	v_cndmask_b32_e64 v5, 0, v5, s[0:1]
	s_mov_b32 s0, 0x42b17218
	v_mov_b32_e32 v13, 0x7f800000
	v_cmp_nlt_f32_e64 s[0:1], s0, v2
	v_cndmask_b32_e64 v5, v13, v5, s[0:1]
	v_mov_b32_e32 v2, s7
	v_add_co_u32_e64 v6, s[0:1], s6, v6
	v_addc_co_u32_e64 v2, s[0:1], v7, v2, s[0:1]
	v_add_co_u32_e64 v6, s[0:1], 4, v6
	v_addc_co_u32_e64 v7, s[0:1], 0, v2, s[0:1]
	v_mov_b32_e32 v2, s5
	v_add_co_u32_e64 v8, s[0:1], s4, v8
	v_addc_co_u32_e64 v2, s[0:1], v9, v2, s[0:1]
	v_add_co_u32_e64 v8, s[0:1], 4, v8
	v_addc_co_u32_e64 v9, s[0:1], 0, v2, s[0:1]
	v_mov_b32_e32 v2, s13
	v_addc_co_u32_e32 v3, vcc, v3, v2, vcc
	v_add_co_u32_e32 v2, vcc, 4, v4
	v_addc_co_u32_e32 v3, vcc, 0, v3, vcc
	s_add_i32 s0, s8, -1
	v_add3_u32 v4, s19, v11, v10
.LBB108_7:                              ; =>This Inner Loop Header: Depth=1
	global_store_dword v[2:3], v5, off
	global_store_dword v[8:9], v1, off
	;; [unrolled: 1-line block ×3, first 2 shown]
	v_add_co_u32_e32 v6, vcc, 4, v6
	v_addc_co_u32_e32 v7, vcc, 0, v7, vcc
	v_add_co_u32_e32 v8, vcc, 4, v8
	v_addc_co_u32_e32 v9, vcc, 0, v9, vcc
	v_add_co_u32_e32 v2, vcc, 4, v2
	s_add_i32 s0, s0, -1
	v_add_f32_e32 v12, v12, v5
	v_addc_co_u32_e32 v3, vcc, 0, v3, vcc
	s_cmp_eq_u32 s0, 0
	v_add_u32_e32 v4, s18, v4
	s_cbranch_scc0 .LBB108_7
.LBB108_8:
	v_cmp_neq_f32_e32 vcc, 0, v12
	s_and_b64 exec, exec, vcc
	s_cbranch_execz .LBB108_19
; %bb.9:
	s_andn2_b64 vcc, exec, s[2:3]
	s_cbranch_vccnz .LBB108_19
; %bb.10:
	v_div_scale_f32 v1, s[0:1], v12, v12, 1.0
	v_rcp_f32_e32 v2, v1
	v_div_scale_f32 v3, vcc, 1.0, v12, 1.0
	s_cmp_gt_u32 s8, 3
	v_fma_f32 v4, -v1, v2, 1.0
	v_fmac_f32_e32 v2, v4, v2
	v_mul_f32_e32 v4, v3, v2
	v_fma_f32 v5, -v1, v4, v3
	v_fmac_f32_e32 v4, v5, v2
	v_fma_f32 v1, -v1, v4, v3
	v_div_fmas_f32 v1, v1, v2, v4
	v_div_fixup_f32 v2, v1, v12, 1.0
	v_ashrrev_i32_e32 v1, 31, v0
	s_cbranch_scc0 .LBB108_14
; %bb.11:
	v_lshlrev_b64 v[4:5], 2, v[0:1]
	v_mov_b32_e32 v6, s13
	v_add_co_u32_e32 v4, vcc, s12, v4
	v_addc_co_u32_e32 v5, vcc, v5, v6, vcc
	s_and_b32 s4, s8, 0x7ffffffc
	v_add_co_u32_e32 v4, vcc, 8, v4
	v_mov_b32_e32 v3, v2
	v_addc_co_u32_e32 v5, vcc, 0, v5, vcc
	s_mov_b32 s0, s4
.LBB108_12:                             ; =>This Inner Loop Header: Depth=1
	global_load_dwordx4 v[6:9], v[4:5], off offset:-8
	s_add_i32 s0, s0, -4
	s_cmp_lg_u32 s0, 0
	s_waitcnt vmcnt(0)
	v_pk_mul_f32 v[6:7], v[2:3], v[6:7]
	v_pk_mul_f32 v[8:9], v[2:3], v[8:9]
	global_store_dwordx4 v[4:5], v[6:9], off offset:-8
	v_add_co_u32_e32 v4, vcc, 16, v4
	v_addc_co_u32_e32 v5, vcc, 0, v5, vcc
	s_cbranch_scc1 .LBB108_12
; %bb.13:
	s_cmp_lg_u32 s4, s8
	s_cselect_b64 s[0:1], -1, 0
	s_branch .LBB108_16
.LBB108_14:
	s_mov_b64 s[0:1], 0
                                        ; implicit-def: $sgpr4
	s_cbranch_execz .LBB108_16
; %bb.15:
	s_mov_b64 s[0:1], -1
	s_mov_b32 s4, 0
.LBB108_16:
	s_andn2_b64 vcc, exec, s[0:1]
	s_cbranch_vccnz .LBB108_19
; %bb.17:
	v_add_co_u32_e32 v0, vcc, s4, v0
	v_addc_co_u32_e32 v1, vcc, 0, v1, vcc
	v_lshlrev_b64 v[0:1], 2, v[0:1]
	v_mov_b32_e32 v3, s13
	v_add_co_u32_e32 v0, vcc, s12, v0
	s_sub_i32 s0, s8, s4
	v_addc_co_u32_e32 v1, vcc, v3, v1, vcc
.LBB108_18:                             ; =>This Inner Loop Header: Depth=1
	global_load_dword v3, v[0:1], off
	s_add_i32 s0, s0, -1
	s_cmp_lg_u32 s0, 0
	s_waitcnt vmcnt(0)
	v_mul_f32_e32 v3, v2, v3
	global_store_dword v[0:1], v3, off
	v_add_co_u32_e32 v0, vcc, 4, v0
	v_addc_co_u32_e32 v1, vcc, 0, v1, vcc
	s_cbranch_scc1 .LBB108_18
.LBB108_19:
	s_endpgm
	.section	.rodata,"a",@progbits
	.p2align	6, 0x0
	.amdhsa_kernel _ZN4vllm3moe17topkGatingSoftmaxIDF16_Li1ELi1ELi8ELi2ELb1ELi1ELNS0_23SharedExpertScoringFuncE1EEEvPKT_PKbPfiPiS9_iiiiii
		.amdhsa_group_segment_fixed_size 0
		.amdhsa_private_segment_fixed_size 0
		.amdhsa_kernarg_size 72
		.amdhsa_user_sgpr_count 6
		.amdhsa_user_sgpr_private_segment_buffer 1
		.amdhsa_user_sgpr_dispatch_ptr 0
		.amdhsa_user_sgpr_queue_ptr 0
		.amdhsa_user_sgpr_kernarg_segment_ptr 1
		.amdhsa_user_sgpr_dispatch_id 0
		.amdhsa_user_sgpr_flat_scratch_init 0
		.amdhsa_user_sgpr_kernarg_preload_length 0
		.amdhsa_user_sgpr_kernarg_preload_offset 0
		.amdhsa_user_sgpr_private_segment_size 0
		.amdhsa_uses_dynamic_stack 0
		.amdhsa_system_sgpr_private_segment_wavefront_offset 0
		.amdhsa_system_sgpr_workgroup_id_x 1
		.amdhsa_system_sgpr_workgroup_id_y 0
		.amdhsa_system_sgpr_workgroup_id_z 0
		.amdhsa_system_sgpr_workgroup_info 0
		.amdhsa_system_vgpr_workitem_id 1
		.amdhsa_next_free_vgpr 18
		.amdhsa_next_free_sgpr 22
		.amdhsa_accum_offset 20
		.amdhsa_reserve_vcc 1
		.amdhsa_reserve_flat_scratch 0
		.amdhsa_float_round_mode_32 0
		.amdhsa_float_round_mode_16_64 0
		.amdhsa_float_denorm_mode_32 3
		.amdhsa_float_denorm_mode_16_64 3
		.amdhsa_dx10_clamp 1
		.amdhsa_ieee_mode 1
		.amdhsa_fp16_overflow 0
		.amdhsa_tg_split 0
		.amdhsa_exception_fp_ieee_invalid_op 0
		.amdhsa_exception_fp_denorm_src 0
		.amdhsa_exception_fp_ieee_div_zero 0
		.amdhsa_exception_fp_ieee_overflow 0
		.amdhsa_exception_fp_ieee_underflow 0
		.amdhsa_exception_fp_ieee_inexact 0
		.amdhsa_exception_int_div_zero 0
	.end_amdhsa_kernel
	.section	.text._ZN4vllm3moe17topkGatingSoftmaxIDF16_Li1ELi1ELi8ELi2ELb1ELi1ELNS0_23SharedExpertScoringFuncE1EEEvPKT_PKbPfiPiS9_iiiiii,"axG",@progbits,_ZN4vllm3moe17topkGatingSoftmaxIDF16_Li1ELi1ELi8ELi2ELb1ELi1ELNS0_23SharedExpertScoringFuncE1EEEvPKT_PKbPfiPiS9_iiiiii,comdat
.Lfunc_end108:
	.size	_ZN4vllm3moe17topkGatingSoftmaxIDF16_Li1ELi1ELi8ELi2ELb1ELi1ELNS0_23SharedExpertScoringFuncE1EEEvPKT_PKbPfiPiS9_iiiiii, .Lfunc_end108-_ZN4vllm3moe17topkGatingSoftmaxIDF16_Li1ELi1ELi8ELi2ELb1ELi1ELNS0_23SharedExpertScoringFuncE1EEEvPKT_PKbPfiPiS9_iiiiii
                                        ; -- End function
	.section	.AMDGPU.csdata,"",@progbits
; Kernel info:
; codeLenInByte = 1340
; NumSgprs: 26
; NumVgprs: 18
; NumAgprs: 0
; TotalNumVgprs: 18
; ScratchSize: 0
; MemoryBound: 0
; FloatMode: 240
; IeeeMode: 1
; LDSByteSize: 0 bytes/workgroup (compile time only)
; SGPRBlocks: 3
; VGPRBlocks: 2
; NumSGPRsForWavesPerEU: 26
; NumVGPRsForWavesPerEU: 18
; AccumOffset: 20
; Occupancy: 8
; WaveLimiterHint : 0
; COMPUTE_PGM_RSRC2:SCRATCH_EN: 0
; COMPUTE_PGM_RSRC2:USER_SGPR: 6
; COMPUTE_PGM_RSRC2:TRAP_HANDLER: 0
; COMPUTE_PGM_RSRC2:TGID_X_EN: 1
; COMPUTE_PGM_RSRC2:TGID_Y_EN: 0
; COMPUTE_PGM_RSRC2:TGID_Z_EN: 0
; COMPUTE_PGM_RSRC2:TIDIG_COMP_CNT: 1
; COMPUTE_PGM_RSRC3_GFX90A:ACCUM_OFFSET: 4
; COMPUTE_PGM_RSRC3_GFX90A:TG_SPLIT: 0
	.section	.text._ZN4vllm3moe17topkGatingSoftmaxIDF16_Li1ELi1ELi8ELi2ELb0ELi1ELNS0_23SharedExpertScoringFuncE1EEEvPKT_PKbPfiPiS9_iiiiii,"axG",@progbits,_ZN4vllm3moe17topkGatingSoftmaxIDF16_Li1ELi1ELi8ELi2ELb0ELi1ELNS0_23SharedExpertScoringFuncE1EEEvPKT_PKbPfiPiS9_iiiiii,comdat
	.protected	_ZN4vllm3moe17topkGatingSoftmaxIDF16_Li1ELi1ELi8ELi2ELb0ELi1ELNS0_23SharedExpertScoringFuncE1EEEvPKT_PKbPfiPiS9_iiiiii ; -- Begin function _ZN4vllm3moe17topkGatingSoftmaxIDF16_Li1ELi1ELi8ELi2ELb0ELi1ELNS0_23SharedExpertScoringFuncE1EEEvPKT_PKbPfiPiS9_iiiiii
	.globl	_ZN4vllm3moe17topkGatingSoftmaxIDF16_Li1ELi1ELi8ELi2ELb0ELi1ELNS0_23SharedExpertScoringFuncE1EEEvPKT_PKbPfiPiS9_iiiiii
	.p2align	8
	.type	_ZN4vllm3moe17topkGatingSoftmaxIDF16_Li1ELi1ELi8ELi2ELb0ELi1ELNS0_23SharedExpertScoringFuncE1EEEvPKT_PKbPfiPiS9_iiiiii,@function
_ZN4vllm3moe17topkGatingSoftmaxIDF16_Li1ELi1ELi8ELi2ELb0ELi1ELNS0_23SharedExpertScoringFuncE1EEEvPKT_PKbPfiPiS9_iiiiii: ; @_ZN4vllm3moe17topkGatingSoftmaxIDF16_Li1ELi1ELi8ELi2ELb0ELi1ELNS0_23SharedExpertScoringFuncE1EEEvPKT_PKbPfiPiS9_iiiiii
; %bb.0:
	s_load_dword s18, s[4:5], 0x18
	v_bfe_u32 v1, v0, 10, 10
	s_lshl_b32 s19, s6, 9
	v_lshlrev_b32_e32 v10, 6, v1
	v_and_b32_e32 v11, 0x3ff, v0
	v_add3_u32 v14, v10, v11, s19
	s_waitcnt lgkmcnt(0)
	v_cmp_gt_i32_e32 vcc, s18, v14
	s_and_saveexec_b64 s[0:1], vcc
	s_cbranch_execz .LBB109_20
; %bb.1:
	s_load_dwordx4 s[0:3], s[4:5], 0x0
	s_load_dwordx2 s[12:13], s[4:5], 0x10
	s_waitcnt lgkmcnt(0)
	s_cmp_eq_u64 s[2:3], 0
	s_cbranch_scc1 .LBB109_3
; %bb.2:
	v_ashrrev_i32_e32 v1, 31, v14
	v_mov_b32_e32 v2, s3
	v_add_co_u32_e32 v0, vcc, s2, v14
	v_addc_co_u32_e32 v1, vcc, v2, v1, vcc
	global_load_ubyte v0, v[0:1], off
	s_waitcnt vmcnt(0)
	v_and_b32_e32 v0, 1, v0
	v_cmp_eq_u32_e32 vcc, 1, v0
	s_xor_b64 s[2:3], vcc, -1
	s_orn2_b64 s[14:15], s[2:3], exec
	s_branch .LBB109_4
.LBB109_3:
	s_mov_b64 s[14:15], -1
.LBB109_4:
	s_load_dwordx2 s[16:17], s[4:5], 0x40
	s_load_dwordx4 s[8:11], s[4:5], 0x30
	v_mov_b32_e32 v2, s1
	v_mov_b32_e32 v4, s13
	s_mov_b32 s20, 0xc2ce8ed0
	s_waitcnt lgkmcnt(0)
	v_mul_lo_u32 v0, v14, s17
	v_ashrrev_i32_e32 v1, 31, v0
	v_lshlrev_b64 v[0:1], 1, v[0:1]
	v_add_co_u32_e32 v0, vcc, s0, v0
	v_addc_co_u32_e32 v1, vcc, v2, v1, vcc
	global_load_dword v1, v[0:1], off
	s_mov_b32 s17, 0x3fb8aa3b
	s_mov_b32 s0, 0x32a5705f
	v_mul_lo_u32 v0, v14, s11
	v_add_u32_e32 v2, s8, v0
	v_ashrrev_i32_e32 v3, 31, v2
	v_lshlrev_b64 v[2:3], 2, v[2:3]
	v_add_co_u32_e32 v2, vcc, s12, v2
	v_addc_co_u32_e32 v3, vcc, v4, v3, vcc
	s_mov_b32 s21, 0x42b17218
	v_mov_b32_e32 v12, 0x7f800000
	s_cmp_gt_i32 s8, 0
	v_mov_b32_e32 v13, 0
	s_cselect_b64 s[2:3], -1, 0
	s_cmp_lt_i32 s8, 1
	s_waitcnt vmcnt(0)
	v_cvt_f32_f16_sdwa v5, -v1 dst_sel:DWORD dst_unused:UNUSED_PAD src0_sel:WORD_1
	v_cvt_f32_f16_e32 v15, v1
	v_mul_f32_e32 v6, 0x3fb8aa3b, v5
	v_fma_mix_f32 v7, -v1, s17, -v6 op_sel:[1,0,0] op_sel_hi:[1,0,0]
	v_rndne_f32_e32 v8, v6
	v_fma_mix_f32 v7, -v1, s0, v7 op_sel:[1,0,0] op_sel_hi:[1,0,0]
	v_sub_f32_e32 v6, v6, v8
	v_add_f32_e32 v6, v6, v7
	v_cvt_i32_f32_e32 v8, v8
	v_exp_f32_e32 v6, v6
	v_cmp_ngt_f32_e32 vcc, s20, v5
	v_ldexp_f32 v4, v6, v8
	v_cndmask_b32_e32 v4, 0, v4, vcc
	v_cmp_nlt_f32_e32 vcc, s21, v5
	v_cndmask_b32_e32 v4, v12, v4, vcc
	v_add_f32_e32 v4, 1.0, v4
	v_div_scale_f32 v5, s[0:1], v4, v4, 1.0
	v_rcp_f32_e32 v6, v5
	v_div_scale_f32 v1, vcc, 1.0, v4, 1.0
	v_fma_f32 v7, -v5, v6, 1.0
	v_fmac_f32_e32 v6, v7, v6
	v_mul_f32_e32 v7, v1, v6
	v_fma_f32 v8, -v5, v7, v1
	v_fmac_f32_e32 v7, v8, v6
	v_fma_f32 v1, -v5, v7, v1
	v_div_fmas_f32 v1, v1, v6, v7
	v_div_fixup_f32 v1, v1, v4, 1.0
	global_store_dword v[2:3], v1, off
	v_mov_b32_e32 v1, v15
	s_cbranch_scc1 .LBB109_9
; %bb.5:
	v_sub_f32_e32 v1, v15, v15
	v_mul_f32_e32 v2, 0x3fb8aa3b, v1
	v_rndne_f32_e32 v3, v2
	v_sub_f32_e32 v4, v2, v3
	v_fma_f32 v2, v1, s17, -v2
	v_fmac_f32_e32 v2, 0x32a5705f, v1
	v_add_f32_e32 v2, v4, v2
	v_exp_f32_e32 v2, v2
	v_cvt_i32_f32_e32 v3, v3
	v_cmp_ngt_f32_e32 vcc, s20, v1
	s_cmp_lt_i32 s9, 1
	s_load_dwordx4 s[4:7], s[4:5], 0x20
	v_ldexp_f32 v2, v2, v3
	v_cndmask_b32_e32 v2, 0, v2, vcc
	v_cmp_nlt_f32_e32 vcc, s21, v1
	v_ashrrev_i32_e32 v1, 31, v0
	s_cselect_b64 s[0:1], -1, 0
	s_cmp_gt_i32 s10, 0
	v_cndmask_b32_e32 v13, v12, v2, vcc
	v_lshlrev_b64 v[2:3], 2, v[0:1]
	s_cselect_b64 s[10:11], -1, 0
	v_mov_b32_e32 v1, s13
	v_add_co_u32_e32 v4, vcc, s12, v2
	v_mul_lo_u32 v6, v14, s16
	s_and_b64 s[10:11], s[0:1], s[10:11]
	v_addc_co_u32_e64 v5, s[0:1], v1, v3, vcc
	s_sub_i32 s0, 0, s9
	v_ashrrev_i32_e32 v7, 31, v6
	v_mov_b32_e32 v1, s0
	s_and_b64 s[0:1], s[14:15], s[10:11]
	v_lshlrev_b64 v[8:9], 2, v[6:7]
	v_mul_lo_u32 v16, v14, s8
	v_cndmask_b32_e64 v1, 1, v1, s[0:1]
	s_waitcnt lgkmcnt(0)
	v_mov_b32_e32 v2, s5
	v_add_co_u32_e64 v6, s[0:1], s4, v8
	v_addc_co_u32_e64 v7, s[0:1], v2, v9, s[0:1]
	v_ashrrev_i32_e32 v17, 31, v16
	global_store_dword v[6:7], v1, off
	v_lshlrev_b64 v[6:7], 2, v[16:17]
	v_mov_b32_e32 v2, s7
	v_add_co_u32_e64 v16, s[0:1], s6, v6
	v_addc_co_u32_e64 v17, s[0:1], v2, v7, s[0:1]
	s_cmp_eq_u32 s8, 1
	global_store_dword v[4:5], v13, off
	global_store_dword v[16:17], v14, off
	s_cbranch_scc1 .LBB109_8
; %bb.6:
	v_sub_f32_e32 v2, 0xff800000, v15
	s_mov_b32 s0, 0x3fb8aa3b
	v_mul_f32_e32 v5, 0x3fb8aa3b, v2
	v_fma_f32 v14, v2, s0, -v5
	v_rndne_f32_e32 v16, v5
	v_fmac_f32_e32 v14, 0x32a5705f, v2
	v_sub_f32_e32 v5, v5, v16
	v_add_f32_e32 v5, v5, v14
	v_exp_f32_e32 v5, v5
	v_cvt_i32_f32_e32 v14, v16
	s_mov_b32 s0, 0xc2ce8ed0
	v_cmp_ngt_f32_e64 s[0:1], s0, v2
	s_add_i32 s19, s19, s18
	v_ldexp_f32 v5, v5, v14
	v_cndmask_b32_e64 v5, 0, v5, s[0:1]
	s_mov_b32 s0, 0x42b17218
	v_mov_b32_e32 v14, 0x7f800000
	v_cmp_nlt_f32_e64 s[0:1], s0, v2
	v_cndmask_b32_e64 v5, v14, v5, s[0:1]
	v_mov_b32_e32 v2, s7
	v_add_co_u32_e64 v6, s[0:1], s6, v6
	v_addc_co_u32_e64 v2, s[0:1], v7, v2, s[0:1]
	v_add_co_u32_e64 v6, s[0:1], 4, v6
	v_addc_co_u32_e64 v7, s[0:1], 0, v2, s[0:1]
	v_mov_b32_e32 v2, s5
	v_add_co_u32_e64 v8, s[0:1], s4, v8
	v_addc_co_u32_e64 v2, s[0:1], v9, v2, s[0:1]
	v_add_co_u32_e64 v8, s[0:1], 4, v8
	v_addc_co_u32_e64 v9, s[0:1], 0, v2, s[0:1]
	v_mov_b32_e32 v2, s13
	v_addc_co_u32_e32 v3, vcc, v3, v2, vcc
	v_add_co_u32_e32 v2, vcc, 4, v4
	v_addc_co_u32_e32 v3, vcc, 0, v3, vcc
	s_add_i32 s0, s8, -1
	v_add3_u32 v4, s19, v11, v10
.LBB109_7:                              ; =>This Inner Loop Header: Depth=1
	global_store_dword v[2:3], v5, off
	global_store_dword v[8:9], v1, off
	;; [unrolled: 1-line block ×3, first 2 shown]
	v_add_co_u32_e32 v6, vcc, 4, v6
	v_addc_co_u32_e32 v7, vcc, 0, v7, vcc
	v_add_co_u32_e32 v8, vcc, 4, v8
	v_addc_co_u32_e32 v9, vcc, 0, v9, vcc
	v_add_co_u32_e32 v2, vcc, 4, v2
	s_add_i32 s0, s0, -1
	v_add_f32_e32 v13, v13, v5
	v_addc_co_u32_e32 v3, vcc, 0, v3, vcc
	s_cmp_eq_u32 s0, 0
	v_add_u32_e32 v4, s18, v4
	s_cbranch_scc0 .LBB109_7
.LBB109_8:
	v_mov_b32_e32 v1, 0xff800000
.LBB109_9:
	v_sub_f32_e32 v1, v1, v15
	v_mul_f32_e32 v2, 0x3fb8aa3b, v1
	v_fma_f32 v3, v1, s17, -v2
	v_rndne_f32_e32 v4, v2
	v_fmac_f32_e32 v3, 0x32a5705f, v1
	v_sub_f32_e32 v2, v2, v4
	v_add_f32_e32 v2, v2, v3
	v_cvt_i32_f32_e32 v3, v4
	v_exp_f32_e32 v2, v2
	v_cmp_ngt_f32_e32 vcc, s20, v1
	v_ldexp_f32 v2, v2, v3
	v_cndmask_b32_e32 v2, 0, v2, vcc
	v_cmp_nlt_f32_e32 vcc, s21, v1
	v_cndmask_b32_e32 v1, v12, v2, vcc
	v_add_f32_e32 v1, v13, v1
	v_cmp_neq_f32_e32 vcc, 0, v1
	s_and_b64 exec, exec, vcc
	s_cbranch_execz .LBB109_20
; %bb.10:
	s_andn2_b64 vcc, exec, s[2:3]
	s_cbranch_vccnz .LBB109_20
; %bb.11:
	v_div_scale_f32 v2, s[0:1], v1, v1, 1.0
	v_rcp_f32_e32 v3, v2
	v_div_scale_f32 v4, vcc, 1.0, v1, 1.0
	s_cmp_gt_u32 s8, 3
	v_fma_f32 v5, -v2, v3, 1.0
	v_fmac_f32_e32 v3, v5, v3
	v_mul_f32_e32 v5, v4, v3
	v_fma_f32 v6, -v2, v5, v4
	v_fmac_f32_e32 v5, v6, v3
	v_fma_f32 v2, -v2, v5, v4
	v_div_fmas_f32 v2, v2, v3, v5
	v_div_fixup_f32 v2, v2, v1, 1.0
	v_ashrrev_i32_e32 v1, 31, v0
	s_cbranch_scc0 .LBB109_15
; %bb.12:
	v_lshlrev_b64 v[4:5], 2, v[0:1]
	v_mov_b32_e32 v6, s13
	v_add_co_u32_e32 v4, vcc, s12, v4
	v_addc_co_u32_e32 v5, vcc, v5, v6, vcc
	s_and_b32 s4, s8, 0x7ffffffc
	v_add_co_u32_e32 v4, vcc, 8, v4
	v_mov_b32_e32 v3, v2
	v_addc_co_u32_e32 v5, vcc, 0, v5, vcc
	s_mov_b32 s0, s4
.LBB109_13:                             ; =>This Inner Loop Header: Depth=1
	global_load_dwordx4 v[6:9], v[4:5], off offset:-8
	s_add_i32 s0, s0, -4
	s_cmp_lg_u32 s0, 0
	s_waitcnt vmcnt(0)
	v_pk_mul_f32 v[6:7], v[2:3], v[6:7]
	v_pk_mul_f32 v[8:9], v[2:3], v[8:9]
	global_store_dwordx4 v[4:5], v[6:9], off offset:-8
	v_add_co_u32_e32 v4, vcc, 16, v4
	v_addc_co_u32_e32 v5, vcc, 0, v5, vcc
	s_cbranch_scc1 .LBB109_13
; %bb.14:
	s_cmp_lg_u32 s4, s8
	s_cselect_b64 s[0:1], -1, 0
	s_branch .LBB109_17
.LBB109_15:
	s_mov_b64 s[0:1], 0
                                        ; implicit-def: $sgpr4
	s_cbranch_execz .LBB109_17
; %bb.16:
	s_mov_b64 s[0:1], -1
	s_mov_b32 s4, 0
.LBB109_17:
	s_andn2_b64 vcc, exec, s[0:1]
	s_cbranch_vccnz .LBB109_20
; %bb.18:
	v_add_co_u32_e32 v0, vcc, s4, v0
	v_addc_co_u32_e32 v1, vcc, 0, v1, vcc
	v_lshlrev_b64 v[0:1], 2, v[0:1]
	v_mov_b32_e32 v3, s13
	v_add_co_u32_e32 v0, vcc, s12, v0
	s_sub_i32 s0, s8, s4
	v_addc_co_u32_e32 v1, vcc, v3, v1, vcc
.LBB109_19:                             ; =>This Inner Loop Header: Depth=1
	global_load_dword v3, v[0:1], off
	s_add_i32 s0, s0, -1
	s_cmp_lg_u32 s0, 0
	s_waitcnt vmcnt(0)
	v_mul_f32_e32 v3, v2, v3
	global_store_dword v[0:1], v3, off
	v_add_co_u32_e32 v0, vcc, 4, v0
	v_addc_co_u32_e32 v1, vcc, 0, v1, vcc
	s_cbranch_scc1 .LBB109_19
.LBB109_20:
	s_endpgm
	.section	.rodata,"a",@progbits
	.p2align	6, 0x0
	.amdhsa_kernel _ZN4vllm3moe17topkGatingSoftmaxIDF16_Li1ELi1ELi8ELi2ELb0ELi1ELNS0_23SharedExpertScoringFuncE1EEEvPKT_PKbPfiPiS9_iiiiii
		.amdhsa_group_segment_fixed_size 0
		.amdhsa_private_segment_fixed_size 0
		.amdhsa_kernarg_size 72
		.amdhsa_user_sgpr_count 6
		.amdhsa_user_sgpr_private_segment_buffer 1
		.amdhsa_user_sgpr_dispatch_ptr 0
		.amdhsa_user_sgpr_queue_ptr 0
		.amdhsa_user_sgpr_kernarg_segment_ptr 1
		.amdhsa_user_sgpr_dispatch_id 0
		.amdhsa_user_sgpr_flat_scratch_init 0
		.amdhsa_user_sgpr_kernarg_preload_length 0
		.amdhsa_user_sgpr_kernarg_preload_offset 0
		.amdhsa_user_sgpr_private_segment_size 0
		.amdhsa_uses_dynamic_stack 0
		.amdhsa_system_sgpr_private_segment_wavefront_offset 0
		.amdhsa_system_sgpr_workgroup_id_x 1
		.amdhsa_system_sgpr_workgroup_id_y 0
		.amdhsa_system_sgpr_workgroup_id_z 0
		.amdhsa_system_sgpr_workgroup_info 0
		.amdhsa_system_vgpr_workitem_id 1
		.amdhsa_next_free_vgpr 18
		.amdhsa_next_free_sgpr 22
		.amdhsa_accum_offset 20
		.amdhsa_reserve_vcc 1
		.amdhsa_reserve_flat_scratch 0
		.amdhsa_float_round_mode_32 0
		.amdhsa_float_round_mode_16_64 0
		.amdhsa_float_denorm_mode_32 3
		.amdhsa_float_denorm_mode_16_64 3
		.amdhsa_dx10_clamp 1
		.amdhsa_ieee_mode 1
		.amdhsa_fp16_overflow 0
		.amdhsa_tg_split 0
		.amdhsa_exception_fp_ieee_invalid_op 0
		.amdhsa_exception_fp_denorm_src 0
		.amdhsa_exception_fp_ieee_div_zero 0
		.amdhsa_exception_fp_ieee_overflow 0
		.amdhsa_exception_fp_ieee_underflow 0
		.amdhsa_exception_fp_ieee_inexact 0
		.amdhsa_exception_int_div_zero 0
	.end_amdhsa_kernel
	.section	.text._ZN4vllm3moe17topkGatingSoftmaxIDF16_Li1ELi1ELi8ELi2ELb0ELi1ELNS0_23SharedExpertScoringFuncE1EEEvPKT_PKbPfiPiS9_iiiiii,"axG",@progbits,_ZN4vllm3moe17topkGatingSoftmaxIDF16_Li1ELi1ELi8ELi2ELb0ELi1ELNS0_23SharedExpertScoringFuncE1EEEvPKT_PKbPfiPiS9_iiiiii,comdat
.Lfunc_end109:
	.size	_ZN4vllm3moe17topkGatingSoftmaxIDF16_Li1ELi1ELi8ELi2ELb0ELi1ELNS0_23SharedExpertScoringFuncE1EEEvPKT_PKbPfiPiS9_iiiiii, .Lfunc_end109-_ZN4vllm3moe17topkGatingSoftmaxIDF16_Li1ELi1ELi8ELi2ELb0ELi1ELNS0_23SharedExpertScoringFuncE1EEEvPKT_PKbPfiPiS9_iiiiii
                                        ; -- End function
	.section	.AMDGPU.csdata,"",@progbits
; Kernel info:
; codeLenInByte = 1428
; NumSgprs: 26
; NumVgprs: 18
; NumAgprs: 0
; TotalNumVgprs: 18
; ScratchSize: 0
; MemoryBound: 0
; FloatMode: 240
; IeeeMode: 1
; LDSByteSize: 0 bytes/workgroup (compile time only)
; SGPRBlocks: 3
; VGPRBlocks: 2
; NumSGPRsForWavesPerEU: 26
; NumVGPRsForWavesPerEU: 18
; AccumOffset: 20
; Occupancy: 8
; WaveLimiterHint : 0
; COMPUTE_PGM_RSRC2:SCRATCH_EN: 0
; COMPUTE_PGM_RSRC2:USER_SGPR: 6
; COMPUTE_PGM_RSRC2:TRAP_HANDLER: 0
; COMPUTE_PGM_RSRC2:TGID_X_EN: 1
; COMPUTE_PGM_RSRC2:TGID_Y_EN: 0
; COMPUTE_PGM_RSRC2:TGID_Z_EN: 0
; COMPUTE_PGM_RSRC2:TIDIG_COMP_CNT: 1
; COMPUTE_PGM_RSRC3_GFX90A:ACCUM_OFFSET: 4
; COMPUTE_PGM_RSRC3_GFX90A:TG_SPLIT: 0
	.section	.text._ZN4vllm3moe17topkGatingSoftmaxIDF16_Li1ELi1ELi8ELi2ELb1ELi2ELNS0_23SharedExpertScoringFuncE1EEEvPKT_PKbPfiPiS9_iiiiii,"axG",@progbits,_ZN4vllm3moe17topkGatingSoftmaxIDF16_Li1ELi1ELi8ELi2ELb1ELi2ELNS0_23SharedExpertScoringFuncE1EEEvPKT_PKbPfiPiS9_iiiiii,comdat
	.protected	_ZN4vllm3moe17topkGatingSoftmaxIDF16_Li1ELi1ELi8ELi2ELb1ELi2ELNS0_23SharedExpertScoringFuncE1EEEvPKT_PKbPfiPiS9_iiiiii ; -- Begin function _ZN4vllm3moe17topkGatingSoftmaxIDF16_Li1ELi1ELi8ELi2ELb1ELi2ELNS0_23SharedExpertScoringFuncE1EEEvPKT_PKbPfiPiS9_iiiiii
	.globl	_ZN4vllm3moe17topkGatingSoftmaxIDF16_Li1ELi1ELi8ELi2ELb1ELi2ELNS0_23SharedExpertScoringFuncE1EEEvPKT_PKbPfiPiS9_iiiiii
	.p2align	8
	.type	_ZN4vllm3moe17topkGatingSoftmaxIDF16_Li1ELi1ELi8ELi2ELb1ELi2ELNS0_23SharedExpertScoringFuncE1EEEvPKT_PKbPfiPiS9_iiiiii,@function
_ZN4vllm3moe17topkGatingSoftmaxIDF16_Li1ELi1ELi8ELi2ELb1ELi2ELNS0_23SharedExpertScoringFuncE1EEEvPKT_PKbPfiPiS9_iiiiii: ; @_ZN4vllm3moe17topkGatingSoftmaxIDF16_Li1ELi1ELi8ELi2ELb1ELi2ELNS0_23SharedExpertScoringFuncE1EEEvPKT_PKbPfiPiS9_iiiiii
; %bb.0:
	s_load_dword s18, s[4:5], 0x18
	v_bfe_u32 v1, v0, 10, 10
	s_lshl_b32 s19, s6, 9
	v_lshlrev_b32_e32 v10, 6, v1
	v_and_b32_e32 v11, 0x3ff, v0
	v_add3_u32 v13, v10, v11, s19
	s_waitcnt lgkmcnt(0)
	v_cmp_gt_i32_e32 vcc, s18, v13
	s_and_saveexec_b64 s[0:1], vcc
	s_cbranch_execz .LBB110_19
; %bb.1:
	s_load_dwordx4 s[0:3], s[4:5], 0x0
	s_load_dwordx2 s[12:13], s[4:5], 0x10
	s_waitcnt lgkmcnt(0)
	s_cmp_eq_u64 s[2:3], 0
	s_cbranch_scc1 .LBB110_3
; %bb.2:
	v_ashrrev_i32_e32 v1, 31, v13
	v_mov_b32_e32 v2, s3
	v_add_co_u32_e32 v0, vcc, s2, v13
	v_addc_co_u32_e32 v1, vcc, v2, v1, vcc
	global_load_ubyte v0, v[0:1], off
	s_waitcnt vmcnt(0)
	v_and_b32_e32 v0, 1, v0
	v_cmp_eq_u32_e32 vcc, 1, v0
	s_xor_b64 s[2:3], vcc, -1
	s_orn2_b64 s[14:15], s[2:3], exec
	s_branch .LBB110_4
.LBB110_3:
	s_mov_b64 s[14:15], -1
.LBB110_4:
	s_load_dwordx2 s[16:17], s[4:5], 0x40
	s_load_dwordx4 s[8:11], s[4:5], 0x30
	v_mov_b32_e32 v2, s1
	v_mov_b32_e32 v6, s13
	s_mov_b32 s20, 0xc2ce8ed0
	s_waitcnt lgkmcnt(0)
	v_mul_lo_u32 v0, v13, s17
	v_ashrrev_i32_e32 v1, 31, v0
	v_lshlrev_b64 v[0:1], 1, v[0:1]
	v_add_co_u32_e32 v0, vcc, s0, v0
	v_addc_co_u32_e32 v1, vcc, v2, v1, vcc
	global_load_ushort v3, v[0:1], off offset:4
	global_load_dword v2, v[0:1], off
	s_mov_b32 s17, 0x3fb8aa3b
	s_mov_b32 s0, 0x32a5705f
	v_mul_lo_u32 v0, v13, s11
	v_add_u32_e32 v4, s8, v0
	v_ashrrev_i32_e32 v5, 31, v4
	v_lshlrev_b64 v[4:5], 2, v[4:5]
	v_add_co_u32_e32 v4, vcc, s12, v4
	v_addc_co_u32_e32 v5, vcc, v6, v5, vcc
	s_mov_b32 s21, 0x42b17218
	v_mov_b32_e32 v1, 0x7f800000
	s_cmp_gt_i32 s8, 0
	v_mov_b32_e32 v12, 0
	s_cselect_b64 s[2:3], -1, 0
	s_cmp_lt_i32 s8, 1
	s_waitcnt vmcnt(1)
	v_cvt_f32_f16_e64 v7, -v3
	s_waitcnt vmcnt(0)
	v_cvt_f32_f16_sdwa v8, -v2 dst_sel:DWORD dst_unused:UNUSED_PAD src0_sel:WORD_1
	v_mul_f32_e32 v9, 0x3fb8aa3b, v7
	v_mul_f32_e32 v14, 0x3fb8aa3b, v8
	v_fma_mix_f32 v15, -v3, s17, -v9 op_sel_hi:[1,0,0]
	v_rndne_f32_e32 v16, v9
	v_fma_mix_f32 v17, -v2, s17, -v14 op_sel:[1,0,0] op_sel_hi:[1,0,0]
	v_rndne_f32_e32 v18, v14
	v_fma_mix_f32 v3, -v3, s0, v15 op_sel_hi:[1,0,0]
	v_sub_f32_e32 v9, v9, v16
	v_cvt_i32_f32_e32 v15, v16
	v_fma_mix_f32 v16, -v2, s0, v17 op_sel:[1,0,0] op_sel_hi:[1,0,0]
	v_sub_f32_e32 v14, v14, v18
	v_add_f32_e32 v3, v9, v3
	v_add_f32_e32 v9, v14, v16
	v_exp_f32_e32 v3, v3
	v_cvt_i32_f32_e32 v17, v18
	v_exp_f32_e32 v9, v9
	v_cmp_ngt_f32_e32 vcc, s20, v7
	v_ldexp_f32 v3, v3, v15
	v_cndmask_b32_e32 v3, 0, v3, vcc
	v_ldexp_f32 v6, v9, v17
	v_cmp_ngt_f32_e32 vcc, s20, v8
	v_cndmask_b32_e32 v6, 0, v6, vcc
	v_cmp_nlt_f32_e32 vcc, s21, v7
	v_cndmask_b32_e32 v7, v1, v3, vcc
	v_cmp_nlt_f32_e32 vcc, s21, v8
	v_cndmask_b32_e32 v6, v1, v6, vcc
	v_pk_add_f32 v[6:7], v[6:7], 1.0 op_sel_hi:[1,0]
	v_div_scale_f32 v3, s[0:1], v7, v7, 1.0
	v_div_scale_f32 v9, s[0:1], v6, v6, 1.0
	v_rcp_f32_e32 v14, v3
	v_rcp_f32_e32 v15, v9
	v_div_scale_f32 v8, vcc, 1.0, v7, 1.0
	v_fma_f32 v17, -v3, v14, 1.0
	v_fma_f32 v18, -v9, v15, 1.0
	v_fmac_f32_e32 v14, v17, v14
	v_div_scale_f32 v16, s[0:1], 1.0, v6, 1.0
	v_fmac_f32_e32 v15, v18, v15
	v_mul_f32_e32 v17, v8, v14
	v_mul_f32_e32 v18, v16, v15
	v_fma_f32 v19, -v3, v17, v8
	v_fma_f32 v20, -v9, v18, v16
	v_fmac_f32_e32 v17, v19, v14
	v_fmac_f32_e32 v18, v20, v15
	v_fma_f32 v3, -v3, v17, v8
	v_fma_f32 v8, -v9, v18, v16
	v_div_fmas_f32 v3, v3, v14, v17
	s_mov_b64 vcc, s[0:1]
	v_div_fixup_f32 v7, v3, v7, 1.0
	v_div_fmas_f32 v3, v8, v15, v18
	v_div_fixup_f32 v6, v3, v6, 1.0
	global_store_dwordx2 v[4:5], v[6:7], off
	s_cbranch_scc1 .LBB110_8
; %bb.5:
	v_cvt_f32_f16_e32 v14, v2
	s_cmp_lt_i32 s9, 1
	s_load_dwordx4 s[4:7], s[4:5], 0x20
	s_cselect_b64 s[0:1], -1, 0
	v_sub_f32_e32 v2, v14, v14
	v_mul_f32_e32 v3, 0x3fb8aa3b, v2
	v_rndne_f32_e32 v4, v3
	v_sub_f32_e32 v5, v3, v4
	v_fma_f32 v3, v2, s17, -v3
	v_fmac_f32_e32 v3, 0x32a5705f, v2
	v_add_f32_e32 v3, v5, v3
	v_exp_f32_e32 v3, v3
	v_cvt_i32_f32_e32 v4, v4
	v_cmp_ngt_f32_e32 vcc, s20, v2
	s_cmp_gt_i32 s10, 0
	s_cselect_b64 s[10:11], -1, 0
	v_ldexp_f32 v3, v3, v4
	v_cndmask_b32_e32 v3, 0, v3, vcc
	v_cmp_nlt_f32_e32 vcc, s21, v2
	v_cndmask_b32_e32 v12, v1, v3, vcc
	v_ashrrev_i32_e32 v1, 31, v0
	v_lshlrev_b64 v[2:3], 2, v[0:1]
	v_mov_b32_e32 v1, s13
	v_add_co_u32_e32 v4, vcc, s12, v2
	v_mul_lo_u32 v6, v13, s16
	s_and_b64 s[10:11], s[0:1], s[10:11]
	v_addc_co_u32_e64 v5, s[0:1], v1, v3, vcc
	s_sub_i32 s0, 0, s9
	v_ashrrev_i32_e32 v7, 31, v6
	v_mov_b32_e32 v1, s0
	s_and_b64 s[0:1], s[14:15], s[10:11]
	v_lshlrev_b64 v[8:9], 2, v[6:7]
	v_mul_lo_u32 v16, v13, s8
	v_cndmask_b32_e64 v1, 1, v1, s[0:1]
	s_waitcnt lgkmcnt(0)
	v_mov_b32_e32 v2, s5
	v_add_co_u32_e64 v6, s[0:1], s4, v8
	v_addc_co_u32_e64 v7, s[0:1], v2, v9, s[0:1]
	v_ashrrev_i32_e32 v17, 31, v16
	global_store_dword v[6:7], v1, off
	v_lshlrev_b64 v[6:7], 2, v[16:17]
	v_mov_b32_e32 v2, s7
	v_add_co_u32_e64 v16, s[0:1], s6, v6
	v_addc_co_u32_e64 v17, s[0:1], v2, v7, s[0:1]
	s_cmp_eq_u32 s8, 1
	global_store_dword v[4:5], v12, off
	global_store_dword v[16:17], v13, off
	s_cbranch_scc1 .LBB110_8
; %bb.6:
	v_sub_f32_e32 v2, 0xff800000, v14
	s_mov_b32 s0, 0x3fb8aa3b
	v_mul_f32_e32 v5, 0x3fb8aa3b, v2
	v_fma_f32 v13, v2, s0, -v5
	v_rndne_f32_e32 v14, v5
	v_fmac_f32_e32 v13, 0x32a5705f, v2
	v_sub_f32_e32 v5, v5, v14
	v_add_f32_e32 v5, v5, v13
	v_exp_f32_e32 v5, v5
	v_cvt_i32_f32_e32 v13, v14
	s_mov_b32 s0, 0xc2ce8ed0
	v_cmp_ngt_f32_e64 s[0:1], s0, v2
	s_add_i32 s19, s19, s18
	v_ldexp_f32 v5, v5, v13
	v_cndmask_b32_e64 v5, 0, v5, s[0:1]
	s_mov_b32 s0, 0x42b17218
	v_mov_b32_e32 v13, 0x7f800000
	v_cmp_nlt_f32_e64 s[0:1], s0, v2
	v_cndmask_b32_e64 v5, v13, v5, s[0:1]
	v_mov_b32_e32 v2, s7
	v_add_co_u32_e64 v6, s[0:1], s6, v6
	v_addc_co_u32_e64 v2, s[0:1], v7, v2, s[0:1]
	v_add_co_u32_e64 v6, s[0:1], 4, v6
	v_addc_co_u32_e64 v7, s[0:1], 0, v2, s[0:1]
	v_mov_b32_e32 v2, s5
	v_add_co_u32_e64 v8, s[0:1], s4, v8
	v_addc_co_u32_e64 v2, s[0:1], v9, v2, s[0:1]
	v_add_co_u32_e64 v8, s[0:1], 4, v8
	v_addc_co_u32_e64 v9, s[0:1], 0, v2, s[0:1]
	v_mov_b32_e32 v2, s13
	v_addc_co_u32_e32 v3, vcc, v3, v2, vcc
	v_add_co_u32_e32 v2, vcc, 4, v4
	v_addc_co_u32_e32 v3, vcc, 0, v3, vcc
	s_add_i32 s0, s8, -1
	v_add3_u32 v4, s19, v11, v10
.LBB110_7:                              ; =>This Inner Loop Header: Depth=1
	global_store_dword v[2:3], v5, off
	global_store_dword v[8:9], v1, off
	;; [unrolled: 1-line block ×3, first 2 shown]
	v_add_co_u32_e32 v6, vcc, 4, v6
	v_addc_co_u32_e32 v7, vcc, 0, v7, vcc
	v_add_co_u32_e32 v8, vcc, 4, v8
	v_addc_co_u32_e32 v9, vcc, 0, v9, vcc
	v_add_co_u32_e32 v2, vcc, 4, v2
	s_add_i32 s0, s0, -1
	v_add_f32_e32 v12, v12, v5
	v_addc_co_u32_e32 v3, vcc, 0, v3, vcc
	s_cmp_eq_u32 s0, 0
	v_add_u32_e32 v4, s18, v4
	s_cbranch_scc0 .LBB110_7
.LBB110_8:
	v_cmp_neq_f32_e32 vcc, 0, v12
	s_and_b64 exec, exec, vcc
	s_cbranch_execz .LBB110_19
; %bb.9:
	s_andn2_b64 vcc, exec, s[2:3]
	s_cbranch_vccnz .LBB110_19
; %bb.10:
	v_div_scale_f32 v1, s[0:1], v12, v12, 1.0
	v_rcp_f32_e32 v2, v1
	v_div_scale_f32 v3, vcc, 1.0, v12, 1.0
	s_cmp_gt_u32 s8, 3
	v_fma_f32 v4, -v1, v2, 1.0
	v_fmac_f32_e32 v2, v4, v2
	v_mul_f32_e32 v4, v3, v2
	v_fma_f32 v5, -v1, v4, v3
	v_fmac_f32_e32 v4, v5, v2
	v_fma_f32 v1, -v1, v4, v3
	v_div_fmas_f32 v1, v1, v2, v4
	v_div_fixup_f32 v2, v1, v12, 1.0
	v_ashrrev_i32_e32 v1, 31, v0
	s_cbranch_scc0 .LBB110_14
; %bb.11:
	v_lshlrev_b64 v[4:5], 2, v[0:1]
	v_mov_b32_e32 v6, s13
	v_add_co_u32_e32 v4, vcc, s12, v4
	v_addc_co_u32_e32 v5, vcc, v5, v6, vcc
	s_and_b32 s4, s8, 0x7ffffffc
	v_add_co_u32_e32 v4, vcc, 8, v4
	v_mov_b32_e32 v3, v2
	v_addc_co_u32_e32 v5, vcc, 0, v5, vcc
	s_mov_b32 s0, s4
.LBB110_12:                             ; =>This Inner Loop Header: Depth=1
	global_load_dwordx4 v[6:9], v[4:5], off offset:-8
	s_add_i32 s0, s0, -4
	s_cmp_lg_u32 s0, 0
	s_waitcnt vmcnt(0)
	v_pk_mul_f32 v[6:7], v[2:3], v[6:7]
	v_pk_mul_f32 v[8:9], v[2:3], v[8:9]
	global_store_dwordx4 v[4:5], v[6:9], off offset:-8
	v_add_co_u32_e32 v4, vcc, 16, v4
	v_addc_co_u32_e32 v5, vcc, 0, v5, vcc
	s_cbranch_scc1 .LBB110_12
; %bb.13:
	s_cmp_lg_u32 s4, s8
	s_cselect_b64 s[0:1], -1, 0
	s_branch .LBB110_16
.LBB110_14:
	s_mov_b64 s[0:1], 0
                                        ; implicit-def: $sgpr4
	s_cbranch_execz .LBB110_16
; %bb.15:
	s_mov_b64 s[0:1], -1
	s_mov_b32 s4, 0
.LBB110_16:
	s_andn2_b64 vcc, exec, s[0:1]
	s_cbranch_vccnz .LBB110_19
; %bb.17:
	v_add_co_u32_e32 v0, vcc, s4, v0
	v_addc_co_u32_e32 v1, vcc, 0, v1, vcc
	v_lshlrev_b64 v[0:1], 2, v[0:1]
	v_mov_b32_e32 v3, s13
	v_add_co_u32_e32 v0, vcc, s12, v0
	s_sub_i32 s0, s8, s4
	v_addc_co_u32_e32 v1, vcc, v3, v1, vcc
.LBB110_18:                             ; =>This Inner Loop Header: Depth=1
	global_load_dword v3, v[0:1], off
	s_add_i32 s0, s0, -1
	s_cmp_lg_u32 s0, 0
	s_waitcnt vmcnt(0)
	v_mul_f32_e32 v3, v2, v3
	global_store_dword v[0:1], v3, off
	v_add_co_u32_e32 v0, vcc, 4, v0
	v_addc_co_u32_e32 v1, vcc, 0, v1, vcc
	s_cbranch_scc1 .LBB110_18
.LBB110_19:
	s_endpgm
	.section	.rodata,"a",@progbits
	.p2align	6, 0x0
	.amdhsa_kernel _ZN4vllm3moe17topkGatingSoftmaxIDF16_Li1ELi1ELi8ELi2ELb1ELi2ELNS0_23SharedExpertScoringFuncE1EEEvPKT_PKbPfiPiS9_iiiiii
		.amdhsa_group_segment_fixed_size 0
		.amdhsa_private_segment_fixed_size 0
		.amdhsa_kernarg_size 72
		.amdhsa_user_sgpr_count 6
		.amdhsa_user_sgpr_private_segment_buffer 1
		.amdhsa_user_sgpr_dispatch_ptr 0
		.amdhsa_user_sgpr_queue_ptr 0
		.amdhsa_user_sgpr_kernarg_segment_ptr 1
		.amdhsa_user_sgpr_dispatch_id 0
		.amdhsa_user_sgpr_flat_scratch_init 0
		.amdhsa_user_sgpr_kernarg_preload_length 0
		.amdhsa_user_sgpr_kernarg_preload_offset 0
		.amdhsa_user_sgpr_private_segment_size 0
		.amdhsa_uses_dynamic_stack 0
		.amdhsa_system_sgpr_private_segment_wavefront_offset 0
		.amdhsa_system_sgpr_workgroup_id_x 1
		.amdhsa_system_sgpr_workgroup_id_y 0
		.amdhsa_system_sgpr_workgroup_id_z 0
		.amdhsa_system_sgpr_workgroup_info 0
		.amdhsa_system_vgpr_workitem_id 1
		.amdhsa_next_free_vgpr 21
		.amdhsa_next_free_sgpr 22
		.amdhsa_accum_offset 24
		.amdhsa_reserve_vcc 1
		.amdhsa_reserve_flat_scratch 0
		.amdhsa_float_round_mode_32 0
		.amdhsa_float_round_mode_16_64 0
		.amdhsa_float_denorm_mode_32 3
		.amdhsa_float_denorm_mode_16_64 3
		.amdhsa_dx10_clamp 1
		.amdhsa_ieee_mode 1
		.amdhsa_fp16_overflow 0
		.amdhsa_tg_split 0
		.amdhsa_exception_fp_ieee_invalid_op 0
		.amdhsa_exception_fp_denorm_src 0
		.amdhsa_exception_fp_ieee_div_zero 0
		.amdhsa_exception_fp_ieee_overflow 0
		.amdhsa_exception_fp_ieee_underflow 0
		.amdhsa_exception_fp_ieee_inexact 0
		.amdhsa_exception_int_div_zero 0
	.end_amdhsa_kernel
	.section	.text._ZN4vllm3moe17topkGatingSoftmaxIDF16_Li1ELi1ELi8ELi2ELb1ELi2ELNS0_23SharedExpertScoringFuncE1EEEvPKT_PKbPfiPiS9_iiiiii,"axG",@progbits,_ZN4vllm3moe17topkGatingSoftmaxIDF16_Li1ELi1ELi8ELi2ELb1ELi2ELNS0_23SharedExpertScoringFuncE1EEEvPKT_PKbPfiPiS9_iiiiii,comdat
.Lfunc_end110:
	.size	_ZN4vllm3moe17topkGatingSoftmaxIDF16_Li1ELi1ELi8ELi2ELb1ELi2ELNS0_23SharedExpertScoringFuncE1EEEvPKT_PKbPfiPiS9_iiiiii, .Lfunc_end110-_ZN4vllm3moe17topkGatingSoftmaxIDF16_Li1ELi1ELi8ELi2ELb1ELi2ELNS0_23SharedExpertScoringFuncE1EEEvPKT_PKbPfiPiS9_iiiiii
                                        ; -- End function
	.section	.AMDGPU.csdata,"",@progbits
; Kernel info:
; codeLenInByte = 1508
; NumSgprs: 26
; NumVgprs: 21
; NumAgprs: 0
; TotalNumVgprs: 21
; ScratchSize: 0
; MemoryBound: 0
; FloatMode: 240
; IeeeMode: 1
; LDSByteSize: 0 bytes/workgroup (compile time only)
; SGPRBlocks: 3
; VGPRBlocks: 2
; NumSGPRsForWavesPerEU: 26
; NumVGPRsForWavesPerEU: 21
; AccumOffset: 24
; Occupancy: 8
; WaveLimiterHint : 0
; COMPUTE_PGM_RSRC2:SCRATCH_EN: 0
; COMPUTE_PGM_RSRC2:USER_SGPR: 6
; COMPUTE_PGM_RSRC2:TRAP_HANDLER: 0
; COMPUTE_PGM_RSRC2:TGID_X_EN: 1
; COMPUTE_PGM_RSRC2:TGID_Y_EN: 0
; COMPUTE_PGM_RSRC2:TGID_Z_EN: 0
; COMPUTE_PGM_RSRC2:TIDIG_COMP_CNT: 1
; COMPUTE_PGM_RSRC3_GFX90A:ACCUM_OFFSET: 5
; COMPUTE_PGM_RSRC3_GFX90A:TG_SPLIT: 0
	.section	.text._ZN4vllm3moe17topkGatingSoftmaxIDF16_Li1ELi1ELi8ELi2ELb0ELi2ELNS0_23SharedExpertScoringFuncE1EEEvPKT_PKbPfiPiS9_iiiiii,"axG",@progbits,_ZN4vllm3moe17topkGatingSoftmaxIDF16_Li1ELi1ELi8ELi2ELb0ELi2ELNS0_23SharedExpertScoringFuncE1EEEvPKT_PKbPfiPiS9_iiiiii,comdat
	.protected	_ZN4vllm3moe17topkGatingSoftmaxIDF16_Li1ELi1ELi8ELi2ELb0ELi2ELNS0_23SharedExpertScoringFuncE1EEEvPKT_PKbPfiPiS9_iiiiii ; -- Begin function _ZN4vllm3moe17topkGatingSoftmaxIDF16_Li1ELi1ELi8ELi2ELb0ELi2ELNS0_23SharedExpertScoringFuncE1EEEvPKT_PKbPfiPiS9_iiiiii
	.globl	_ZN4vllm3moe17topkGatingSoftmaxIDF16_Li1ELi1ELi8ELi2ELb0ELi2ELNS0_23SharedExpertScoringFuncE1EEEvPKT_PKbPfiPiS9_iiiiii
	.p2align	8
	.type	_ZN4vllm3moe17topkGatingSoftmaxIDF16_Li1ELi1ELi8ELi2ELb0ELi2ELNS0_23SharedExpertScoringFuncE1EEEvPKT_PKbPfiPiS9_iiiiii,@function
_ZN4vllm3moe17topkGatingSoftmaxIDF16_Li1ELi1ELi8ELi2ELb0ELi2ELNS0_23SharedExpertScoringFuncE1EEEvPKT_PKbPfiPiS9_iiiiii: ; @_ZN4vllm3moe17topkGatingSoftmaxIDF16_Li1ELi1ELi8ELi2ELb0ELi2ELNS0_23SharedExpertScoringFuncE1EEEvPKT_PKbPfiPiS9_iiiiii
; %bb.0:
	s_load_dword s18, s[4:5], 0x18
	v_bfe_u32 v1, v0, 10, 10
	s_lshl_b32 s19, s6, 9
	v_lshlrev_b32_e32 v10, 6, v1
	v_and_b32_e32 v11, 0x3ff, v0
	v_add3_u32 v14, v10, v11, s19
	s_waitcnt lgkmcnt(0)
	v_cmp_gt_i32_e32 vcc, s18, v14
	s_and_saveexec_b64 s[0:1], vcc
	s_cbranch_execz .LBB111_20
; %bb.1:
	s_load_dwordx4 s[0:3], s[4:5], 0x0
	s_load_dwordx2 s[12:13], s[4:5], 0x10
	s_waitcnt lgkmcnt(0)
	s_cmp_eq_u64 s[2:3], 0
	s_cbranch_scc1 .LBB111_3
; %bb.2:
	v_ashrrev_i32_e32 v1, 31, v14
	v_mov_b32_e32 v2, s3
	v_add_co_u32_e32 v0, vcc, s2, v14
	v_addc_co_u32_e32 v1, vcc, v2, v1, vcc
	global_load_ubyte v0, v[0:1], off
	s_waitcnt vmcnt(0)
	v_and_b32_e32 v0, 1, v0
	v_cmp_eq_u32_e32 vcc, 1, v0
	s_xor_b64 s[2:3], vcc, -1
	s_orn2_b64 s[14:15], s[2:3], exec
	s_branch .LBB111_4
.LBB111_3:
	s_mov_b64 s[14:15], -1
.LBB111_4:
	s_load_dwordx2 s[16:17], s[4:5], 0x40
	s_load_dwordx4 s[8:11], s[4:5], 0x30
	v_mov_b32_e32 v2, s1
	s_mov_b32 s20, 0xc2ce8ed0
	s_mov_b32 s21, 0x42b17218
	s_waitcnt lgkmcnt(0)
	v_mul_lo_u32 v0, v14, s17
	v_ashrrev_i32_e32 v1, 31, v0
	v_lshlrev_b64 v[0:1], 1, v[0:1]
	v_add_co_u32_e32 v0, vcc, s0, v0
	v_addc_co_u32_e32 v1, vcc, v2, v1, vcc
	global_load_ushort v4, v[0:1], off offset:4
	global_load_dword v5, v[0:1], off
	s_mov_b32 s17, 0x3fb8aa3b
	s_mov_b32 s0, 0x32a5705f
	v_mul_lo_u32 v0, v14, s11
	v_add_u32_e32 v2, s8, v0
	v_ashrrev_i32_e32 v3, 31, v2
	v_lshlrev_b64 v[2:3], 2, v[2:3]
	v_mov_b32_e32 v1, s13
	v_add_co_u32_e32 v2, vcc, s12, v2
	v_addc_co_u32_e32 v3, vcc, v1, v3, vcc
	v_mov_b32_e32 v12, 0x7f800000
	s_cmp_gt_i32 s8, 0
	v_mov_b32_e32 v13, 0
	s_cselect_b64 s[2:3], -1, 0
	s_cmp_lt_i32 s8, 1
	s_waitcnt vmcnt(1)
	v_cvt_f32_f16_e64 v6, -v4
	s_waitcnt vmcnt(0)
	v_cvt_f32_f16_sdwa v7, -v5 dst_sel:DWORD dst_unused:UNUSED_PAD src0_sel:WORD_1
	v_mul_f32_e32 v8, 0x3fb8aa3b, v6
	v_mul_f32_e32 v9, 0x3fb8aa3b, v7
	v_fma_mix_f32 v15, -v4, s17, -v8 op_sel_hi:[1,0,0]
	v_rndne_f32_e32 v16, v8
	v_fma_mix_f32 v17, -v5, s17, -v9 op_sel:[1,0,0] op_sel_hi:[1,0,0]
	v_rndne_f32_e32 v18, v9
	v_fma_mix_f32 v4, -v4, s0, v15 op_sel_hi:[1,0,0]
	v_sub_f32_e32 v8, v8, v16
	v_fma_mix_f32 v15, -v5, s0, v17 op_sel:[1,0,0] op_sel_hi:[1,0,0]
	v_sub_f32_e32 v9, v9, v18
	v_add_f32_e32 v4, v8, v4
	v_cvt_i32_f32_e32 v16, v16
	v_add_f32_e32 v8, v9, v15
	v_exp_f32_e32 v4, v4
	v_cvt_i32_f32_e32 v17, v18
	v_exp_f32_e32 v8, v8
	v_cmp_ngt_f32_e32 vcc, s20, v6
	v_ldexp_f32 v1, v4, v16
	v_cndmask_b32_e32 v1, 0, v1, vcc
	v_ldexp_f32 v4, v8, v17
	v_cmp_ngt_f32_e32 vcc, s20, v7
	v_cndmask_b32_e32 v4, 0, v4, vcc
	v_cmp_nlt_f32_e32 vcc, s21, v6
	v_cvt_f32_f16_e32 v15, v5
	v_cndmask_b32_e32 v5, v12, v1, vcc
	v_cmp_nlt_f32_e32 vcc, s21, v7
	v_cndmask_b32_e32 v4, v12, v4, vcc
	v_pk_add_f32 v[4:5], v[4:5], 1.0 op_sel_hi:[1,0]
	v_div_scale_f32 v1, s[0:1], v5, v5, 1.0
	v_div_scale_f32 v7, s[0:1], v4, v4, 1.0
	v_rcp_f32_e32 v8, v1
	v_rcp_f32_e32 v9, v7
	v_div_scale_f32 v6, vcc, 1.0, v5, 1.0
	v_fma_f32 v17, -v1, v8, 1.0
	v_fma_f32 v18, -v7, v9, 1.0
	v_fmac_f32_e32 v8, v17, v8
	v_div_scale_f32 v16, s[0:1], 1.0, v4, 1.0
	v_fmac_f32_e32 v9, v18, v9
	v_mul_f32_e32 v17, v6, v8
	v_mul_f32_e32 v18, v16, v9
	v_fma_f32 v19, -v1, v17, v6
	v_fma_f32 v20, -v7, v18, v16
	v_fmac_f32_e32 v17, v19, v8
	v_fmac_f32_e32 v18, v20, v9
	v_fma_f32 v1, -v1, v17, v6
	v_fma_f32 v6, -v7, v18, v16
	v_div_fmas_f32 v1, v1, v8, v17
	s_mov_b64 vcc, s[0:1]
	v_div_fixup_f32 v5, v1, v5, 1.0
	v_div_fmas_f32 v1, v6, v9, v18
	v_div_fixup_f32 v4, v1, v4, 1.0
	v_mov_b32_e32 v1, v15
	global_store_dwordx2 v[2:3], v[4:5], off
	s_cbranch_scc1 .LBB111_9
; %bb.5:
	v_sub_f32_e32 v1, v15, v15
	v_mul_f32_e32 v2, 0x3fb8aa3b, v1
	v_rndne_f32_e32 v3, v2
	v_sub_f32_e32 v4, v2, v3
	v_fma_f32 v2, v1, s17, -v2
	v_fmac_f32_e32 v2, 0x32a5705f, v1
	v_add_f32_e32 v2, v4, v2
	v_exp_f32_e32 v2, v2
	v_cvt_i32_f32_e32 v3, v3
	v_cmp_ngt_f32_e32 vcc, s20, v1
	s_cmp_lt_i32 s9, 1
	s_load_dwordx4 s[4:7], s[4:5], 0x20
	v_ldexp_f32 v2, v2, v3
	v_cndmask_b32_e32 v2, 0, v2, vcc
	v_cmp_nlt_f32_e32 vcc, s21, v1
	v_ashrrev_i32_e32 v1, 31, v0
	s_cselect_b64 s[0:1], -1, 0
	s_cmp_gt_i32 s10, 0
	v_cndmask_b32_e32 v13, v12, v2, vcc
	v_lshlrev_b64 v[2:3], 2, v[0:1]
	s_cselect_b64 s[10:11], -1, 0
	v_mov_b32_e32 v1, s13
	v_add_co_u32_e32 v4, vcc, s12, v2
	v_mul_lo_u32 v6, v14, s16
	s_and_b64 s[10:11], s[0:1], s[10:11]
	v_addc_co_u32_e64 v5, s[0:1], v1, v3, vcc
	s_sub_i32 s0, 0, s9
	v_ashrrev_i32_e32 v7, 31, v6
	v_mov_b32_e32 v1, s0
	s_and_b64 s[0:1], s[14:15], s[10:11]
	v_lshlrev_b64 v[8:9], 2, v[6:7]
	v_mul_lo_u32 v16, v14, s8
	v_cndmask_b32_e64 v1, 1, v1, s[0:1]
	s_waitcnt lgkmcnt(0)
	v_mov_b32_e32 v2, s5
	v_add_co_u32_e64 v6, s[0:1], s4, v8
	v_addc_co_u32_e64 v7, s[0:1], v2, v9, s[0:1]
	v_ashrrev_i32_e32 v17, 31, v16
	global_store_dword v[6:7], v1, off
	v_lshlrev_b64 v[6:7], 2, v[16:17]
	v_mov_b32_e32 v2, s7
	v_add_co_u32_e64 v16, s[0:1], s6, v6
	v_addc_co_u32_e64 v17, s[0:1], v2, v7, s[0:1]
	s_cmp_eq_u32 s8, 1
	global_store_dword v[4:5], v13, off
	global_store_dword v[16:17], v14, off
	s_cbranch_scc1 .LBB111_8
; %bb.6:
	v_sub_f32_e32 v2, 0xff800000, v15
	s_mov_b32 s0, 0x3fb8aa3b
	v_mul_f32_e32 v5, 0x3fb8aa3b, v2
	v_fma_f32 v14, v2, s0, -v5
	v_rndne_f32_e32 v16, v5
	v_fmac_f32_e32 v14, 0x32a5705f, v2
	v_sub_f32_e32 v5, v5, v16
	v_add_f32_e32 v5, v5, v14
	v_exp_f32_e32 v5, v5
	v_cvt_i32_f32_e32 v14, v16
	s_mov_b32 s0, 0xc2ce8ed0
	v_cmp_ngt_f32_e64 s[0:1], s0, v2
	s_add_i32 s19, s19, s18
	v_ldexp_f32 v5, v5, v14
	v_cndmask_b32_e64 v5, 0, v5, s[0:1]
	s_mov_b32 s0, 0x42b17218
	v_mov_b32_e32 v14, 0x7f800000
	v_cmp_nlt_f32_e64 s[0:1], s0, v2
	v_cndmask_b32_e64 v5, v14, v5, s[0:1]
	v_mov_b32_e32 v2, s7
	v_add_co_u32_e64 v6, s[0:1], s6, v6
	v_addc_co_u32_e64 v2, s[0:1], v7, v2, s[0:1]
	v_add_co_u32_e64 v6, s[0:1], 4, v6
	v_addc_co_u32_e64 v7, s[0:1], 0, v2, s[0:1]
	v_mov_b32_e32 v2, s5
	v_add_co_u32_e64 v8, s[0:1], s4, v8
	v_addc_co_u32_e64 v2, s[0:1], v9, v2, s[0:1]
	v_add_co_u32_e64 v8, s[0:1], 4, v8
	v_addc_co_u32_e64 v9, s[0:1], 0, v2, s[0:1]
	v_mov_b32_e32 v2, s13
	v_addc_co_u32_e32 v3, vcc, v3, v2, vcc
	v_add_co_u32_e32 v2, vcc, 4, v4
	v_addc_co_u32_e32 v3, vcc, 0, v3, vcc
	s_add_i32 s0, s8, -1
	v_add3_u32 v4, s19, v11, v10
.LBB111_7:                              ; =>This Inner Loop Header: Depth=1
	global_store_dword v[2:3], v5, off
	global_store_dword v[8:9], v1, off
	;; [unrolled: 1-line block ×3, first 2 shown]
	v_add_co_u32_e32 v6, vcc, 4, v6
	v_addc_co_u32_e32 v7, vcc, 0, v7, vcc
	v_add_co_u32_e32 v8, vcc, 4, v8
	v_addc_co_u32_e32 v9, vcc, 0, v9, vcc
	v_add_co_u32_e32 v2, vcc, 4, v2
	s_add_i32 s0, s0, -1
	v_add_f32_e32 v13, v13, v5
	v_addc_co_u32_e32 v3, vcc, 0, v3, vcc
	s_cmp_eq_u32 s0, 0
	v_add_u32_e32 v4, s18, v4
	s_cbranch_scc0 .LBB111_7
.LBB111_8:
	v_mov_b32_e32 v1, 0xff800000
.LBB111_9:
	v_sub_f32_e32 v1, v1, v15
	v_mul_f32_e32 v2, 0x3fb8aa3b, v1
	v_fma_f32 v3, v1, s17, -v2
	v_rndne_f32_e32 v4, v2
	v_fmac_f32_e32 v3, 0x32a5705f, v1
	v_sub_f32_e32 v2, v2, v4
	v_add_f32_e32 v2, v2, v3
	v_cvt_i32_f32_e32 v3, v4
	v_exp_f32_e32 v2, v2
	v_cmp_ngt_f32_e32 vcc, s20, v1
	v_ldexp_f32 v2, v2, v3
	v_cndmask_b32_e32 v2, 0, v2, vcc
	v_cmp_nlt_f32_e32 vcc, s21, v1
	v_cndmask_b32_e32 v1, v12, v2, vcc
	v_add_f32_e32 v1, v13, v1
	v_cmp_neq_f32_e32 vcc, 0, v1
	s_and_b64 exec, exec, vcc
	s_cbranch_execz .LBB111_20
; %bb.10:
	s_andn2_b64 vcc, exec, s[2:3]
	s_cbranch_vccnz .LBB111_20
; %bb.11:
	v_div_scale_f32 v2, s[0:1], v1, v1, 1.0
	v_rcp_f32_e32 v3, v2
	v_div_scale_f32 v4, vcc, 1.0, v1, 1.0
	s_cmp_gt_u32 s8, 3
	v_fma_f32 v5, -v2, v3, 1.0
	v_fmac_f32_e32 v3, v5, v3
	v_mul_f32_e32 v5, v4, v3
	v_fma_f32 v6, -v2, v5, v4
	v_fmac_f32_e32 v5, v6, v3
	v_fma_f32 v2, -v2, v5, v4
	v_div_fmas_f32 v2, v2, v3, v5
	v_div_fixup_f32 v2, v2, v1, 1.0
	v_ashrrev_i32_e32 v1, 31, v0
	s_cbranch_scc0 .LBB111_15
; %bb.12:
	v_lshlrev_b64 v[4:5], 2, v[0:1]
	v_mov_b32_e32 v6, s13
	v_add_co_u32_e32 v4, vcc, s12, v4
	v_addc_co_u32_e32 v5, vcc, v5, v6, vcc
	s_and_b32 s4, s8, 0x7ffffffc
	v_add_co_u32_e32 v4, vcc, 8, v4
	v_mov_b32_e32 v3, v2
	v_addc_co_u32_e32 v5, vcc, 0, v5, vcc
	s_mov_b32 s0, s4
.LBB111_13:                             ; =>This Inner Loop Header: Depth=1
	global_load_dwordx4 v[6:9], v[4:5], off offset:-8
	s_add_i32 s0, s0, -4
	s_cmp_lg_u32 s0, 0
	s_waitcnt vmcnt(0)
	v_pk_mul_f32 v[6:7], v[2:3], v[6:7]
	v_pk_mul_f32 v[8:9], v[2:3], v[8:9]
	global_store_dwordx4 v[4:5], v[6:9], off offset:-8
	v_add_co_u32_e32 v4, vcc, 16, v4
	v_addc_co_u32_e32 v5, vcc, 0, v5, vcc
	s_cbranch_scc1 .LBB111_13
; %bb.14:
	s_cmp_lg_u32 s4, s8
	s_cselect_b64 s[0:1], -1, 0
	s_branch .LBB111_17
.LBB111_15:
	s_mov_b64 s[0:1], 0
                                        ; implicit-def: $sgpr4
	s_cbranch_execz .LBB111_17
; %bb.16:
	s_mov_b64 s[0:1], -1
	s_mov_b32 s4, 0
.LBB111_17:
	s_andn2_b64 vcc, exec, s[0:1]
	s_cbranch_vccnz .LBB111_20
; %bb.18:
	v_add_co_u32_e32 v0, vcc, s4, v0
	v_addc_co_u32_e32 v1, vcc, 0, v1, vcc
	v_lshlrev_b64 v[0:1], 2, v[0:1]
	v_mov_b32_e32 v3, s13
	v_add_co_u32_e32 v0, vcc, s12, v0
	s_sub_i32 s0, s8, s4
	v_addc_co_u32_e32 v1, vcc, v3, v1, vcc
.LBB111_19:                             ; =>This Inner Loop Header: Depth=1
	global_load_dword v3, v[0:1], off
	s_add_i32 s0, s0, -1
	s_cmp_lg_u32 s0, 0
	s_waitcnt vmcnt(0)
	v_mul_f32_e32 v3, v2, v3
	global_store_dword v[0:1], v3, off
	v_add_co_u32_e32 v0, vcc, 4, v0
	v_addc_co_u32_e32 v1, vcc, 0, v1, vcc
	s_cbranch_scc1 .LBB111_19
.LBB111_20:
	s_endpgm
	.section	.rodata,"a",@progbits
	.p2align	6, 0x0
	.amdhsa_kernel _ZN4vllm3moe17topkGatingSoftmaxIDF16_Li1ELi1ELi8ELi2ELb0ELi2ELNS0_23SharedExpertScoringFuncE1EEEvPKT_PKbPfiPiS9_iiiiii
		.amdhsa_group_segment_fixed_size 0
		.amdhsa_private_segment_fixed_size 0
		.amdhsa_kernarg_size 72
		.amdhsa_user_sgpr_count 6
		.amdhsa_user_sgpr_private_segment_buffer 1
		.amdhsa_user_sgpr_dispatch_ptr 0
		.amdhsa_user_sgpr_queue_ptr 0
		.amdhsa_user_sgpr_kernarg_segment_ptr 1
		.amdhsa_user_sgpr_dispatch_id 0
		.amdhsa_user_sgpr_flat_scratch_init 0
		.amdhsa_user_sgpr_kernarg_preload_length 0
		.amdhsa_user_sgpr_kernarg_preload_offset 0
		.amdhsa_user_sgpr_private_segment_size 0
		.amdhsa_uses_dynamic_stack 0
		.amdhsa_system_sgpr_private_segment_wavefront_offset 0
		.amdhsa_system_sgpr_workgroup_id_x 1
		.amdhsa_system_sgpr_workgroup_id_y 0
		.amdhsa_system_sgpr_workgroup_id_z 0
		.amdhsa_system_sgpr_workgroup_info 0
		.amdhsa_system_vgpr_workitem_id 1
		.amdhsa_next_free_vgpr 21
		.amdhsa_next_free_sgpr 22
		.amdhsa_accum_offset 24
		.amdhsa_reserve_vcc 1
		.amdhsa_reserve_flat_scratch 0
		.amdhsa_float_round_mode_32 0
		.amdhsa_float_round_mode_16_64 0
		.amdhsa_float_denorm_mode_32 3
		.amdhsa_float_denorm_mode_16_64 3
		.amdhsa_dx10_clamp 1
		.amdhsa_ieee_mode 1
		.amdhsa_fp16_overflow 0
		.amdhsa_tg_split 0
		.amdhsa_exception_fp_ieee_invalid_op 0
		.amdhsa_exception_fp_denorm_src 0
		.amdhsa_exception_fp_ieee_div_zero 0
		.amdhsa_exception_fp_ieee_overflow 0
		.amdhsa_exception_fp_ieee_underflow 0
		.amdhsa_exception_fp_ieee_inexact 0
		.amdhsa_exception_int_div_zero 0
	.end_amdhsa_kernel
	.section	.text._ZN4vllm3moe17topkGatingSoftmaxIDF16_Li1ELi1ELi8ELi2ELb0ELi2ELNS0_23SharedExpertScoringFuncE1EEEvPKT_PKbPfiPiS9_iiiiii,"axG",@progbits,_ZN4vllm3moe17topkGatingSoftmaxIDF16_Li1ELi1ELi8ELi2ELb0ELi2ELNS0_23SharedExpertScoringFuncE1EEEvPKT_PKbPfiPiS9_iiiiii,comdat
.Lfunc_end111:
	.size	_ZN4vllm3moe17topkGatingSoftmaxIDF16_Li1ELi1ELi8ELi2ELb0ELi2ELNS0_23SharedExpertScoringFuncE1EEEvPKT_PKbPfiPiS9_iiiiii, .Lfunc_end111-_ZN4vllm3moe17topkGatingSoftmaxIDF16_Li1ELi1ELi8ELi2ELb0ELi2ELNS0_23SharedExpertScoringFuncE1EEEvPKT_PKbPfiPiS9_iiiiii
                                        ; -- End function
	.section	.AMDGPU.csdata,"",@progbits
; Kernel info:
; codeLenInByte = 1596
; NumSgprs: 26
; NumVgprs: 21
; NumAgprs: 0
; TotalNumVgprs: 21
; ScratchSize: 0
; MemoryBound: 0
; FloatMode: 240
; IeeeMode: 1
; LDSByteSize: 0 bytes/workgroup (compile time only)
; SGPRBlocks: 3
; VGPRBlocks: 2
; NumSGPRsForWavesPerEU: 26
; NumVGPRsForWavesPerEU: 21
; AccumOffset: 24
; Occupancy: 8
; WaveLimiterHint : 0
; COMPUTE_PGM_RSRC2:SCRATCH_EN: 0
; COMPUTE_PGM_RSRC2:USER_SGPR: 6
; COMPUTE_PGM_RSRC2:TRAP_HANDLER: 0
; COMPUTE_PGM_RSRC2:TGID_X_EN: 1
; COMPUTE_PGM_RSRC2:TGID_Y_EN: 0
; COMPUTE_PGM_RSRC2:TGID_Z_EN: 0
; COMPUTE_PGM_RSRC2:TIDIG_COMP_CNT: 1
; COMPUTE_PGM_RSRC3_GFX90A:ACCUM_OFFSET: 5
; COMPUTE_PGM_RSRC3_GFX90A:TG_SPLIT: 0
	.section	.text._ZN4vllm3moe17topkGatingSoftmaxIDF16_Li1ELi1ELi8ELi2ELb1ELi4ELNS0_23SharedExpertScoringFuncE1EEEvPKT_PKbPfiPiS9_iiiiii,"axG",@progbits,_ZN4vllm3moe17topkGatingSoftmaxIDF16_Li1ELi1ELi8ELi2ELb1ELi4ELNS0_23SharedExpertScoringFuncE1EEEvPKT_PKbPfiPiS9_iiiiii,comdat
	.protected	_ZN4vllm3moe17topkGatingSoftmaxIDF16_Li1ELi1ELi8ELi2ELb1ELi4ELNS0_23SharedExpertScoringFuncE1EEEvPKT_PKbPfiPiS9_iiiiii ; -- Begin function _ZN4vllm3moe17topkGatingSoftmaxIDF16_Li1ELi1ELi8ELi2ELb1ELi4ELNS0_23SharedExpertScoringFuncE1EEEvPKT_PKbPfiPiS9_iiiiii
	.globl	_ZN4vllm3moe17topkGatingSoftmaxIDF16_Li1ELi1ELi8ELi2ELb1ELi4ELNS0_23SharedExpertScoringFuncE1EEEvPKT_PKbPfiPiS9_iiiiii
	.p2align	8
	.type	_ZN4vllm3moe17topkGatingSoftmaxIDF16_Li1ELi1ELi8ELi2ELb1ELi4ELNS0_23SharedExpertScoringFuncE1EEEvPKT_PKbPfiPiS9_iiiiii,@function
_ZN4vllm3moe17topkGatingSoftmaxIDF16_Li1ELi1ELi8ELi2ELb1ELi4ELNS0_23SharedExpertScoringFuncE1EEEvPKT_PKbPfiPiS9_iiiiii: ; @_ZN4vllm3moe17topkGatingSoftmaxIDF16_Li1ELi1ELi8ELi2ELb1ELi4ELNS0_23SharedExpertScoringFuncE1EEEvPKT_PKbPfiPiS9_iiiiii
; %bb.0:
	s_load_dword s18, s[4:5], 0x18
	v_bfe_u32 v1, v0, 10, 10
	s_lshl_b32 s19, s6, 9
	v_lshlrev_b32_e32 v10, 6, v1
	v_and_b32_e32 v11, 0x3ff, v0
	v_add3_u32 v13, v10, v11, s19
	s_waitcnt lgkmcnt(0)
	v_cmp_gt_i32_e32 vcc, s18, v13
	s_and_saveexec_b64 s[0:1], vcc
	s_cbranch_execz .LBB112_19
; %bb.1:
	s_load_dwordx4 s[0:3], s[4:5], 0x0
	s_load_dwordx2 s[12:13], s[4:5], 0x10
	s_waitcnt lgkmcnt(0)
	s_cmp_eq_u64 s[2:3], 0
	s_cbranch_scc1 .LBB112_3
; %bb.2:
	v_ashrrev_i32_e32 v1, 31, v13
	v_mov_b32_e32 v2, s3
	v_add_co_u32_e32 v0, vcc, s2, v13
	v_addc_co_u32_e32 v1, vcc, v2, v1, vcc
	global_load_ubyte v0, v[0:1], off
	s_waitcnt vmcnt(0)
	v_and_b32_e32 v0, 1, v0
	v_cmp_eq_u32_e32 vcc, 1, v0
	s_xor_b64 s[2:3], vcc, -1
	s_orn2_b64 s[2:3], s[2:3], exec
	s_branch .LBB112_4
.LBB112_3:
	s_mov_b64 s[2:3], -1
.LBB112_4:
	s_load_dwordx2 s[14:15], s[4:5], 0x40
	s_load_dwordx4 s[8:11], s[4:5], 0x30
	v_mov_b32_e32 v2, s1
	v_mov_b32_e32 v7, s13
	s_mov_b32 s20, 0xc2ce8ed0
	s_waitcnt lgkmcnt(0)
	v_mul_lo_u32 v0, v13, s15
	v_ashrrev_i32_e32 v1, 31, v0
	v_lshlrev_b64 v[0:1], 1, v[0:1]
	v_add_co_u32_e32 v0, vcc, s0, v0
	v_addc_co_u32_e32 v1, vcc, v2, v1, vcc
	global_load_dwordx2 v[2:3], v[0:1], off
	global_load_ushort v6, v[0:1], off offset:8
	v_mul_lo_u32 v0, v13, s11
	v_add_u32_e32 v4, s8, v0
	v_ashrrev_i32_e32 v5, 31, v4
	v_lshlrev_b64 v[4:5], 2, v[4:5]
	v_add_co_u32_e32 v8, vcc, s12, v4
	v_addc_co_u32_e32 v9, vcc, v7, v5, vcc
	s_mov_b32 s15, 0x3fb8aa3b
	s_mov_b32 s0, 0x32a5705f
	s_mov_b32 s21, 0x42b17218
	v_mov_b32_e32 v1, 0x7f800000
	s_cmp_gt_i32 s8, 0
	v_mov_b32_e32 v12, 0
	s_cselect_b64 s[16:17], -1, 0
	s_cmp_lt_i32 s8, 1
	s_waitcnt vmcnt(1)
	v_cvt_f32_f16_e64 v4, -v3
	v_cvt_f32_f16_sdwa v7, -v2 dst_sel:DWORD dst_unused:UNUSED_PAD src0_sel:WORD_1
	s_waitcnt vmcnt(0)
	v_cvt_f32_f16_e64 v14, -v6
	v_cvt_f32_f16_sdwa v15, -v3 dst_sel:DWORD dst_unused:UNUSED_PAD src0_sel:WORD_1
	v_mul_f32_e32 v5, 0x3fb8aa3b, v4
	v_mul_f32_e32 v16, 0x3fb8aa3b, v7
	v_fma_mix_f32 v19, -v3, s15, -v5 op_sel_hi:[1,0,0]
	v_rndne_f32_e32 v20, v5
	v_mul_f32_e32 v17, 0x3fb8aa3b, v14
	v_fma_mix_f32 v21, -v2, s15, -v16 op_sel:[1,0,0] op_sel_hi:[1,0,0]
	v_rndne_f32_e32 v22, v16
	v_fma_mix_f32 v19, -v3, s0, v19 op_sel_hi:[1,0,0]
	v_sub_f32_e32 v5, v5, v20
	v_mul_f32_e32 v18, 0x3fb8aa3b, v15
	v_fma_mix_f32 v23, -v6, s15, -v17 op_sel_hi:[1,0,0]
	v_rndne_f32_e32 v24, v17
	v_fma_mix_f32 v21, -v2, s0, v21 op_sel:[1,0,0] op_sel_hi:[1,0,0]
	v_sub_f32_e32 v16, v16, v22
	v_add_f32_e32 v5, v5, v19
	v_fma_mix_f32 v25, -v3, s15, -v18 op_sel:[1,0,0] op_sel_hi:[1,0,0]
	v_rndne_f32_e32 v26, v18
	v_cvt_i32_f32_e32 v20, v20
	v_fma_mix_f32 v6, -v6, s0, v23 op_sel_hi:[1,0,0]
	v_sub_f32_e32 v17, v17, v24
	v_add_f32_e32 v16, v16, v21
	v_exp_f32_e32 v5, v5
	v_cvt_i32_f32_e32 v22, v22
	v_fma_mix_f32 v3, -v3, s0, v25 op_sel:[1,0,0] op_sel_hi:[1,0,0]
	v_sub_f32_e32 v18, v18, v26
	v_add_f32_e32 v6, v17, v6
	v_exp_f32_e32 v16, v16
	v_cvt_i32_f32_e32 v23, v24
	v_add_f32_e32 v3, v18, v3
	v_exp_f32_e32 v6, v6
	v_cvt_i32_f32_e32 v24, v26
	v_exp_f32_e32 v3, v3
	v_ldexp_f32 v5, v5, v20
	v_cmp_ngt_f32_e32 vcc, s20, v4
	v_ldexp_f32 v16, v16, v22
	v_cndmask_b32_e32 v5, 0, v5, vcc
	v_cmp_ngt_f32_e32 vcc, s20, v7
	v_ldexp_f32 v6, v6, v23
	v_cndmask_b32_e32 v16, 0, v16, vcc
	;; [unrolled: 3-line block ×3, first 2 shown]
	v_cmp_ngt_f32_e32 vcc, s20, v15
	v_cndmask_b32_e32 v3, 0, v3, vcc
	v_cmp_nlt_f32_e32 vcc, s21, v4
	v_cndmask_b32_e32 v5, v1, v5, vcc
	v_cmp_nlt_f32_e32 vcc, s21, v7
	;; [unrolled: 2-line block ×4, first 2 shown]
	v_pk_add_f32 v[4:5], v[4:5], 1.0 op_sel_hi:[1,0]
	v_cndmask_b32_e32 v6, v1, v3, vcc
	v_div_scale_f32 v3, s[0:1], v5, v5, 1.0
	v_pk_add_f32 v[6:7], v[6:7], 1.0 op_sel_hi:[1,0]
	v_div_scale_f32 v15, s[0:1], v4, v4, 1.0
	v_rcp_f32_e32 v17, v3
	v_div_scale_f32 v16, s[0:1], v7, v7, 1.0
	v_rcp_f32_e32 v18, v15
	v_rcp_f32_e32 v19, v16
	v_fma_f32 v21, -v3, v17, 1.0
	v_div_scale_f32 v14, vcc, 1.0, v5, 1.0
	v_fma_f32 v22, -v15, v18, 1.0
	v_fmac_f32_e32 v17, v21, v17
	v_div_scale_f32 v20, s[0:1], 1.0, v4, 1.0
	v_fma_f32 v23, -v16, v19, 1.0
	v_fmac_f32_e32 v18, v22, v18
	v_mul_f32_e32 v21, v14, v17
	v_fmac_f32_e32 v19, v23, v19
	v_mul_f32_e32 v22, v20, v18
	v_fma_f32 v23, -v3, v21, v14
	v_fma_f32 v24, -v15, v22, v20
	v_fmac_f32_e32 v21, v23, v17
	v_fmac_f32_e32 v22, v24, v18
	v_fma_f32 v3, -v3, v21, v14
	v_fma_f32 v14, -v15, v22, v20
	v_div_fmas_f32 v3, v3, v17, v21
	s_mov_b64 vcc, s[0:1]
	v_div_fixup_f32 v5, v3, v5, 1.0
	v_div_fmas_f32 v3, v14, v18, v22
	v_div_fixup_f32 v4, v3, v4, 1.0
	v_div_scale_f32 v3, vcc, 1.0, v7, 1.0
	v_mul_f32_e32 v14, v3, v19
	v_fma_f32 v15, -v16, v14, v3
	v_fmac_f32_e32 v14, v15, v19
	v_div_scale_f32 v15, s[0:1], v6, v6, 1.0
	v_fma_f32 v3, -v16, v14, v3
	v_rcp_f32_e32 v16, v15
	v_div_fmas_f32 v3, v3, v19, v14
	v_div_fixup_f32 v7, v3, v7, 1.0
	v_fma_f32 v3, -v15, v16, 1.0
	v_fmac_f32_e32 v16, v3, v16
	v_div_scale_f32 v3, vcc, 1.0, v6, 1.0
	v_mul_f32_e32 v14, v3, v16
	v_fma_f32 v17, -v15, v14, v3
	v_fmac_f32_e32 v14, v17, v16
	v_fma_f32 v3, -v15, v14, v3
	v_div_fmas_f32 v3, v3, v16, v14
	v_div_fixup_f32 v6, v3, v6, 1.0
	global_store_dwordx4 v[8:9], v[4:7], off
	s_cbranch_scc1 .LBB112_8
; %bb.5:
	s_mov_b32 s0, 0xffff
	v_bfi_b32 v2, s0, v2, v2
	v_cvt_f32_f16_e32 v14, v2
	s_cmp_lt_i32 s9, 1
	s_load_dwordx4 s[4:7], s[4:5], 0x20
	s_cselect_b64 s[0:1], -1, 0
	v_sub_f32_e32 v2, v14, v14
	v_mul_f32_e32 v3, 0x3fb8aa3b, v2
	v_rndne_f32_e32 v4, v3
	v_sub_f32_e32 v5, v3, v4
	v_fma_f32 v3, v2, s15, -v3
	v_fmac_f32_e32 v3, 0x32a5705f, v2
	v_add_f32_e32 v3, v5, v3
	v_exp_f32_e32 v3, v3
	v_cvt_i32_f32_e32 v4, v4
	v_cmp_ngt_f32_e32 vcc, s20, v2
	s_cmp_gt_i32 s10, 0
	s_cselect_b64 s[10:11], -1, 0
	v_ldexp_f32 v3, v3, v4
	v_cndmask_b32_e32 v3, 0, v3, vcc
	v_cmp_nlt_f32_e32 vcc, s21, v2
	v_cndmask_b32_e32 v12, v1, v3, vcc
	v_ashrrev_i32_e32 v1, 31, v0
	v_lshlrev_b64 v[2:3], 2, v[0:1]
	v_mov_b32_e32 v1, s13
	v_add_co_u32_e32 v4, vcc, s12, v2
	v_mul_lo_u32 v6, v13, s14
	s_and_b64 s[10:11], s[0:1], s[10:11]
	v_addc_co_u32_e64 v5, s[0:1], v1, v3, vcc
	s_sub_i32 s0, 0, s9
	v_ashrrev_i32_e32 v7, 31, v6
	v_mov_b32_e32 v1, s0
	s_and_b64 s[0:1], s[2:3], s[10:11]
	v_lshlrev_b64 v[8:9], 2, v[6:7]
	v_mul_lo_u32 v16, v13, s8
	v_cndmask_b32_e64 v1, 1, v1, s[0:1]
	s_waitcnt lgkmcnt(0)
	v_mov_b32_e32 v2, s5
	v_add_co_u32_e64 v6, s[0:1], s4, v8
	v_addc_co_u32_e64 v7, s[0:1], v2, v9, s[0:1]
	v_ashrrev_i32_e32 v17, 31, v16
	global_store_dword v[6:7], v1, off
	v_lshlrev_b64 v[6:7], 2, v[16:17]
	v_mov_b32_e32 v2, s7
	v_add_co_u32_e64 v16, s[0:1], s6, v6
	v_addc_co_u32_e64 v17, s[0:1], v2, v7, s[0:1]
	s_cmp_eq_u32 s8, 1
	global_store_dword v[4:5], v12, off
	global_store_dword v[16:17], v13, off
	s_cbranch_scc1 .LBB112_8
; %bb.6:
	v_sub_f32_e32 v2, 0xff800000, v14
	s_mov_b32 s0, 0x3fb8aa3b
	v_mul_f32_e32 v5, 0x3fb8aa3b, v2
	v_fma_f32 v13, v2, s0, -v5
	v_rndne_f32_e32 v14, v5
	v_fmac_f32_e32 v13, 0x32a5705f, v2
	v_sub_f32_e32 v5, v5, v14
	v_add_f32_e32 v5, v5, v13
	v_exp_f32_e32 v5, v5
	v_cvt_i32_f32_e32 v13, v14
	s_mov_b32 s0, 0xc2ce8ed0
	v_cmp_ngt_f32_e64 s[0:1], s0, v2
	s_add_i32 s19, s19, s18
	v_ldexp_f32 v5, v5, v13
	v_cndmask_b32_e64 v5, 0, v5, s[0:1]
	s_mov_b32 s0, 0x42b17218
	v_mov_b32_e32 v13, 0x7f800000
	v_cmp_nlt_f32_e64 s[0:1], s0, v2
	v_cndmask_b32_e64 v5, v13, v5, s[0:1]
	v_mov_b32_e32 v2, s7
	v_add_co_u32_e64 v6, s[0:1], s6, v6
	v_addc_co_u32_e64 v2, s[0:1], v7, v2, s[0:1]
	v_add_co_u32_e64 v6, s[0:1], 4, v6
	v_addc_co_u32_e64 v7, s[0:1], 0, v2, s[0:1]
	v_mov_b32_e32 v2, s5
	v_add_co_u32_e64 v8, s[0:1], s4, v8
	v_addc_co_u32_e64 v2, s[0:1], v9, v2, s[0:1]
	v_add_co_u32_e64 v8, s[0:1], 4, v8
	v_addc_co_u32_e64 v9, s[0:1], 0, v2, s[0:1]
	v_mov_b32_e32 v2, s13
	v_addc_co_u32_e32 v3, vcc, v3, v2, vcc
	v_add_co_u32_e32 v2, vcc, 4, v4
	v_addc_co_u32_e32 v3, vcc, 0, v3, vcc
	s_add_i32 s0, s8, -1
	v_add3_u32 v4, s19, v11, v10
.LBB112_7:                              ; =>This Inner Loop Header: Depth=1
	global_store_dword v[2:3], v5, off
	global_store_dword v[8:9], v1, off
	;; [unrolled: 1-line block ×3, first 2 shown]
	v_add_co_u32_e32 v6, vcc, 4, v6
	v_addc_co_u32_e32 v7, vcc, 0, v7, vcc
	v_add_co_u32_e32 v8, vcc, 4, v8
	v_addc_co_u32_e32 v9, vcc, 0, v9, vcc
	v_add_co_u32_e32 v2, vcc, 4, v2
	s_add_i32 s0, s0, -1
	v_add_f32_e32 v12, v12, v5
	v_addc_co_u32_e32 v3, vcc, 0, v3, vcc
	s_cmp_eq_u32 s0, 0
	v_add_u32_e32 v4, s18, v4
	s_cbranch_scc0 .LBB112_7
.LBB112_8:
	v_cmp_neq_f32_e32 vcc, 0, v12
	s_and_b64 exec, exec, vcc
	s_cbranch_execz .LBB112_19
; %bb.9:
	s_andn2_b64 vcc, exec, s[16:17]
	s_cbranch_vccnz .LBB112_19
; %bb.10:
	v_div_scale_f32 v1, s[0:1], v12, v12, 1.0
	v_rcp_f32_e32 v2, v1
	v_div_scale_f32 v3, vcc, 1.0, v12, 1.0
	s_cmp_gt_u32 s8, 3
	v_fma_f32 v4, -v1, v2, 1.0
	v_fmac_f32_e32 v2, v4, v2
	v_mul_f32_e32 v4, v3, v2
	v_fma_f32 v5, -v1, v4, v3
	v_fmac_f32_e32 v4, v5, v2
	v_fma_f32 v1, -v1, v4, v3
	v_div_fmas_f32 v1, v1, v2, v4
	v_div_fixup_f32 v2, v1, v12, 1.0
	v_ashrrev_i32_e32 v1, 31, v0
	s_cbranch_scc0 .LBB112_14
; %bb.11:
	v_lshlrev_b64 v[4:5], 2, v[0:1]
	v_mov_b32_e32 v6, s13
	v_add_co_u32_e32 v4, vcc, s12, v4
	v_addc_co_u32_e32 v5, vcc, v5, v6, vcc
	s_and_b32 s4, s8, 0x7ffffffc
	v_add_co_u32_e32 v4, vcc, 8, v4
	v_mov_b32_e32 v3, v2
	v_addc_co_u32_e32 v5, vcc, 0, v5, vcc
	s_mov_b32 s0, s4
.LBB112_12:                             ; =>This Inner Loop Header: Depth=1
	global_load_dwordx4 v[6:9], v[4:5], off offset:-8
	s_add_i32 s0, s0, -4
	s_cmp_lg_u32 s0, 0
	s_waitcnt vmcnt(0)
	v_pk_mul_f32 v[6:7], v[2:3], v[6:7]
	v_pk_mul_f32 v[8:9], v[2:3], v[8:9]
	global_store_dwordx4 v[4:5], v[6:9], off offset:-8
	v_add_co_u32_e32 v4, vcc, 16, v4
	v_addc_co_u32_e32 v5, vcc, 0, v5, vcc
	s_cbranch_scc1 .LBB112_12
; %bb.13:
	s_cmp_lg_u32 s4, s8
	s_cselect_b64 s[0:1], -1, 0
	s_branch .LBB112_16
.LBB112_14:
	s_mov_b64 s[0:1], 0
                                        ; implicit-def: $sgpr4
	s_cbranch_execz .LBB112_16
; %bb.15:
	s_mov_b64 s[0:1], -1
	s_mov_b32 s4, 0
.LBB112_16:
	s_andn2_b64 vcc, exec, s[0:1]
	s_cbranch_vccnz .LBB112_19
; %bb.17:
	v_add_co_u32_e32 v0, vcc, s4, v0
	v_addc_co_u32_e32 v1, vcc, 0, v1, vcc
	v_lshlrev_b64 v[0:1], 2, v[0:1]
	v_mov_b32_e32 v3, s13
	v_add_co_u32_e32 v0, vcc, s12, v0
	s_sub_i32 s0, s8, s4
	v_addc_co_u32_e32 v1, vcc, v3, v1, vcc
.LBB112_18:                             ; =>This Inner Loop Header: Depth=1
	global_load_dword v3, v[0:1], off
	s_add_i32 s0, s0, -1
	s_cmp_lg_u32 s0, 0
	s_waitcnt vmcnt(0)
	v_mul_f32_e32 v3, v2, v3
	global_store_dword v[0:1], v3, off
	v_add_co_u32_e32 v0, vcc, 4, v0
	v_addc_co_u32_e32 v1, vcc, 0, v1, vcc
	s_cbranch_scc1 .LBB112_18
.LBB112_19:
	s_endpgm
	.section	.rodata,"a",@progbits
	.p2align	6, 0x0
	.amdhsa_kernel _ZN4vllm3moe17topkGatingSoftmaxIDF16_Li1ELi1ELi8ELi2ELb1ELi4ELNS0_23SharedExpertScoringFuncE1EEEvPKT_PKbPfiPiS9_iiiiii
		.amdhsa_group_segment_fixed_size 0
		.amdhsa_private_segment_fixed_size 0
		.amdhsa_kernarg_size 72
		.amdhsa_user_sgpr_count 6
		.amdhsa_user_sgpr_private_segment_buffer 1
		.amdhsa_user_sgpr_dispatch_ptr 0
		.amdhsa_user_sgpr_queue_ptr 0
		.amdhsa_user_sgpr_kernarg_segment_ptr 1
		.amdhsa_user_sgpr_dispatch_id 0
		.amdhsa_user_sgpr_flat_scratch_init 0
		.amdhsa_user_sgpr_kernarg_preload_length 0
		.amdhsa_user_sgpr_kernarg_preload_offset 0
		.amdhsa_user_sgpr_private_segment_size 0
		.amdhsa_uses_dynamic_stack 0
		.amdhsa_system_sgpr_private_segment_wavefront_offset 0
		.amdhsa_system_sgpr_workgroup_id_x 1
		.amdhsa_system_sgpr_workgroup_id_y 0
		.amdhsa_system_sgpr_workgroup_id_z 0
		.amdhsa_system_sgpr_workgroup_info 0
		.amdhsa_system_vgpr_workitem_id 1
		.amdhsa_next_free_vgpr 27
		.amdhsa_next_free_sgpr 22
		.amdhsa_accum_offset 28
		.amdhsa_reserve_vcc 1
		.amdhsa_reserve_flat_scratch 0
		.amdhsa_float_round_mode_32 0
		.amdhsa_float_round_mode_16_64 0
		.amdhsa_float_denorm_mode_32 3
		.amdhsa_float_denorm_mode_16_64 3
		.amdhsa_dx10_clamp 1
		.amdhsa_ieee_mode 1
		.amdhsa_fp16_overflow 0
		.amdhsa_tg_split 0
		.amdhsa_exception_fp_ieee_invalid_op 0
		.amdhsa_exception_fp_denorm_src 0
		.amdhsa_exception_fp_ieee_div_zero 0
		.amdhsa_exception_fp_ieee_overflow 0
		.amdhsa_exception_fp_ieee_underflow 0
		.amdhsa_exception_fp_ieee_inexact 0
		.amdhsa_exception_int_div_zero 0
	.end_amdhsa_kernel
	.section	.text._ZN4vllm3moe17topkGatingSoftmaxIDF16_Li1ELi1ELi8ELi2ELb1ELi4ELNS0_23SharedExpertScoringFuncE1EEEvPKT_PKbPfiPiS9_iiiiii,"axG",@progbits,_ZN4vllm3moe17topkGatingSoftmaxIDF16_Li1ELi1ELi8ELi2ELb1ELi4ELNS0_23SharedExpertScoringFuncE1EEEvPKT_PKbPfiPiS9_iiiiii,comdat
.Lfunc_end112:
	.size	_ZN4vllm3moe17topkGatingSoftmaxIDF16_Li1ELi1ELi8ELi2ELb1ELi4ELNS0_23SharedExpertScoringFuncE1EEEvPKT_PKbPfiPiS9_iiiiii, .Lfunc_end112-_ZN4vllm3moe17topkGatingSoftmaxIDF16_Li1ELi1ELi8ELi2ELb1ELi4ELNS0_23SharedExpertScoringFuncE1EEEvPKT_PKbPfiPiS9_iiiiii
                                        ; -- End function
	.section	.AMDGPU.csdata,"",@progbits
; Kernel info:
; codeLenInByte = 1828
; NumSgprs: 26
; NumVgprs: 27
; NumAgprs: 0
; TotalNumVgprs: 27
; ScratchSize: 0
; MemoryBound: 0
; FloatMode: 240
; IeeeMode: 1
; LDSByteSize: 0 bytes/workgroup (compile time only)
; SGPRBlocks: 3
; VGPRBlocks: 3
; NumSGPRsForWavesPerEU: 26
; NumVGPRsForWavesPerEU: 27
; AccumOffset: 28
; Occupancy: 8
; WaveLimiterHint : 0
; COMPUTE_PGM_RSRC2:SCRATCH_EN: 0
; COMPUTE_PGM_RSRC2:USER_SGPR: 6
; COMPUTE_PGM_RSRC2:TRAP_HANDLER: 0
; COMPUTE_PGM_RSRC2:TGID_X_EN: 1
; COMPUTE_PGM_RSRC2:TGID_Y_EN: 0
; COMPUTE_PGM_RSRC2:TGID_Z_EN: 0
; COMPUTE_PGM_RSRC2:TIDIG_COMP_CNT: 1
; COMPUTE_PGM_RSRC3_GFX90A:ACCUM_OFFSET: 6
; COMPUTE_PGM_RSRC3_GFX90A:TG_SPLIT: 0
	.section	.text._ZN4vllm3moe17topkGatingSoftmaxIDF16_Li1ELi1ELi8ELi2ELb0ELi4ELNS0_23SharedExpertScoringFuncE1EEEvPKT_PKbPfiPiS9_iiiiii,"axG",@progbits,_ZN4vllm3moe17topkGatingSoftmaxIDF16_Li1ELi1ELi8ELi2ELb0ELi4ELNS0_23SharedExpertScoringFuncE1EEEvPKT_PKbPfiPiS9_iiiiii,comdat
	.protected	_ZN4vllm3moe17topkGatingSoftmaxIDF16_Li1ELi1ELi8ELi2ELb0ELi4ELNS0_23SharedExpertScoringFuncE1EEEvPKT_PKbPfiPiS9_iiiiii ; -- Begin function _ZN4vllm3moe17topkGatingSoftmaxIDF16_Li1ELi1ELi8ELi2ELb0ELi4ELNS0_23SharedExpertScoringFuncE1EEEvPKT_PKbPfiPiS9_iiiiii
	.globl	_ZN4vllm3moe17topkGatingSoftmaxIDF16_Li1ELi1ELi8ELi2ELb0ELi4ELNS0_23SharedExpertScoringFuncE1EEEvPKT_PKbPfiPiS9_iiiiii
	.p2align	8
	.type	_ZN4vllm3moe17topkGatingSoftmaxIDF16_Li1ELi1ELi8ELi2ELb0ELi4ELNS0_23SharedExpertScoringFuncE1EEEvPKT_PKbPfiPiS9_iiiiii,@function
_ZN4vllm3moe17topkGatingSoftmaxIDF16_Li1ELi1ELi8ELi2ELb0ELi4ELNS0_23SharedExpertScoringFuncE1EEEvPKT_PKbPfiPiS9_iiiiii: ; @_ZN4vllm3moe17topkGatingSoftmaxIDF16_Li1ELi1ELi8ELi2ELb0ELi4ELNS0_23SharedExpertScoringFuncE1EEEvPKT_PKbPfiPiS9_iiiiii
; %bb.0:
	s_load_dword s18, s[4:5], 0x18
	v_bfe_u32 v1, v0, 10, 10
	s_lshl_b32 s19, s6, 9
	v_lshlrev_b32_e32 v10, 6, v1
	v_and_b32_e32 v11, 0x3ff, v0
	v_add3_u32 v13, v10, v11, s19
	s_waitcnt lgkmcnt(0)
	v_cmp_gt_i32_e32 vcc, s18, v13
	s_and_saveexec_b64 s[0:1], vcc
	s_cbranch_execz .LBB113_20
; %bb.1:
	s_load_dwordx4 s[0:3], s[4:5], 0x0
	s_load_dwordx2 s[12:13], s[4:5], 0x10
	s_waitcnt lgkmcnt(0)
	s_cmp_eq_u64 s[2:3], 0
	s_cbranch_scc1 .LBB113_3
; %bb.2:
	v_ashrrev_i32_e32 v1, 31, v13
	v_mov_b32_e32 v2, s3
	v_add_co_u32_e32 v0, vcc, s2, v13
	v_addc_co_u32_e32 v1, vcc, v2, v1, vcc
	global_load_ubyte v0, v[0:1], off
	s_waitcnt vmcnt(0)
	v_and_b32_e32 v0, 1, v0
	v_cmp_eq_u32_e32 vcc, 1, v0
	s_xor_b64 s[2:3], vcc, -1
	s_orn2_b64 s[2:3], s[2:3], exec
	s_branch .LBB113_4
.LBB113_3:
	s_mov_b64 s[2:3], -1
.LBB113_4:
	s_load_dwordx2 s[14:15], s[4:5], 0x40
	s_load_dwordx4 s[8:11], s[4:5], 0x30
	v_mov_b32_e32 v2, s1
	s_mov_b32 s20, 0xc2ce8ed0
	s_mov_b32 s21, 0x42b17218
	s_waitcnt lgkmcnt(0)
	v_mul_lo_u32 v0, v13, s15
	v_ashrrev_i32_e32 v1, 31, v0
	v_lshlrev_b64 v[0:1], 1, v[0:1]
	v_add_co_u32_e32 v0, vcc, s0, v0
	v_addc_co_u32_e32 v1, vcc, v2, v1, vcc
	global_load_dwordx2 v[6:7], v[0:1], off
	global_load_ushort v4, v[0:1], off offset:8
	v_mul_lo_u32 v0, v13, s11
	v_add_u32_e32 v2, s8, v0
	v_ashrrev_i32_e32 v3, 31, v2
	v_lshlrev_b64 v[2:3], 2, v[2:3]
	v_mov_b32_e32 v1, s13
	v_add_co_u32_e32 v8, vcc, s12, v2
	v_addc_co_u32_e32 v9, vcc, v1, v3, vcc
	s_mov_b32 s15, 0x3fb8aa3b
	s_mov_b32 s0, 0x32a5705f
	v_mov_b32_e32 v12, 0x7f800000
	s_cmp_gt_i32 s8, 0
	v_mov_b32_e32 v14, 0
	s_cselect_b64 s[16:17], -1, 0
	s_cmp_lt_i32 s8, 1
	s_waitcnt vmcnt(1)
	v_cvt_f32_f16_e64 v1, -v7
	v_cvt_f32_f16_sdwa v2, -v6 dst_sel:DWORD dst_unused:UNUSED_PAD src0_sel:WORD_1
	s_waitcnt vmcnt(0)
	v_cvt_f32_f16_e64 v5, -v4
	v_cvt_f32_f16_sdwa v15, -v7 dst_sel:DWORD dst_unused:UNUSED_PAD src0_sel:WORD_1
	v_mul_f32_e32 v3, 0x3fb8aa3b, v1
	v_mul_f32_e32 v16, 0x3fb8aa3b, v2
	v_fma_mix_f32 v19, -v7, s15, -v3 op_sel_hi:[1,0,0]
	v_rndne_f32_e32 v20, v3
	v_mul_f32_e32 v17, 0x3fb8aa3b, v5
	v_fma_mix_f32 v21, -v6, s15, -v16 op_sel:[1,0,0] op_sel_hi:[1,0,0]
	v_rndne_f32_e32 v22, v16
	v_fma_mix_f32 v19, -v7, s0, v19 op_sel_hi:[1,0,0]
	v_sub_f32_e32 v3, v3, v20
	v_mul_f32_e32 v18, 0x3fb8aa3b, v15
	v_fma_mix_f32 v23, -v4, s15, -v17 op_sel_hi:[1,0,0]
	v_rndne_f32_e32 v24, v17
	v_fma_mix_f32 v21, -v6, s0, v21 op_sel:[1,0,0] op_sel_hi:[1,0,0]
	v_sub_f32_e32 v16, v16, v22
	v_add_f32_e32 v3, v3, v19
	v_fma_mix_f32 v25, -v7, s15, -v18 op_sel:[1,0,0] op_sel_hi:[1,0,0]
	v_rndne_f32_e32 v26, v18
	v_cvt_i32_f32_e32 v20, v20
	v_fma_mix_f32 v4, -v4, s0, v23 op_sel_hi:[1,0,0]
	v_sub_f32_e32 v17, v17, v24
	v_add_f32_e32 v16, v16, v21
	v_exp_f32_e32 v3, v3
	v_cvt_i32_f32_e32 v22, v22
	v_fma_mix_f32 v7, -v7, s0, v25 op_sel:[1,0,0] op_sel_hi:[1,0,0]
	v_sub_f32_e32 v18, v18, v26
	v_add_f32_e32 v4, v17, v4
	v_exp_f32_e32 v16, v16
	v_cvt_i32_f32_e32 v23, v24
	v_add_f32_e32 v7, v18, v7
	v_exp_f32_e32 v4, v4
	v_cvt_i32_f32_e32 v24, v26
	v_exp_f32_e32 v7, v7
	v_ldexp_f32 v3, v3, v20
	v_cmp_ngt_f32_e32 vcc, s20, v1
	v_ldexp_f32 v16, v16, v22
	v_cndmask_b32_e32 v3, 0, v3, vcc
	v_cmp_ngt_f32_e32 vcc, s20, v2
	v_ldexp_f32 v4, v4, v23
	v_cndmask_b32_e32 v16, 0, v16, vcc
	;; [unrolled: 3-line block ×3, first 2 shown]
	v_cmp_ngt_f32_e32 vcc, s20, v15
	v_cndmask_b32_e32 v7, 0, v7, vcc
	v_cmp_nlt_f32_e32 vcc, s21, v1
	v_cndmask_b32_e32 v3, v12, v3, vcc
	v_cmp_nlt_f32_e32 vcc, s21, v2
	;; [unrolled: 2-line block ×4, first 2 shown]
	v_pk_add_f32 v[2:3], v[2:3], 1.0 op_sel_hi:[1,0]
	v_cndmask_b32_e32 v4, v12, v7, vcc
	v_div_scale_f32 v1, s[0:1], v3, v3, 1.0
	v_pk_add_f32 v[4:5], v[4:5], 1.0 op_sel_hi:[1,0]
	v_div_scale_f32 v15, s[0:1], v2, v2, 1.0
	v_rcp_f32_e32 v17, v1
	v_div_scale_f32 v16, s[0:1], v5, v5, 1.0
	v_rcp_f32_e32 v18, v15
	v_rcp_f32_e32 v19, v16
	v_fma_f32 v21, -v1, v17, 1.0
	v_div_scale_f32 v7, vcc, 1.0, v3, 1.0
	v_fma_f32 v22, -v15, v18, 1.0
	v_fmac_f32_e32 v17, v21, v17
	v_div_scale_f32 v20, s[0:1], 1.0, v2, 1.0
	v_fma_f32 v23, -v16, v19, 1.0
	v_fmac_f32_e32 v18, v22, v18
	v_mul_f32_e32 v21, v7, v17
	v_fmac_f32_e32 v19, v23, v19
	v_mul_f32_e32 v22, v20, v18
	v_fma_f32 v23, -v1, v21, v7
	v_fma_f32 v24, -v15, v22, v20
	v_fmac_f32_e32 v21, v23, v17
	v_fmac_f32_e32 v22, v24, v18
	v_fma_f32 v1, -v1, v21, v7
	v_fma_f32 v7, -v15, v22, v20
	v_div_fmas_f32 v1, v1, v17, v21
	s_mov_b64 vcc, s[0:1]
	v_div_fixup_f32 v3, v1, v3, 1.0
	v_div_fmas_f32 v1, v7, v18, v22
	v_div_fixup_f32 v2, v1, v2, 1.0
	v_div_scale_f32 v1, vcc, 1.0, v5, 1.0
	v_mul_f32_e32 v7, v1, v19
	v_fma_f32 v15, -v16, v7, v1
	v_fmac_f32_e32 v7, v15, v19
	v_div_scale_f32 v15, s[0:1], v4, v4, 1.0
	v_fma_f32 v1, -v16, v7, v1
	v_rcp_f32_e32 v16, v15
	v_div_fmas_f32 v1, v1, v19, v7
	v_div_fixup_f32 v5, v1, v5, 1.0
	v_fma_f32 v1, -v15, v16, 1.0
	v_fmac_f32_e32 v16, v1, v16
	v_div_scale_f32 v1, vcc, 1.0, v4, 1.0
	v_mul_f32_e32 v7, v1, v16
	v_fma_f32 v17, -v15, v7, v1
	v_fmac_f32_e32 v7, v17, v16
	v_fma_f32 v1, -v15, v7, v1
	v_cvt_f32_f16_e32 v15, v6
	v_div_fmas_f32 v1, v1, v16, v7
	v_div_fixup_f32 v4, v1, v4, 1.0
	global_store_dwordx4 v[8:9], v[2:5], off
	v_mov_b32_e32 v1, v15
	s_cbranch_scc1 .LBB113_9
; %bb.5:
	v_sub_f32_e32 v1, v15, v15
	v_mul_f32_e32 v2, 0x3fb8aa3b, v1
	v_rndne_f32_e32 v3, v2
	v_sub_f32_e32 v4, v2, v3
	v_fma_f32 v2, v1, s15, -v2
	v_fmac_f32_e32 v2, 0x32a5705f, v1
	v_add_f32_e32 v2, v4, v2
	v_exp_f32_e32 v2, v2
	v_cvt_i32_f32_e32 v3, v3
	v_cmp_ngt_f32_e32 vcc, s20, v1
	s_cmp_lt_i32 s9, 1
	s_load_dwordx4 s[4:7], s[4:5], 0x20
	v_ldexp_f32 v2, v2, v3
	v_cndmask_b32_e32 v2, 0, v2, vcc
	v_cmp_nlt_f32_e32 vcc, s21, v1
	v_ashrrev_i32_e32 v1, 31, v0
	s_cselect_b64 s[0:1], -1, 0
	s_cmp_gt_i32 s10, 0
	v_cndmask_b32_e32 v14, v12, v2, vcc
	v_lshlrev_b64 v[2:3], 2, v[0:1]
	s_cselect_b64 s[10:11], -1, 0
	v_mov_b32_e32 v1, s13
	v_add_co_u32_e32 v4, vcc, s12, v2
	v_mul_lo_u32 v6, v13, s14
	s_and_b64 s[10:11], s[0:1], s[10:11]
	v_addc_co_u32_e64 v5, s[0:1], v1, v3, vcc
	s_sub_i32 s0, 0, s9
	v_ashrrev_i32_e32 v7, 31, v6
	v_mov_b32_e32 v1, s0
	s_and_b64 s[0:1], s[2:3], s[10:11]
	v_lshlrev_b64 v[8:9], 2, v[6:7]
	v_mul_lo_u32 v16, v13, s8
	v_cndmask_b32_e64 v1, 1, v1, s[0:1]
	s_waitcnt lgkmcnt(0)
	v_mov_b32_e32 v2, s5
	v_add_co_u32_e64 v6, s[0:1], s4, v8
	v_addc_co_u32_e64 v7, s[0:1], v2, v9, s[0:1]
	v_ashrrev_i32_e32 v17, 31, v16
	global_store_dword v[6:7], v1, off
	v_lshlrev_b64 v[6:7], 2, v[16:17]
	v_mov_b32_e32 v2, s7
	v_add_co_u32_e64 v16, s[0:1], s6, v6
	v_addc_co_u32_e64 v17, s[0:1], v2, v7, s[0:1]
	s_cmp_eq_u32 s8, 1
	global_store_dword v[4:5], v14, off
	global_store_dword v[16:17], v13, off
	s_cbranch_scc1 .LBB113_8
; %bb.6:
	v_sub_f32_e32 v2, 0xff800000, v15
	s_mov_b32 s0, 0x3fb8aa3b
	v_mul_f32_e32 v5, 0x3fb8aa3b, v2
	v_fma_f32 v13, v2, s0, -v5
	v_rndne_f32_e32 v16, v5
	v_fmac_f32_e32 v13, 0x32a5705f, v2
	v_sub_f32_e32 v5, v5, v16
	v_add_f32_e32 v5, v5, v13
	v_exp_f32_e32 v5, v5
	v_cvt_i32_f32_e32 v13, v16
	s_mov_b32 s0, 0xc2ce8ed0
	v_cmp_ngt_f32_e64 s[0:1], s0, v2
	s_add_i32 s19, s19, s18
	v_ldexp_f32 v5, v5, v13
	v_cndmask_b32_e64 v5, 0, v5, s[0:1]
	s_mov_b32 s0, 0x42b17218
	v_mov_b32_e32 v13, 0x7f800000
	v_cmp_nlt_f32_e64 s[0:1], s0, v2
	v_cndmask_b32_e64 v5, v13, v5, s[0:1]
	v_mov_b32_e32 v2, s7
	v_add_co_u32_e64 v6, s[0:1], s6, v6
	v_addc_co_u32_e64 v2, s[0:1], v7, v2, s[0:1]
	v_add_co_u32_e64 v6, s[0:1], 4, v6
	v_addc_co_u32_e64 v7, s[0:1], 0, v2, s[0:1]
	v_mov_b32_e32 v2, s5
	v_add_co_u32_e64 v8, s[0:1], s4, v8
	v_addc_co_u32_e64 v2, s[0:1], v9, v2, s[0:1]
	v_add_co_u32_e64 v8, s[0:1], 4, v8
	v_addc_co_u32_e64 v9, s[0:1], 0, v2, s[0:1]
	v_mov_b32_e32 v2, s13
	v_addc_co_u32_e32 v3, vcc, v3, v2, vcc
	v_add_co_u32_e32 v2, vcc, 4, v4
	v_addc_co_u32_e32 v3, vcc, 0, v3, vcc
	s_add_i32 s0, s8, -1
	v_add3_u32 v4, s19, v11, v10
.LBB113_7:                              ; =>This Inner Loop Header: Depth=1
	global_store_dword v[2:3], v5, off
	global_store_dword v[8:9], v1, off
	;; [unrolled: 1-line block ×3, first 2 shown]
	v_add_co_u32_e32 v6, vcc, 4, v6
	v_addc_co_u32_e32 v7, vcc, 0, v7, vcc
	v_add_co_u32_e32 v8, vcc, 4, v8
	v_addc_co_u32_e32 v9, vcc, 0, v9, vcc
	v_add_co_u32_e32 v2, vcc, 4, v2
	s_add_i32 s0, s0, -1
	v_add_f32_e32 v14, v14, v5
	v_addc_co_u32_e32 v3, vcc, 0, v3, vcc
	s_cmp_eq_u32 s0, 0
	v_add_u32_e32 v4, s18, v4
	s_cbranch_scc0 .LBB113_7
.LBB113_8:
	v_mov_b32_e32 v1, 0xff800000
.LBB113_9:
	v_sub_f32_e32 v1, v1, v15
	v_mul_f32_e32 v2, 0x3fb8aa3b, v1
	v_fma_f32 v3, v1, s15, -v2
	v_rndne_f32_e32 v4, v2
	v_fmac_f32_e32 v3, 0x32a5705f, v1
	v_sub_f32_e32 v2, v2, v4
	v_add_f32_e32 v2, v2, v3
	v_cvt_i32_f32_e32 v3, v4
	v_exp_f32_e32 v2, v2
	v_cmp_ngt_f32_e32 vcc, s20, v1
	v_ldexp_f32 v2, v2, v3
	v_cndmask_b32_e32 v2, 0, v2, vcc
	v_cmp_nlt_f32_e32 vcc, s21, v1
	v_cndmask_b32_e32 v1, v12, v2, vcc
	v_add_f32_e32 v1, v14, v1
	v_cmp_neq_f32_e32 vcc, 0, v1
	s_and_b64 exec, exec, vcc
	s_cbranch_execz .LBB113_20
; %bb.10:
	s_andn2_b64 vcc, exec, s[16:17]
	s_cbranch_vccnz .LBB113_20
; %bb.11:
	v_div_scale_f32 v2, s[0:1], v1, v1, 1.0
	v_rcp_f32_e32 v3, v2
	v_div_scale_f32 v4, vcc, 1.0, v1, 1.0
	s_cmp_gt_u32 s8, 3
	v_fma_f32 v5, -v2, v3, 1.0
	v_fmac_f32_e32 v3, v5, v3
	v_mul_f32_e32 v5, v4, v3
	v_fma_f32 v6, -v2, v5, v4
	v_fmac_f32_e32 v5, v6, v3
	v_fma_f32 v2, -v2, v5, v4
	v_div_fmas_f32 v2, v2, v3, v5
	v_div_fixup_f32 v2, v2, v1, 1.0
	v_ashrrev_i32_e32 v1, 31, v0
	s_cbranch_scc0 .LBB113_15
; %bb.12:
	v_lshlrev_b64 v[4:5], 2, v[0:1]
	v_mov_b32_e32 v6, s13
	v_add_co_u32_e32 v4, vcc, s12, v4
	v_addc_co_u32_e32 v5, vcc, v5, v6, vcc
	s_and_b32 s4, s8, 0x7ffffffc
	v_add_co_u32_e32 v4, vcc, 8, v4
	v_mov_b32_e32 v3, v2
	v_addc_co_u32_e32 v5, vcc, 0, v5, vcc
	s_mov_b32 s0, s4
.LBB113_13:                             ; =>This Inner Loop Header: Depth=1
	global_load_dwordx4 v[6:9], v[4:5], off offset:-8
	s_add_i32 s0, s0, -4
	s_cmp_lg_u32 s0, 0
	s_waitcnt vmcnt(0)
	v_pk_mul_f32 v[6:7], v[2:3], v[6:7]
	v_pk_mul_f32 v[8:9], v[2:3], v[8:9]
	global_store_dwordx4 v[4:5], v[6:9], off offset:-8
	v_add_co_u32_e32 v4, vcc, 16, v4
	v_addc_co_u32_e32 v5, vcc, 0, v5, vcc
	s_cbranch_scc1 .LBB113_13
; %bb.14:
	s_cmp_lg_u32 s4, s8
	s_cselect_b64 s[0:1], -1, 0
	s_branch .LBB113_17
.LBB113_15:
	s_mov_b64 s[0:1], 0
                                        ; implicit-def: $sgpr4
	s_cbranch_execz .LBB113_17
; %bb.16:
	s_mov_b64 s[0:1], -1
	s_mov_b32 s4, 0
.LBB113_17:
	s_andn2_b64 vcc, exec, s[0:1]
	s_cbranch_vccnz .LBB113_20
; %bb.18:
	v_add_co_u32_e32 v0, vcc, s4, v0
	v_addc_co_u32_e32 v1, vcc, 0, v1, vcc
	v_lshlrev_b64 v[0:1], 2, v[0:1]
	v_mov_b32_e32 v3, s13
	v_add_co_u32_e32 v0, vcc, s12, v0
	s_sub_i32 s0, s8, s4
	v_addc_co_u32_e32 v1, vcc, v3, v1, vcc
.LBB113_19:                             ; =>This Inner Loop Header: Depth=1
	global_load_dword v3, v[0:1], off
	s_add_i32 s0, s0, -1
	s_cmp_lg_u32 s0, 0
	s_waitcnt vmcnt(0)
	v_mul_f32_e32 v3, v2, v3
	global_store_dword v[0:1], v3, off
	v_add_co_u32_e32 v0, vcc, 4, v0
	v_addc_co_u32_e32 v1, vcc, 0, v1, vcc
	s_cbranch_scc1 .LBB113_19
.LBB113_20:
	s_endpgm
	.section	.rodata,"a",@progbits
	.p2align	6, 0x0
	.amdhsa_kernel _ZN4vllm3moe17topkGatingSoftmaxIDF16_Li1ELi1ELi8ELi2ELb0ELi4ELNS0_23SharedExpertScoringFuncE1EEEvPKT_PKbPfiPiS9_iiiiii
		.amdhsa_group_segment_fixed_size 0
		.amdhsa_private_segment_fixed_size 0
		.amdhsa_kernarg_size 72
		.amdhsa_user_sgpr_count 6
		.amdhsa_user_sgpr_private_segment_buffer 1
		.amdhsa_user_sgpr_dispatch_ptr 0
		.amdhsa_user_sgpr_queue_ptr 0
		.amdhsa_user_sgpr_kernarg_segment_ptr 1
		.amdhsa_user_sgpr_dispatch_id 0
		.amdhsa_user_sgpr_flat_scratch_init 0
		.amdhsa_user_sgpr_kernarg_preload_length 0
		.amdhsa_user_sgpr_kernarg_preload_offset 0
		.amdhsa_user_sgpr_private_segment_size 0
		.amdhsa_uses_dynamic_stack 0
		.amdhsa_system_sgpr_private_segment_wavefront_offset 0
		.amdhsa_system_sgpr_workgroup_id_x 1
		.amdhsa_system_sgpr_workgroup_id_y 0
		.amdhsa_system_sgpr_workgroup_id_z 0
		.amdhsa_system_sgpr_workgroup_info 0
		.amdhsa_system_vgpr_workitem_id 1
		.amdhsa_next_free_vgpr 27
		.amdhsa_next_free_sgpr 22
		.amdhsa_accum_offset 28
		.amdhsa_reserve_vcc 1
		.amdhsa_reserve_flat_scratch 0
		.amdhsa_float_round_mode_32 0
		.amdhsa_float_round_mode_16_64 0
		.amdhsa_float_denorm_mode_32 3
		.amdhsa_float_denorm_mode_16_64 3
		.amdhsa_dx10_clamp 1
		.amdhsa_ieee_mode 1
		.amdhsa_fp16_overflow 0
		.amdhsa_tg_split 0
		.amdhsa_exception_fp_ieee_invalid_op 0
		.amdhsa_exception_fp_denorm_src 0
		.amdhsa_exception_fp_ieee_div_zero 0
		.amdhsa_exception_fp_ieee_overflow 0
		.amdhsa_exception_fp_ieee_underflow 0
		.amdhsa_exception_fp_ieee_inexact 0
		.amdhsa_exception_int_div_zero 0
	.end_amdhsa_kernel
	.section	.text._ZN4vllm3moe17topkGatingSoftmaxIDF16_Li1ELi1ELi8ELi2ELb0ELi4ELNS0_23SharedExpertScoringFuncE1EEEvPKT_PKbPfiPiS9_iiiiii,"axG",@progbits,_ZN4vllm3moe17topkGatingSoftmaxIDF16_Li1ELi1ELi8ELi2ELb0ELi4ELNS0_23SharedExpertScoringFuncE1EEEvPKT_PKbPfiPiS9_iiiiii,comdat
.Lfunc_end113:
	.size	_ZN4vllm3moe17topkGatingSoftmaxIDF16_Li1ELi1ELi8ELi2ELb0ELi4ELNS0_23SharedExpertScoringFuncE1EEEvPKT_PKbPfiPiS9_iiiiii, .Lfunc_end113-_ZN4vllm3moe17topkGatingSoftmaxIDF16_Li1ELi1ELi8ELi2ELb0ELi4ELNS0_23SharedExpertScoringFuncE1EEEvPKT_PKbPfiPiS9_iiiiii
                                        ; -- End function
	.section	.AMDGPU.csdata,"",@progbits
; Kernel info:
; codeLenInByte = 1900
; NumSgprs: 26
; NumVgprs: 27
; NumAgprs: 0
; TotalNumVgprs: 27
; ScratchSize: 0
; MemoryBound: 0
; FloatMode: 240
; IeeeMode: 1
; LDSByteSize: 0 bytes/workgroup (compile time only)
; SGPRBlocks: 3
; VGPRBlocks: 3
; NumSGPRsForWavesPerEU: 26
; NumVGPRsForWavesPerEU: 27
; AccumOffset: 28
; Occupancy: 8
; WaveLimiterHint : 0
; COMPUTE_PGM_RSRC2:SCRATCH_EN: 0
; COMPUTE_PGM_RSRC2:USER_SGPR: 6
; COMPUTE_PGM_RSRC2:TRAP_HANDLER: 0
; COMPUTE_PGM_RSRC2:TGID_X_EN: 1
; COMPUTE_PGM_RSRC2:TGID_Y_EN: 0
; COMPUTE_PGM_RSRC2:TGID_Z_EN: 0
; COMPUTE_PGM_RSRC2:TIDIG_COMP_CNT: 1
; COMPUTE_PGM_RSRC3_GFX90A:ACCUM_OFFSET: 6
; COMPUTE_PGM_RSRC3_GFX90A:TG_SPLIT: 0
	.section	.text._ZN4vllm3moe17topkGatingSoftmaxIDF16_Li1ELi1ELi8ELi2ELb1ELi8ELNS0_23SharedExpertScoringFuncE1EEEvPKT_PKbPfiPiS9_iiiiii,"axG",@progbits,_ZN4vllm3moe17topkGatingSoftmaxIDF16_Li1ELi1ELi8ELi2ELb1ELi8ELNS0_23SharedExpertScoringFuncE1EEEvPKT_PKbPfiPiS9_iiiiii,comdat
	.protected	_ZN4vllm3moe17topkGatingSoftmaxIDF16_Li1ELi1ELi8ELi2ELb1ELi8ELNS0_23SharedExpertScoringFuncE1EEEvPKT_PKbPfiPiS9_iiiiii ; -- Begin function _ZN4vllm3moe17topkGatingSoftmaxIDF16_Li1ELi1ELi8ELi2ELb1ELi8ELNS0_23SharedExpertScoringFuncE1EEEvPKT_PKbPfiPiS9_iiiiii
	.globl	_ZN4vllm3moe17topkGatingSoftmaxIDF16_Li1ELi1ELi8ELi2ELb1ELi8ELNS0_23SharedExpertScoringFuncE1EEEvPKT_PKbPfiPiS9_iiiiii
	.p2align	8
	.type	_ZN4vllm3moe17topkGatingSoftmaxIDF16_Li1ELi1ELi8ELi2ELb1ELi8ELNS0_23SharedExpertScoringFuncE1EEEvPKT_PKbPfiPiS9_iiiiii,@function
_ZN4vllm3moe17topkGatingSoftmaxIDF16_Li1ELi1ELi8ELi2ELb1ELi8ELNS0_23SharedExpertScoringFuncE1EEEvPKT_PKbPfiPiS9_iiiiii: ; @_ZN4vllm3moe17topkGatingSoftmaxIDF16_Li1ELi1ELi8ELi2ELb1ELi8ELNS0_23SharedExpertScoringFuncE1EEEvPKT_PKbPfiPiS9_iiiiii
; %bb.0:
	s_load_dword s18, s[4:5], 0x18
	v_bfe_u32 v1, v0, 10, 10
	s_lshl_b32 s19, s6, 9
	v_lshlrev_b32_e32 v10, 6, v1
	v_and_b32_e32 v11, 0x3ff, v0
	v_add3_u32 v13, v10, v11, s19
	s_waitcnt lgkmcnt(0)
	v_cmp_gt_i32_e32 vcc, s18, v13
	s_and_saveexec_b64 s[0:1], vcc
	s_cbranch_execz .LBB114_19
; %bb.1:
	s_load_dwordx4 s[0:3], s[4:5], 0x0
	s_load_dwordx2 s[12:13], s[4:5], 0x10
	s_waitcnt lgkmcnt(0)
	s_cmp_eq_u64 s[2:3], 0
	s_cbranch_scc1 .LBB114_3
; %bb.2:
	v_ashrrev_i32_e32 v1, 31, v13
	v_mov_b32_e32 v2, s3
	v_add_co_u32_e32 v0, vcc, s2, v13
	v_addc_co_u32_e32 v1, vcc, v2, v1, vcc
	global_load_ubyte v0, v[0:1], off
	s_waitcnt vmcnt(0)
	v_and_b32_e32 v0, 1, v0
	v_cmp_eq_u32_e32 vcc, 1, v0
	s_xor_b64 s[2:3], vcc, -1
	s_orn2_b64 s[2:3], s[2:3], exec
	s_branch .LBB114_4
.LBB114_3:
	s_mov_b64 s[2:3], -1
.LBB114_4:
	s_load_dwordx2 s[14:15], s[4:5], 0x40
	s_load_dwordx4 s[8:11], s[4:5], 0x30
	v_mov_b32_e32 v2, s1
	v_mov_b32_e32 v5, s13
	s_mov_b32 s6, 0x32a5705f
	s_waitcnt lgkmcnt(0)
	v_mul_lo_u32 v0, v13, s15
	v_ashrrev_i32_e32 v1, 31, v0
	v_lshlrev_b64 v[0:1], 1, v[0:1]
	v_add_co_u32_e32 v8, vcc, s0, v0
	v_addc_co_u32_e32 v9, vcc, v2, v1, vcc
	global_load_dwordx3 v[0:2], v[8:9], off
	v_mul_lo_u32 v4, v13, s11
	v_add_u32_e32 v6, s8, v4
	v_ashrrev_i32_e32 v7, 31, v6
	v_lshlrev_b64 v[6:7], 2, v[6:7]
	v_add_co_u32_e32 v6, vcc, s12, v6
	v_addc_co_u32_e32 v7, vcc, v5, v7, vcc
	global_load_ushort v5, v[8:9], off offset:12
	global_load_dword v18, v[8:9], off offset:14
	s_mov_b32 s15, 0x3fb8aa3b
	s_mov_b32 s20, 0xc2ce8ed0
	s_mov_b32 s21, 0x42b17218
	v_mov_b32_e32 v3, 0x7f800000
	s_cmp_gt_i32 s8, 0
	v_mov_b32_e32 v12, 0
	s_cselect_b64 s[16:17], -1, 0
	s_cmp_lt_i32 s8, 1
	s_waitcnt vmcnt(2)
	v_cvt_f32_f16_e64 v8, -v1
	v_cvt_f32_f16_sdwa v14, -v0 dst_sel:DWORD dst_unused:UNUSED_PAD src0_sel:WORD_1
	v_cvt_f32_f16_e64 v15, -v2
	v_cvt_f32_f16_sdwa v16, -v1 dst_sel:DWORD dst_unused:UNUSED_PAD src0_sel:WORD_1
	v_mul_f32_e32 v9, 0x3fb8aa3b, v8
	v_mul_f32_e32 v17, 0x3fb8aa3b, v14
	v_fma_mix_f32 v21, -v1, s15, -v9 op_sel_hi:[1,0,0]
	v_rndne_f32_e32 v22, v9
	v_mul_f32_e32 v19, 0x3fb8aa3b, v15
	v_fma_mix_f32 v23, -v0, s15, -v17 op_sel:[1,0,0] op_sel_hi:[1,0,0]
	v_rndne_f32_e32 v24, v17
	v_fma_mix_f32 v21, -v1, s6, v21 op_sel_hi:[1,0,0]
	v_sub_f32_e32 v9, v9, v22
	v_mul_f32_e32 v20, 0x3fb8aa3b, v16
	v_fma_mix_f32 v25, -v2, s15, -v19 op_sel_hi:[1,0,0]
	v_rndne_f32_e32 v26, v19
	v_fma_mix_f32 v23, -v0, s6, v23 op_sel:[1,0,0] op_sel_hi:[1,0,0]
	v_sub_f32_e32 v17, v17, v24
	v_add_f32_e32 v9, v9, v21
	v_fma_mix_f32 v27, -v1, s15, -v20 op_sel:[1,0,0] op_sel_hi:[1,0,0]
	v_rndne_f32_e32 v28, v20
	v_cvt_i32_f32_e32 v22, v22
	v_fma_mix_f32 v25, -v2, s6, v25 op_sel_hi:[1,0,0]
	v_sub_f32_e32 v19, v19, v26
	v_add_f32_e32 v17, v17, v23
	v_exp_f32_e32 v9, v9
	v_cvt_i32_f32_e32 v24, v24
	v_fma_mix_f32 v1, -v1, s6, v27 op_sel:[1,0,0] op_sel_hi:[1,0,0]
	v_sub_f32_e32 v20, v20, v28
	v_add_f32_e32 v19, v19, v25
	v_exp_f32_e32 v17, v17
	v_cvt_i32_f32_e32 v26, v26
	v_add_f32_e32 v1, v20, v1
	v_exp_f32_e32 v19, v19
	v_cvt_i32_f32_e32 v27, v28
	v_exp_f32_e32 v1, v1
	v_ldexp_f32 v9, v9, v22
	v_cmp_ngt_f32_e32 vcc, s20, v8
	v_ldexp_f32 v17, v17, v24
	v_cndmask_b32_e32 v9, 0, v9, vcc
	v_cmp_ngt_f32_e32 vcc, s20, v14
	v_ldexp_f32 v19, v19, v26
	v_cndmask_b32_e32 v17, 0, v17, vcc
	;; [unrolled: 3-line block ×3, first 2 shown]
	v_cmp_ngt_f32_e32 vcc, s20, v16
	v_cndmask_b32_e32 v1, 0, v1, vcc
	v_cmp_nlt_f32_e32 vcc, s21, v8
	v_cndmask_b32_e32 v9, v3, v9, vcc
	v_cmp_nlt_f32_e32 vcc, s21, v14
	;; [unrolled: 2-line block ×4, first 2 shown]
	v_pk_add_f32 v[8:9], v[8:9], 1.0 op_sel_hi:[1,0]
	v_cndmask_b32_e32 v14, v3, v1, vcc
	v_div_scale_f32 v1, s[0:1], v9, v9, 1.0
	v_pk_add_f32 v[16:17], v[14:15], 1.0 op_sel_hi:[1,0]
	v_div_scale_f32 v15, s[0:1], v8, v8, 1.0
	v_rcp_f32_e32 v20, v1
	v_div_scale_f32 v19, s[0:1], v17, v17, 1.0
	v_rcp_f32_e32 v21, v15
	v_rcp_f32_e32 v22, v19
	v_fma_f32 v24, -v1, v20, 1.0
	v_div_scale_f32 v14, vcc, 1.0, v9, 1.0
	v_fma_f32 v25, -v15, v21, 1.0
	v_fmac_f32_e32 v20, v24, v20
	v_div_scale_f32 v23, s[0:1], 1.0, v8, 1.0
	v_fma_f32 v26, -v19, v22, 1.0
	v_fmac_f32_e32 v21, v25, v21
	v_mul_f32_e32 v24, v14, v20
	v_fmac_f32_e32 v22, v26, v22
	v_mul_f32_e32 v25, v23, v21
	v_fma_f32 v26, -v1, v24, v14
	v_fma_f32 v27, -v15, v25, v23
	v_fmac_f32_e32 v24, v26, v20
	v_fmac_f32_e32 v25, v27, v21
	v_fma_f32 v1, -v1, v24, v14
	v_fma_f32 v14, -v15, v25, v23
	v_div_fmas_f32 v1, v1, v20, v24
	s_mov_b64 vcc, s[0:1]
	v_div_fixup_f32 v15, v1, v9, 1.0
	v_div_fmas_f32 v1, v14, v21, v25
	v_div_fixup_f32 v14, v1, v8, 1.0
	v_div_scale_f32 v1, vcc, 1.0, v17, 1.0
	v_mul_f32_e32 v8, v1, v22
	v_fma_f32 v9, -v19, v8, v1
	v_fmac_f32_e32 v8, v9, v22
	v_div_scale_f32 v9, s[0:1], v16, v16, 1.0
	v_fma_f32 v1, -v19, v8, v1
	v_rcp_f32_e32 v19, v9
	v_div_fmas_f32 v1, v1, v22, v8
	v_div_fixup_f32 v17, v1, v17, 1.0
	v_div_scale_f32 v8, vcc, 1.0, v16, 1.0
	v_fma_f32 v1, -v9, v19, 1.0
	v_fmac_f32_e32 v19, v1, v19
	s_waitcnt vmcnt(1)
	v_cvt_f32_f16_e64 v1, -v5
	v_mul_f32_e32 v20, v8, v19
	v_fma_f32 v21, -v9, v20, v8
	v_fmac_f32_e32 v20, v21, v19
	v_mul_f32_e32 v22, 0x3fb8aa3b, v1
	v_fma_mix_f32 v23, -v5, s15, -v22 op_sel_hi:[1,0,0]
	v_fma_mix_f32 v5, -v5, s6, v23 op_sel_hi:[1,0,0]
	v_rndne_f32_e32 v23, v22
	v_sub_f32_e32 v22, v22, v23
	v_add_f32_e32 v5, v22, v5
	v_cvt_i32_f32_e32 v22, v23
	v_cvt_f32_f16_sdwa v23, -v2 dst_sel:DWORD dst_unused:UNUSED_PAD src0_sel:WORD_1
	v_fma_f32 v21, -v9, v20, v8
	v_exp_f32_e32 v5, v5
	v_cmp_ngt_f32_e64 s[0:1], s20, v1
	v_mul_f32_e32 v8, 0x3fb8aa3b, v23
	v_fma_mix_f32 v9, -v2, s15, -v8 op_sel:[1,0,0] op_sel_hi:[1,0,0]
	v_fma_mix_f32 v2, -v2, s6, v9 op_sel:[1,0,0] op_sel_hi:[1,0,0]
	v_rndne_f32_e32 v9, v8
	v_sub_f32_e32 v8, v8, v9
	v_add_f32_e32 v2, v8, v2
	v_exp_f32_e32 v2, v2
	v_cvt_i32_f32_e32 v8, v9
	v_ldexp_f32 v5, v5, v22
	v_cndmask_b32_e64 v5, 0, v5, s[0:1]
	v_cmp_nlt_f32_e64 s[0:1], s21, v1
	v_cndmask_b32_e64 v9, v3, v5, s[0:1]
	v_ldexp_f32 v1, v2, v8
	v_cmp_ngt_f32_e64 s[0:1], s20, v23
	v_cndmask_b32_e64 v1, 0, v1, s[0:1]
	v_cmp_nlt_f32_e64 s[0:1], s21, v23
	v_cndmask_b32_e64 v8, v3, v1, s[0:1]
	v_pk_add_f32 v[8:9], v[8:9], 1.0 op_sel_hi:[1,0]
	v_div_scale_f32 v1, s[0:1], v9, v9, 1.0
	v_rcp_f32_e32 v2, v1
	v_div_fmas_f32 v5, v21, v19, v20
	v_div_fixup_f32 v16, v5, v16, 1.0
	global_store_dwordx4 v[6:7], v[14:17], off
	v_fma_f32 v5, -v1, v2, 1.0
	v_fmac_f32_e32 v2, v5, v2
	v_div_scale_f32 v5, vcc, 1.0, v9, 1.0
	v_mul_f32_e32 v14, v5, v2
	v_fma_f32 v15, -v1, v14, v5
	v_fmac_f32_e32 v14, v15, v2
	v_fma_f32 v1, -v1, v14, v5
	v_div_scale_f32 v5, s[0:1], v8, v8, 1.0
	v_rcp_f32_e32 v19, v5
	v_div_fmas_f32 v1, v1, v2, v14
	v_div_fixup_f32 v15, v1, v9, 1.0
	v_div_scale_f32 v2, vcc, 1.0, v8, 1.0
	v_fma_f32 v1, -v5, v19, 1.0
	v_fmac_f32_e32 v19, v1, v19
	s_waitcnt vmcnt(1)
	v_cvt_f32_f16_e64 v1, -v18
	v_mul_f32_e32 v9, v2, v19
	v_fma_f32 v14, -v5, v9, v2
	v_fmac_f32_e32 v9, v14, v19
	v_mul_f32_e32 v16, 0x3fb8aa3b, v1
	v_fma_mix_f32 v17, -v18, s15, -v16 op_sel_hi:[1,0,0]
	v_rndne_f32_e32 v20, v16
	v_fma_mix_f32 v17, -v18, s6, v17 op_sel_hi:[1,0,0]
	v_sub_f32_e32 v16, v16, v20
	v_add_f32_e32 v16, v16, v17
	v_cvt_i32_f32_e32 v17, v20
	v_cvt_f32_f16_sdwa v20, -v18 dst_sel:DWORD dst_unused:UNUSED_PAD src0_sel:WORD_1
	v_exp_f32_e32 v16, v16
	v_fma_f32 v2, -v5, v9, v2
	v_cmp_ngt_f32_e64 s[0:1], s20, v1
	v_mul_f32_e32 v14, 0x3fb8aa3b, v20
	v_ldexp_f32 v5, v16, v17
	v_fma_mix_f32 v16, -v18, s15, -v14 op_sel:[1,0,0] op_sel_hi:[1,0,0]
	v_rndne_f32_e32 v17, v14
	v_fma_mix_f32 v16, -v18, s6, v16 op_sel:[1,0,0] op_sel_hi:[1,0,0]
	v_sub_f32_e32 v14, v14, v17
	v_add_f32_e32 v14, v14, v16
	v_exp_f32_e32 v14, v14
	v_cvt_i32_f32_e32 v17, v17
	v_cndmask_b32_e64 v5, 0, v5, s[0:1]
	v_cmp_nlt_f32_e64 s[0:1], s21, v1
	v_cndmask_b32_e64 v16, v3, v5, s[0:1]
	v_ldexp_f32 v1, v14, v17
	v_cmp_ngt_f32_e64 s[0:1], s20, v20
	v_cndmask_b32_e64 v1, 0, v1, s[0:1]
	v_cmp_nlt_f32_e64 s[0:1], s21, v20
	v_cndmask_b32_e64 v17, v3, v1, s[0:1]
	v_pk_add_f32 v[16:17], v[16:17], 1.0 op_sel_hi:[1,0]
	v_div_scale_f32 v1, s[0:1], v17, v17, 1.0
	v_rcp_f32_e32 v5, v1
	v_div_fmas_f32 v2, v2, v19, v9
	v_div_fixup_f32 v14, v2, v8, 1.0
	v_fma_f32 v2, -v1, v5, 1.0
	v_fmac_f32_e32 v5, v2, v5
	v_div_scale_f32 v2, vcc, 1.0, v17, 1.0
	v_mul_f32_e32 v8, v2, v5
	v_fma_f32 v9, -v1, v8, v2
	v_fmac_f32_e32 v8, v9, v5
	v_fma_f32 v1, -v1, v8, v2
	v_div_scale_f32 v2, s[0:1], v16, v16, 1.0
	v_rcp_f32_e32 v9, v2
	v_div_fmas_f32 v1, v1, v5, v8
	v_div_fixup_f32 v17, v1, v17, 1.0
	v_fma_f32 v1, -v2, v9, 1.0
	v_fmac_f32_e32 v9, v1, v9
	v_div_scale_f32 v1, vcc, 1.0, v16, 1.0
	v_mul_f32_e32 v5, v1, v9
	v_fma_f32 v8, -v2, v5, v1
	v_fmac_f32_e32 v5, v8, v9
	v_fma_f32 v1, -v2, v5, v1
	v_div_fmas_f32 v1, v1, v9, v5
	v_div_fixup_f32 v16, v1, v16, 1.0
	global_store_dwordx4 v[6:7], v[14:17], off offset:16
	s_cbranch_scc1 .LBB114_8
; %bb.5:
	s_mov_b32 s0, 0xffff
	v_bfi_b32 v0, s0, v0, v0
	v_cvt_f32_f16_e32 v14, v0
	s_cmp_lt_i32 s9, 1
	s_load_dwordx4 s[4:7], s[4:5], 0x20
	s_cselect_b64 s[0:1], -1, 0
	v_sub_f32_e32 v0, v14, v14
	v_mul_f32_e32 v1, 0x3fb8aa3b, v0
	v_rndne_f32_e32 v2, v1
	v_sub_f32_e32 v5, v1, v2
	v_fma_f32 v1, v0, s15, -v1
	v_fmac_f32_e32 v1, 0x32a5705f, v0
	v_add_f32_e32 v1, v5, v1
	v_exp_f32_e32 v1, v1
	v_cvt_i32_f32_e32 v2, v2
	v_cmp_ngt_f32_e32 vcc, s20, v0
	v_ashrrev_i32_e32 v5, 31, v4
	s_cmp_gt_i32 s10, 0
	v_ldexp_f32 v1, v1, v2
	v_cndmask_b32_e32 v1, 0, v1, vcc
	v_cmp_nlt_f32_e32 vcc, s21, v0
	v_cndmask_b32_e32 v12, v3, v1, vcc
	v_lshlrev_b64 v[0:1], 2, v[4:5]
	s_cselect_b64 s[10:11], -1, 0
	v_mov_b32_e32 v3, s13
	v_add_co_u32_e32 v2, vcc, s12, v0
	v_mul_lo_u32 v6, v13, s14
	s_and_b64 s[10:11], s[0:1], s[10:11]
	v_addc_co_u32_e64 v3, s[0:1], v3, v1, vcc
	s_sub_i32 s0, 0, s9
	v_ashrrev_i32_e32 v7, 31, v6
	v_mov_b32_e32 v0, s0
	s_and_b64 s[0:1], s[2:3], s[10:11]
	v_lshlrev_b64 v[8:9], 2, v[6:7]
	v_mul_lo_u32 v16, v13, s8
	global_store_dword v[2:3], v12, off
	v_cndmask_b32_e64 v3, 1, v0, s[0:1]
	s_waitcnt lgkmcnt(0)
	v_mov_b32_e32 v0, s5
	v_add_co_u32_e64 v6, s[0:1], s4, v8
	v_addc_co_u32_e64 v7, s[0:1], v0, v9, s[0:1]
	v_ashrrev_i32_e32 v17, 31, v16
	global_store_dword v[6:7], v3, off
	v_lshlrev_b64 v[6:7], 2, v[16:17]
	v_mov_b32_e32 v0, s7
	v_add_co_u32_e64 v16, s[0:1], s6, v6
	v_addc_co_u32_e64 v17, s[0:1], v0, v7, s[0:1]
	s_cmp_eq_u32 s8, 1
	global_store_dword v[16:17], v13, off
	s_cbranch_scc1 .LBB114_8
; %bb.6:
	v_sub_f32_e32 v0, 0xff800000, v14
	s_mov_b32 s0, 0x3fb8aa3b
	v_mul_f32_e32 v5, 0x3fb8aa3b, v0
	v_fma_f32 v13, v0, s0, -v5
	v_rndne_f32_e32 v14, v5
	v_fmac_f32_e32 v13, 0x32a5705f, v0
	v_sub_f32_e32 v5, v5, v14
	v_add_f32_e32 v5, v5, v13
	v_exp_f32_e32 v5, v5
	v_cvt_i32_f32_e32 v13, v14
	s_mov_b32 s0, 0xc2ce8ed0
	v_cmp_ngt_f32_e64 s[0:1], s0, v0
	s_add_i32 s19, s19, s18
	v_ldexp_f32 v5, v5, v13
	v_cndmask_b32_e64 v5, 0, v5, s[0:1]
	s_mov_b32 s0, 0x42b17218
	v_mov_b32_e32 v13, 0x7f800000
	v_cmp_nlt_f32_e64 s[0:1], s0, v0
	v_cndmask_b32_e64 v5, v13, v5, s[0:1]
	v_mov_b32_e32 v0, s7
	v_add_co_u32_e64 v6, s[0:1], s6, v6
	v_addc_co_u32_e64 v0, s[0:1], v7, v0, s[0:1]
	v_add_co_u32_e64 v6, s[0:1], 4, v6
	v_addc_co_u32_e64 v7, s[0:1], 0, v0, s[0:1]
	v_mov_b32_e32 v0, s5
	v_add_co_u32_e64 v8, s[0:1], s4, v8
	v_addc_co_u32_e64 v0, s[0:1], v9, v0, s[0:1]
	v_add_co_u32_e64 v8, s[0:1], 4, v8
	v_addc_co_u32_e64 v9, s[0:1], 0, v0, s[0:1]
	v_mov_b32_e32 v0, s13
	v_addc_co_u32_e32 v1, vcc, v1, v0, vcc
	v_add_co_u32_e32 v0, vcc, 4, v2
	v_addc_co_u32_e32 v1, vcc, 0, v1, vcc
	s_add_i32 s0, s8, -1
	v_add3_u32 v2, s19, v11, v10
.LBB114_7:                              ; =>This Inner Loop Header: Depth=1
	global_store_dword v[0:1], v5, off
	global_store_dword v[8:9], v3, off
	;; [unrolled: 1-line block ×3, first 2 shown]
	v_add_co_u32_e32 v6, vcc, 4, v6
	v_addc_co_u32_e32 v7, vcc, 0, v7, vcc
	v_add_co_u32_e32 v8, vcc, 4, v8
	v_addc_co_u32_e32 v9, vcc, 0, v9, vcc
	v_add_co_u32_e32 v0, vcc, 4, v0
	s_add_i32 s0, s0, -1
	v_add_f32_e32 v12, v12, v5
	v_addc_co_u32_e32 v1, vcc, 0, v1, vcc
	s_cmp_eq_u32 s0, 0
	v_add_u32_e32 v2, s18, v2
	s_cbranch_scc0 .LBB114_7
.LBB114_8:
	v_cmp_neq_f32_e32 vcc, 0, v12
	s_and_b64 exec, exec, vcc
	s_cbranch_execz .LBB114_19
; %bb.9:
	s_andn2_b64 vcc, exec, s[16:17]
	s_cbranch_vccnz .LBB114_19
; %bb.10:
	v_div_scale_f32 v0, s[0:1], v12, v12, 1.0
	v_rcp_f32_e32 v1, v0
	v_div_scale_f32 v2, vcc, 1.0, v12, 1.0
	s_cmp_gt_u32 s8, 3
	v_fma_f32 v3, -v0, v1, 1.0
	v_fmac_f32_e32 v1, v3, v1
	v_mul_f32_e32 v3, v2, v1
	v_fma_f32 v5, -v0, v3, v2
	v_fmac_f32_e32 v3, v5, v1
	v_fma_f32 v0, -v0, v3, v2
	v_div_fmas_f32 v0, v0, v1, v3
	v_div_fixup_f32 v0, v0, v12, 1.0
	v_ashrrev_i32_e32 v5, 31, v4
	s_cbranch_scc0 .LBB114_14
; %bb.11:
	v_lshlrev_b64 v[2:3], 2, v[4:5]
	v_mov_b32_e32 v6, s13
	v_add_co_u32_e32 v2, vcc, s12, v2
	v_addc_co_u32_e32 v3, vcc, v3, v6, vcc
	s_and_b32 s4, s8, 0x7ffffffc
	v_add_co_u32_e32 v2, vcc, 8, v2
	v_mov_b32_e32 v1, v0
	v_addc_co_u32_e32 v3, vcc, 0, v3, vcc
	s_mov_b32 s0, s4
.LBB114_12:                             ; =>This Inner Loop Header: Depth=1
	global_load_dwordx4 v[6:9], v[2:3], off offset:-8
	s_add_i32 s0, s0, -4
	s_cmp_lg_u32 s0, 0
	s_waitcnt vmcnt(0)
	v_pk_mul_f32 v[6:7], v[0:1], v[6:7]
	v_pk_mul_f32 v[8:9], v[0:1], v[8:9]
	global_store_dwordx4 v[2:3], v[6:9], off offset:-8
	v_add_co_u32_e32 v2, vcc, 16, v2
	v_addc_co_u32_e32 v3, vcc, 0, v3, vcc
	s_cbranch_scc1 .LBB114_12
; %bb.13:
	s_cmp_lg_u32 s4, s8
	s_cselect_b64 s[0:1], -1, 0
	s_branch .LBB114_16
.LBB114_14:
	s_mov_b64 s[0:1], 0
                                        ; implicit-def: $sgpr4
	s_cbranch_execz .LBB114_16
; %bb.15:
	s_mov_b64 s[0:1], -1
	s_mov_b32 s4, 0
.LBB114_16:
	s_andn2_b64 vcc, exec, s[0:1]
	s_cbranch_vccnz .LBB114_19
; %bb.17:
	v_add_co_u32_e32 v2, vcc, s4, v4
	v_addc_co_u32_e32 v3, vcc, 0, v5, vcc
	v_lshlrev_b64 v[2:3], 2, v[2:3]
	v_mov_b32_e32 v1, s13
	v_add_co_u32_e32 v2, vcc, s12, v2
	s_sub_i32 s0, s8, s4
	v_addc_co_u32_e32 v3, vcc, v1, v3, vcc
.LBB114_18:                             ; =>This Inner Loop Header: Depth=1
	global_load_dword v1, v[2:3], off
	s_add_i32 s0, s0, -1
	s_cmp_lg_u32 s0, 0
	s_waitcnt vmcnt(0)
	v_mul_f32_e32 v1, v0, v1
	global_store_dword v[2:3], v1, off
	v_add_co_u32_e32 v2, vcc, 4, v2
	v_addc_co_u32_e32 v3, vcc, 0, v3, vcc
	s_cbranch_scc1 .LBB114_18
.LBB114_19:
	s_endpgm
	.section	.rodata,"a",@progbits
	.p2align	6, 0x0
	.amdhsa_kernel _ZN4vllm3moe17topkGatingSoftmaxIDF16_Li1ELi1ELi8ELi2ELb1ELi8ELNS0_23SharedExpertScoringFuncE1EEEvPKT_PKbPfiPiS9_iiiiii
		.amdhsa_group_segment_fixed_size 0
		.amdhsa_private_segment_fixed_size 0
		.amdhsa_kernarg_size 72
		.amdhsa_user_sgpr_count 6
		.amdhsa_user_sgpr_private_segment_buffer 1
		.amdhsa_user_sgpr_dispatch_ptr 0
		.amdhsa_user_sgpr_queue_ptr 0
		.amdhsa_user_sgpr_kernarg_segment_ptr 1
		.amdhsa_user_sgpr_dispatch_id 0
		.amdhsa_user_sgpr_flat_scratch_init 0
		.amdhsa_user_sgpr_kernarg_preload_length 0
		.amdhsa_user_sgpr_kernarg_preload_offset 0
		.amdhsa_user_sgpr_private_segment_size 0
		.amdhsa_uses_dynamic_stack 0
		.amdhsa_system_sgpr_private_segment_wavefront_offset 0
		.amdhsa_system_sgpr_workgroup_id_x 1
		.amdhsa_system_sgpr_workgroup_id_y 0
		.amdhsa_system_sgpr_workgroup_id_z 0
		.amdhsa_system_sgpr_workgroup_info 0
		.amdhsa_system_vgpr_workitem_id 1
		.amdhsa_next_free_vgpr 29
		.amdhsa_next_free_sgpr 22
		.amdhsa_accum_offset 32
		.amdhsa_reserve_vcc 1
		.amdhsa_reserve_flat_scratch 0
		.amdhsa_float_round_mode_32 0
		.amdhsa_float_round_mode_16_64 0
		.amdhsa_float_denorm_mode_32 3
		.amdhsa_float_denorm_mode_16_64 3
		.amdhsa_dx10_clamp 1
		.amdhsa_ieee_mode 1
		.amdhsa_fp16_overflow 0
		.amdhsa_tg_split 0
		.amdhsa_exception_fp_ieee_invalid_op 0
		.amdhsa_exception_fp_denorm_src 0
		.amdhsa_exception_fp_ieee_div_zero 0
		.amdhsa_exception_fp_ieee_overflow 0
		.amdhsa_exception_fp_ieee_underflow 0
		.amdhsa_exception_fp_ieee_inexact 0
		.amdhsa_exception_int_div_zero 0
	.end_amdhsa_kernel
	.section	.text._ZN4vllm3moe17topkGatingSoftmaxIDF16_Li1ELi1ELi8ELi2ELb1ELi8ELNS0_23SharedExpertScoringFuncE1EEEvPKT_PKbPfiPiS9_iiiiii,"axG",@progbits,_ZN4vllm3moe17topkGatingSoftmaxIDF16_Li1ELi1ELi8ELi2ELb1ELi8ELNS0_23SharedExpertScoringFuncE1EEEvPKT_PKbPfiPiS9_iiiiii,comdat
.Lfunc_end114:
	.size	_ZN4vllm3moe17topkGatingSoftmaxIDF16_Li1ELi1ELi8ELi2ELb1ELi8ELNS0_23SharedExpertScoringFuncE1EEEvPKT_PKbPfiPiS9_iiiiii, .Lfunc_end114-_ZN4vllm3moe17topkGatingSoftmaxIDF16_Li1ELi1ELi8ELi2ELb1ELi8ELNS0_23SharedExpertScoringFuncE1EEEvPKT_PKbPfiPiS9_iiiiii
                                        ; -- End function
	.section	.AMDGPU.csdata,"",@progbits
; Kernel info:
; codeLenInByte = 2520
; NumSgprs: 26
; NumVgprs: 29
; NumAgprs: 0
; TotalNumVgprs: 29
; ScratchSize: 0
; MemoryBound: 0
; FloatMode: 240
; IeeeMode: 1
; LDSByteSize: 0 bytes/workgroup (compile time only)
; SGPRBlocks: 3
; VGPRBlocks: 3
; NumSGPRsForWavesPerEU: 26
; NumVGPRsForWavesPerEU: 29
; AccumOffset: 32
; Occupancy: 8
; WaveLimiterHint : 0
; COMPUTE_PGM_RSRC2:SCRATCH_EN: 0
; COMPUTE_PGM_RSRC2:USER_SGPR: 6
; COMPUTE_PGM_RSRC2:TRAP_HANDLER: 0
; COMPUTE_PGM_RSRC2:TGID_X_EN: 1
; COMPUTE_PGM_RSRC2:TGID_Y_EN: 0
; COMPUTE_PGM_RSRC2:TGID_Z_EN: 0
; COMPUTE_PGM_RSRC2:TIDIG_COMP_CNT: 1
; COMPUTE_PGM_RSRC3_GFX90A:ACCUM_OFFSET: 7
; COMPUTE_PGM_RSRC3_GFX90A:TG_SPLIT: 0
	.section	.text._ZN4vllm3moe17topkGatingSoftmaxIDF16_Li1ELi1ELi8ELi2ELb0ELi8ELNS0_23SharedExpertScoringFuncE1EEEvPKT_PKbPfiPiS9_iiiiii,"axG",@progbits,_ZN4vllm3moe17topkGatingSoftmaxIDF16_Li1ELi1ELi8ELi2ELb0ELi8ELNS0_23SharedExpertScoringFuncE1EEEvPKT_PKbPfiPiS9_iiiiii,comdat
	.protected	_ZN4vllm3moe17topkGatingSoftmaxIDF16_Li1ELi1ELi8ELi2ELb0ELi8ELNS0_23SharedExpertScoringFuncE1EEEvPKT_PKbPfiPiS9_iiiiii ; -- Begin function _ZN4vllm3moe17topkGatingSoftmaxIDF16_Li1ELi1ELi8ELi2ELb0ELi8ELNS0_23SharedExpertScoringFuncE1EEEvPKT_PKbPfiPiS9_iiiiii
	.globl	_ZN4vllm3moe17topkGatingSoftmaxIDF16_Li1ELi1ELi8ELi2ELb0ELi8ELNS0_23SharedExpertScoringFuncE1EEEvPKT_PKbPfiPiS9_iiiiii
	.p2align	8
	.type	_ZN4vllm3moe17topkGatingSoftmaxIDF16_Li1ELi1ELi8ELi2ELb0ELi8ELNS0_23SharedExpertScoringFuncE1EEEvPKT_PKbPfiPiS9_iiiiii,@function
_ZN4vllm3moe17topkGatingSoftmaxIDF16_Li1ELi1ELi8ELi2ELb0ELi8ELNS0_23SharedExpertScoringFuncE1EEEvPKT_PKbPfiPiS9_iiiiii: ; @_ZN4vllm3moe17topkGatingSoftmaxIDF16_Li1ELi1ELi8ELi2ELb0ELi8ELNS0_23SharedExpertScoringFuncE1EEEvPKT_PKbPfiPiS9_iiiiii
; %bb.0:
	s_load_dword s18, s[4:5], 0x18
	v_bfe_u32 v1, v0, 10, 10
	s_lshl_b32 s19, s6, 9
	v_lshlrev_b32_e32 v10, 6, v1
	v_and_b32_e32 v11, 0x3ff, v0
	v_add3_u32 v12, v10, v11, s19
	s_waitcnt lgkmcnt(0)
	v_cmp_gt_i32_e32 vcc, s18, v12
	s_and_saveexec_b64 s[0:1], vcc
	s_cbranch_execz .LBB115_20
; %bb.1:
	s_load_dwordx4 s[0:3], s[4:5], 0x0
	s_load_dwordx2 s[12:13], s[4:5], 0x10
	s_waitcnt lgkmcnt(0)
	s_cmp_eq_u64 s[2:3], 0
	s_cbranch_scc1 .LBB115_3
; %bb.2:
	v_ashrrev_i32_e32 v1, 31, v12
	v_mov_b32_e32 v2, s3
	v_add_co_u32_e32 v0, vcc, s2, v12
	v_addc_co_u32_e32 v1, vcc, v2, v1, vcc
	global_load_ubyte v0, v[0:1], off
	s_waitcnt vmcnt(0)
	v_and_b32_e32 v0, 1, v0
	v_cmp_eq_u32_e32 vcc, 1, v0
	s_xor_b64 s[2:3], vcc, -1
	s_orn2_b64 s[2:3], s[2:3], exec
	s_branch .LBB115_4
.LBB115_3:
	s_mov_b64 s[2:3], -1
.LBB115_4:
	s_load_dwordx2 s[14:15], s[4:5], 0x40
	s_load_dwordx4 s[8:11], s[4:5], 0x30
	v_mov_b32_e32 v2, s1
	s_mov_b32 s21, 0x3fb8aa3b
	s_mov_b32 s6, 0x32a5705f
	s_waitcnt lgkmcnt(0)
	v_mul_lo_u32 v0, v12, s15
	v_ashrrev_i32_e32 v1, 31, v0
	v_lshlrev_b64 v[0:1], 1, v[0:1]
	v_add_co_u32_e32 v0, vcc, s0, v0
	v_addc_co_u32_e32 v1, vcc, v2, v1, vcc
	global_load_dword v15, v[0:1], off offset:14
	global_load_dwordx3 v[6:8], v[0:1], off
	global_load_ushort v9, v[0:1], off offset:12
	v_mul_lo_u32 v0, v12, s11
	v_add_u32_e32 v2, s8, v0
	v_ashrrev_i32_e32 v3, 31, v2
	v_lshlrev_b64 v[2:3], 2, v[2:3]
	v_mov_b32_e32 v1, s13
	v_add_co_u32_e32 v16, vcc, s12, v2
	v_addc_co_u32_e32 v17, vcc, v1, v3, vcc
	s_mov_b32 s15, 0xc2ce8ed0
	s_mov_b32 s20, 0x42b17218
	v_mov_b32_e32 v13, 0x7f800000
	s_cmp_gt_i32 s8, 0
	v_mov_b32_e32 v14, 0
	s_cselect_b64 s[16:17], -1, 0
	s_cmp_lt_i32 s8, 1
	s_waitcnt vmcnt(1)
	v_cvt_f32_f16_e64 v1, -v7
	v_cvt_f32_f16_sdwa v2, -v6 dst_sel:DWORD dst_unused:UNUSED_PAD src0_sel:WORD_1
	v_cvt_f32_f16_e64 v4, -v8
	v_cvt_f32_f16_sdwa v18, -v7 dst_sel:DWORD dst_unused:UNUSED_PAD src0_sel:WORD_1
	v_mul_f32_e32 v3, 0x3fb8aa3b, v1
	v_mul_f32_e32 v5, 0x3fb8aa3b, v2
	v_fma_mix_f32 v21, -v7, s21, -v3 op_sel_hi:[1,0,0]
	v_rndne_f32_e32 v22, v3
	v_mul_f32_e32 v19, 0x3fb8aa3b, v4
	v_fma_mix_f32 v23, -v6, s21, -v5 op_sel:[1,0,0] op_sel_hi:[1,0,0]
	v_rndne_f32_e32 v24, v5
	v_fma_mix_f32 v21, -v7, s6, v21 op_sel_hi:[1,0,0]
	v_sub_f32_e32 v3, v3, v22
	v_mul_f32_e32 v20, 0x3fb8aa3b, v18
	v_fma_mix_f32 v25, -v8, s21, -v19 op_sel_hi:[1,0,0]
	v_rndne_f32_e32 v26, v19
	v_fma_mix_f32 v23, -v6, s6, v23 op_sel:[1,0,0] op_sel_hi:[1,0,0]
	v_sub_f32_e32 v5, v5, v24
	v_add_f32_e32 v3, v3, v21
	v_fma_mix_f32 v27, -v7, s21, -v20 op_sel:[1,0,0] op_sel_hi:[1,0,0]
	v_rndne_f32_e32 v28, v20
	v_cvt_i32_f32_e32 v22, v22
	v_fma_mix_f32 v25, -v8, s6, v25 op_sel_hi:[1,0,0]
	v_sub_f32_e32 v19, v19, v26
	v_add_f32_e32 v5, v5, v23
	v_exp_f32_e32 v3, v3
	v_cvt_i32_f32_e32 v24, v24
	v_fma_mix_f32 v7, -v7, s6, v27 op_sel:[1,0,0] op_sel_hi:[1,0,0]
	v_sub_f32_e32 v20, v20, v28
	v_add_f32_e32 v19, v19, v25
	v_exp_f32_e32 v5, v5
	v_cvt_i32_f32_e32 v26, v26
	v_add_f32_e32 v7, v20, v7
	v_exp_f32_e32 v19, v19
	v_cvt_i32_f32_e32 v27, v28
	v_exp_f32_e32 v7, v7
	v_ldexp_f32 v3, v3, v22
	v_cmp_ngt_f32_e32 vcc, s15, v1
	v_ldexp_f32 v5, v5, v24
	v_cndmask_b32_e32 v3, 0, v3, vcc
	v_cmp_ngt_f32_e32 vcc, s15, v2
	v_ldexp_f32 v19, v19, v26
	v_cndmask_b32_e32 v5, 0, v5, vcc
	;; [unrolled: 3-line block ×3, first 2 shown]
	v_cmp_ngt_f32_e32 vcc, s15, v18
	v_cndmask_b32_e32 v7, 0, v7, vcc
	v_cmp_nlt_f32_e32 vcc, s20, v1
	v_cndmask_b32_e32 v3, v13, v3, vcc
	v_cmp_nlt_f32_e32 vcc, s20, v2
	;; [unrolled: 2-line block ×4, first 2 shown]
	v_pk_add_f32 v[2:3], v[2:3], 1.0 op_sel_hi:[1,0]
	v_cndmask_b32_e32 v4, v13, v7, vcc
	v_div_scale_f32 v1, s[0:1], v3, v3, 1.0
	v_pk_add_f32 v[4:5], v[4:5], 1.0 op_sel_hi:[1,0]
	v_div_scale_f32 v18, s[0:1], v2, v2, 1.0
	v_rcp_f32_e32 v20, v1
	v_div_scale_f32 v19, s[0:1], v5, v5, 1.0
	v_rcp_f32_e32 v21, v18
	v_rcp_f32_e32 v22, v19
	v_fma_f32 v24, -v1, v20, 1.0
	v_div_scale_f32 v7, vcc, 1.0, v3, 1.0
	v_fma_f32 v25, -v18, v21, 1.0
	v_fmac_f32_e32 v20, v24, v20
	v_div_scale_f32 v23, s[0:1], 1.0, v2, 1.0
	v_fma_f32 v26, -v19, v22, 1.0
	v_fmac_f32_e32 v21, v25, v21
	v_mul_f32_e32 v24, v7, v20
	v_fmac_f32_e32 v22, v26, v22
	v_mul_f32_e32 v25, v23, v21
	v_fma_f32 v26, -v1, v24, v7
	v_fma_f32 v27, -v18, v25, v23
	v_fmac_f32_e32 v24, v26, v20
	v_fmac_f32_e32 v25, v27, v21
	v_fma_f32 v1, -v1, v24, v7
	v_fma_f32 v7, -v18, v25, v23
	v_div_fmas_f32 v1, v1, v20, v24
	s_mov_b64 vcc, s[0:1]
	v_div_fixup_f32 v3, v1, v3, 1.0
	v_div_fmas_f32 v1, v7, v21, v25
	v_div_fixup_f32 v2, v1, v2, 1.0
	v_div_scale_f32 v1, vcc, 1.0, v5, 1.0
	v_mul_f32_e32 v7, v1, v22
	v_fma_f32 v18, -v19, v7, v1
	v_fmac_f32_e32 v7, v18, v22
	v_div_scale_f32 v18, s[0:1], v4, v4, 1.0
	v_fma_f32 v1, -v19, v7, v1
	v_rcp_f32_e32 v19, v18
	v_div_fmas_f32 v1, v1, v22, v7
	v_div_fixup_f32 v5, v1, v5, 1.0
	v_div_scale_f32 v7, vcc, 1.0, v4, 1.0
	v_fma_f32 v1, -v18, v19, 1.0
	v_fmac_f32_e32 v19, v1, v19
	s_waitcnt vmcnt(0)
	v_cvt_f32_f16_e64 v1, -v9
	v_mul_f32_e32 v20, v7, v19
	v_fma_f32 v21, -v18, v20, v7
	v_fmac_f32_e32 v20, v21, v19
	v_mul_f32_e32 v22, 0x3fb8aa3b, v1
	v_fma_mix_f32 v23, -v9, s21, -v22 op_sel_hi:[1,0,0]
	v_fma_mix_f32 v9, -v9, s6, v23 op_sel_hi:[1,0,0]
	v_rndne_f32_e32 v23, v22
	v_sub_f32_e32 v22, v22, v23
	v_add_f32_e32 v9, v22, v9
	v_cvt_i32_f32_e32 v22, v23
	v_cvt_f32_f16_sdwa v23, -v8 dst_sel:DWORD dst_unused:UNUSED_PAD src0_sel:WORD_1
	v_fma_f32 v7, -v18, v20, v7
	v_exp_f32_e32 v9, v9
	v_cmp_ngt_f32_e64 s[0:1], s15, v1
	v_mul_f32_e32 v18, 0x3fb8aa3b, v23
	v_fma_mix_f32 v21, -v8, s21, -v18 op_sel:[1,0,0] op_sel_hi:[1,0,0]
	v_fma_mix_f32 v8, -v8, s6, v21 op_sel:[1,0,0] op_sel_hi:[1,0,0]
	v_rndne_f32_e32 v21, v18
	v_sub_f32_e32 v18, v18, v21
	v_add_f32_e32 v8, v18, v8
	v_exp_f32_e32 v8, v8
	v_cvt_i32_f32_e32 v18, v21
	v_ldexp_f32 v9, v9, v22
	v_cndmask_b32_e64 v9, 0, v9, s[0:1]
	v_cmp_nlt_f32_e64 s[0:1], s20, v1
	v_cndmask_b32_e64 v9, v13, v9, s[0:1]
	v_ldexp_f32 v1, v8, v18
	v_cmp_ngt_f32_e64 s[0:1], s15, v23
	v_cndmask_b32_e64 v1, 0, v1, s[0:1]
	v_cmp_nlt_f32_e64 s[0:1], s20, v23
	v_cndmask_b32_e64 v8, v13, v1, s[0:1]
	v_pk_add_f32 v[8:9], v[8:9], 1.0 op_sel_hi:[1,0]
	v_div_scale_f32 v1, s[0:1], v9, v9, 1.0
	v_rcp_f32_e32 v18, v1
	v_div_fmas_f32 v7, v7, v19, v20
	v_div_fixup_f32 v4, v7, v4, 1.0
	global_store_dwordx4 v[16:17], v[2:5], off
	s_nop 0
	v_fma_f32 v2, -v1, v18, 1.0
	v_fmac_f32_e32 v18, v2, v18
	v_div_scale_f32 v2, vcc, 1.0, v9, 1.0
	v_mul_f32_e32 v3, v2, v18
	v_fma_f32 v4, -v1, v3, v2
	v_fmac_f32_e32 v3, v4, v18
	v_fma_f32 v1, -v1, v3, v2
	v_div_scale_f32 v2, s[0:1], v8, v8, 1.0
	v_rcp_f32_e32 v7, v2
	v_div_fmas_f32 v1, v1, v18, v3
	v_div_fixup_f32 v3, v1, v9, 1.0
	v_div_scale_f32 v4, vcc, 1.0, v8, 1.0
	v_fma_f32 v1, -v2, v7, 1.0
	v_fmac_f32_e32 v7, v1, v7
	v_cvt_f32_f16_e64 v1, -v15
	v_mul_f32_e32 v9, v4, v7
	v_fma_f32 v5, -v2, v9, v4
	v_fmac_f32_e32 v9, v5, v7
	v_mul_f32_e32 v18, 0x3fb8aa3b, v1
	v_fma_mix_f32 v19, -v15, s21, -v18 op_sel_hi:[1,0,0]
	v_rndne_f32_e32 v20, v18
	v_fma_mix_f32 v19, -v15, s6, v19 op_sel_hi:[1,0,0]
	v_sub_f32_e32 v18, v18, v20
	v_add_f32_e32 v18, v18, v19
	v_cvt_i32_f32_e32 v19, v20
	v_cvt_f32_f16_sdwa v20, -v15 dst_sel:DWORD dst_unused:UNUSED_PAD src0_sel:WORD_1
	v_exp_f32_e32 v18, v18
	v_fma_f32 v2, -v2, v9, v4
	v_cmp_ngt_f32_e64 s[0:1], s15, v1
	v_mul_f32_e32 v5, 0x3fb8aa3b, v20
	v_ldexp_f32 v4, v18, v19
	v_fma_mix_f32 v18, -v15, s21, -v5 op_sel:[1,0,0] op_sel_hi:[1,0,0]
	v_fma_mix_f32 v15, -v15, s6, v18 op_sel:[1,0,0] op_sel_hi:[1,0,0]
	v_rndne_f32_e32 v18, v5
	v_sub_f32_e32 v5, v5, v18
	v_add_f32_e32 v5, v5, v15
	v_exp_f32_e32 v5, v5
	v_cvt_i32_f32_e32 v15, v18
	v_cndmask_b32_e64 v4, 0, v4, s[0:1]
	v_cmp_nlt_f32_e64 s[0:1], s20, v1
	v_cndmask_b32_e64 v4, v13, v4, s[0:1]
	v_ldexp_f32 v1, v5, v15
	v_cmp_ngt_f32_e64 s[0:1], s15, v20
	v_cndmask_b32_e64 v1, 0, v1, s[0:1]
	v_cmp_nlt_f32_e64 s[0:1], s20, v20
	v_cndmask_b32_e64 v5, v13, v1, s[0:1]
	v_pk_add_f32 v[4:5], v[4:5], 1.0 op_sel_hi:[1,0]
	v_div_scale_f32 v1, s[0:1], v5, v5, 1.0
	v_rcp_f32_e32 v15, v1
	v_div_fmas_f32 v2, v2, v7, v9
	v_div_fixup_f32 v2, v2, v8, 1.0
	v_fma_f32 v7, -v1, v15, 1.0
	v_fmac_f32_e32 v15, v7, v15
	v_div_scale_f32 v7, vcc, 1.0, v5, 1.0
	v_mul_f32_e32 v8, v7, v15
	v_fma_f32 v9, -v1, v8, v7
	v_fmac_f32_e32 v8, v9, v15
	v_fma_f32 v1, -v1, v8, v7
	v_div_scale_f32 v7, s[0:1], v4, v4, 1.0
	v_rcp_f32_e32 v9, v7
	v_div_fmas_f32 v1, v1, v15, v8
	v_div_fixup_f32 v5, v1, v5, 1.0
	v_fma_f32 v1, -v7, v9, 1.0
	v_fmac_f32_e32 v9, v1, v9
	v_div_scale_f32 v1, vcc, 1.0, v4, 1.0
	v_mul_f32_e32 v8, v1, v9
	v_fma_f32 v15, -v7, v8, v1
	v_fmac_f32_e32 v8, v15, v9
	v_cvt_f32_f16_e32 v15, v6
	v_fma_f32 v1, -v7, v8, v1
	v_div_fmas_f32 v1, v1, v9, v8
	v_div_fixup_f32 v4, v1, v4, 1.0
	v_mov_b32_e32 v1, v15
	global_store_dwordx4 v[16:17], v[2:5], off offset:16
	s_cbranch_scc1 .LBB115_9
; %bb.5:
	v_sub_f32_e32 v1, v15, v15
	v_mul_f32_e32 v2, 0x3fb8aa3b, v1
	v_rndne_f32_e32 v3, v2
	v_sub_f32_e32 v4, v2, v3
	v_fma_f32 v2, v1, s21, -v2
	v_fmac_f32_e32 v2, 0x32a5705f, v1
	v_add_f32_e32 v2, v4, v2
	v_exp_f32_e32 v2, v2
	v_cvt_i32_f32_e32 v3, v3
	v_cmp_ngt_f32_e32 vcc, s15, v1
	s_cmp_lt_i32 s9, 1
	s_load_dwordx4 s[4:7], s[4:5], 0x20
	v_ldexp_f32 v2, v2, v3
	v_cndmask_b32_e32 v2, 0, v2, vcc
	v_cmp_nlt_f32_e32 vcc, s20, v1
	v_ashrrev_i32_e32 v1, 31, v0
	s_cselect_b64 s[0:1], -1, 0
	s_cmp_gt_i32 s10, 0
	v_cndmask_b32_e32 v14, v13, v2, vcc
	v_lshlrev_b64 v[2:3], 2, v[0:1]
	s_cselect_b64 s[10:11], -1, 0
	v_mov_b32_e32 v1, s13
	v_add_co_u32_e32 v4, vcc, s12, v2
	v_mul_lo_u32 v6, v12, s14
	s_and_b64 s[10:11], s[0:1], s[10:11]
	v_addc_co_u32_e64 v5, s[0:1], v1, v3, vcc
	s_sub_i32 s0, 0, s9
	v_ashrrev_i32_e32 v7, 31, v6
	v_mov_b32_e32 v1, s0
	s_and_b64 s[0:1], s[2:3], s[10:11]
	v_lshlrev_b64 v[8:9], 2, v[6:7]
	v_mul_lo_u32 v16, v12, s8
	v_cndmask_b32_e64 v1, 1, v1, s[0:1]
	s_waitcnt lgkmcnt(0)
	v_mov_b32_e32 v2, s5
	v_add_co_u32_e64 v6, s[0:1], s4, v8
	v_addc_co_u32_e64 v7, s[0:1], v2, v9, s[0:1]
	v_ashrrev_i32_e32 v17, 31, v16
	global_store_dword v[6:7], v1, off
	v_lshlrev_b64 v[6:7], 2, v[16:17]
	v_mov_b32_e32 v2, s7
	v_add_co_u32_e64 v16, s[0:1], s6, v6
	v_addc_co_u32_e64 v17, s[0:1], v2, v7, s[0:1]
	s_cmp_eq_u32 s8, 1
	global_store_dword v[4:5], v14, off
	global_store_dword v[16:17], v12, off
	s_cbranch_scc1 .LBB115_8
; %bb.6:
	v_sub_f32_e32 v2, 0xff800000, v15
	s_mov_b32 s0, 0x3fb8aa3b
	v_mul_f32_e32 v5, 0x3fb8aa3b, v2
	v_fma_f32 v12, v2, s0, -v5
	v_rndne_f32_e32 v16, v5
	v_fmac_f32_e32 v12, 0x32a5705f, v2
	v_sub_f32_e32 v5, v5, v16
	v_add_f32_e32 v5, v5, v12
	v_exp_f32_e32 v5, v5
	v_cvt_i32_f32_e32 v12, v16
	s_mov_b32 s0, 0xc2ce8ed0
	v_cmp_ngt_f32_e64 s[0:1], s0, v2
	s_add_i32 s19, s19, s18
	v_ldexp_f32 v5, v5, v12
	v_cndmask_b32_e64 v5, 0, v5, s[0:1]
	s_mov_b32 s0, 0x42b17218
	v_mov_b32_e32 v12, 0x7f800000
	v_cmp_nlt_f32_e64 s[0:1], s0, v2
	v_cndmask_b32_e64 v5, v12, v5, s[0:1]
	v_mov_b32_e32 v2, s7
	v_add_co_u32_e64 v6, s[0:1], s6, v6
	v_addc_co_u32_e64 v2, s[0:1], v7, v2, s[0:1]
	v_add_co_u32_e64 v6, s[0:1], 4, v6
	v_addc_co_u32_e64 v7, s[0:1], 0, v2, s[0:1]
	v_mov_b32_e32 v2, s5
	v_add_co_u32_e64 v8, s[0:1], s4, v8
	v_addc_co_u32_e64 v2, s[0:1], v9, v2, s[0:1]
	v_add_co_u32_e64 v8, s[0:1], 4, v8
	v_addc_co_u32_e64 v9, s[0:1], 0, v2, s[0:1]
	v_mov_b32_e32 v2, s13
	v_addc_co_u32_e32 v3, vcc, v3, v2, vcc
	v_add_co_u32_e32 v2, vcc, 4, v4
	v_addc_co_u32_e32 v3, vcc, 0, v3, vcc
	s_add_i32 s0, s8, -1
	v_add3_u32 v4, s19, v11, v10
.LBB115_7:                              ; =>This Inner Loop Header: Depth=1
	global_store_dword v[2:3], v5, off
	global_store_dword v[8:9], v1, off
	;; [unrolled: 1-line block ×3, first 2 shown]
	v_add_co_u32_e32 v6, vcc, 4, v6
	v_addc_co_u32_e32 v7, vcc, 0, v7, vcc
	v_add_co_u32_e32 v8, vcc, 4, v8
	v_addc_co_u32_e32 v9, vcc, 0, v9, vcc
	v_add_co_u32_e32 v2, vcc, 4, v2
	s_add_i32 s0, s0, -1
	v_add_f32_e32 v14, v14, v5
	v_addc_co_u32_e32 v3, vcc, 0, v3, vcc
	s_cmp_eq_u32 s0, 0
	v_add_u32_e32 v4, s18, v4
	s_cbranch_scc0 .LBB115_7
.LBB115_8:
	v_mov_b32_e32 v1, 0xff800000
.LBB115_9:
	v_sub_f32_e32 v1, v1, v15
	v_mul_f32_e32 v2, 0x3fb8aa3b, v1
	v_fma_f32 v3, v1, s21, -v2
	v_rndne_f32_e32 v4, v2
	v_fmac_f32_e32 v3, 0x32a5705f, v1
	v_sub_f32_e32 v2, v2, v4
	v_add_f32_e32 v2, v2, v3
	v_cvt_i32_f32_e32 v3, v4
	v_exp_f32_e32 v2, v2
	v_cmp_ngt_f32_e32 vcc, s15, v1
	v_ldexp_f32 v2, v2, v3
	v_cndmask_b32_e32 v2, 0, v2, vcc
	v_cmp_nlt_f32_e32 vcc, s20, v1
	v_cndmask_b32_e32 v1, v13, v2, vcc
	v_add_f32_e32 v1, v14, v1
	v_cmp_neq_f32_e32 vcc, 0, v1
	s_and_b64 exec, exec, vcc
	s_cbranch_execz .LBB115_20
; %bb.10:
	s_andn2_b64 vcc, exec, s[16:17]
	s_cbranch_vccnz .LBB115_20
; %bb.11:
	v_div_scale_f32 v2, s[0:1], v1, v1, 1.0
	v_rcp_f32_e32 v3, v2
	v_div_scale_f32 v4, vcc, 1.0, v1, 1.0
	s_cmp_gt_u32 s8, 3
	v_fma_f32 v5, -v2, v3, 1.0
	v_fmac_f32_e32 v3, v5, v3
	v_mul_f32_e32 v5, v4, v3
	v_fma_f32 v6, -v2, v5, v4
	v_fmac_f32_e32 v5, v6, v3
	v_fma_f32 v2, -v2, v5, v4
	v_div_fmas_f32 v2, v2, v3, v5
	v_div_fixup_f32 v2, v2, v1, 1.0
	v_ashrrev_i32_e32 v1, 31, v0
	s_cbranch_scc0 .LBB115_15
; %bb.12:
	v_lshlrev_b64 v[4:5], 2, v[0:1]
	v_mov_b32_e32 v6, s13
	v_add_co_u32_e32 v4, vcc, s12, v4
	v_addc_co_u32_e32 v5, vcc, v5, v6, vcc
	s_and_b32 s4, s8, 0x7ffffffc
	v_add_co_u32_e32 v4, vcc, 8, v4
	v_mov_b32_e32 v3, v2
	v_addc_co_u32_e32 v5, vcc, 0, v5, vcc
	s_mov_b32 s0, s4
.LBB115_13:                             ; =>This Inner Loop Header: Depth=1
	global_load_dwordx4 v[6:9], v[4:5], off offset:-8
	s_add_i32 s0, s0, -4
	s_cmp_lg_u32 s0, 0
	s_waitcnt vmcnt(0)
	v_pk_mul_f32 v[6:7], v[2:3], v[6:7]
	v_pk_mul_f32 v[8:9], v[2:3], v[8:9]
	global_store_dwordx4 v[4:5], v[6:9], off offset:-8
	v_add_co_u32_e32 v4, vcc, 16, v4
	v_addc_co_u32_e32 v5, vcc, 0, v5, vcc
	s_cbranch_scc1 .LBB115_13
; %bb.14:
	s_cmp_lg_u32 s4, s8
	s_cselect_b64 s[0:1], -1, 0
	s_branch .LBB115_17
.LBB115_15:
	s_mov_b64 s[0:1], 0
                                        ; implicit-def: $sgpr4
	s_cbranch_execz .LBB115_17
; %bb.16:
	s_mov_b64 s[0:1], -1
	s_mov_b32 s4, 0
.LBB115_17:
	s_andn2_b64 vcc, exec, s[0:1]
	s_cbranch_vccnz .LBB115_20
; %bb.18:
	v_add_co_u32_e32 v0, vcc, s4, v0
	v_addc_co_u32_e32 v1, vcc, 0, v1, vcc
	v_lshlrev_b64 v[0:1], 2, v[0:1]
	v_mov_b32_e32 v3, s13
	v_add_co_u32_e32 v0, vcc, s12, v0
	s_sub_i32 s0, s8, s4
	v_addc_co_u32_e32 v1, vcc, v3, v1, vcc
.LBB115_19:                             ; =>This Inner Loop Header: Depth=1
	global_load_dword v3, v[0:1], off
	s_add_i32 s0, s0, -1
	s_cmp_lg_u32 s0, 0
	s_waitcnt vmcnt(0)
	v_mul_f32_e32 v3, v2, v3
	global_store_dword v[0:1], v3, off
	v_add_co_u32_e32 v0, vcc, 4, v0
	v_addc_co_u32_e32 v1, vcc, 0, v1, vcc
	s_cbranch_scc1 .LBB115_19
.LBB115_20:
	s_endpgm
	.section	.rodata,"a",@progbits
	.p2align	6, 0x0
	.amdhsa_kernel _ZN4vllm3moe17topkGatingSoftmaxIDF16_Li1ELi1ELi8ELi2ELb0ELi8ELNS0_23SharedExpertScoringFuncE1EEEvPKT_PKbPfiPiS9_iiiiii
		.amdhsa_group_segment_fixed_size 0
		.amdhsa_private_segment_fixed_size 0
		.amdhsa_kernarg_size 72
		.amdhsa_user_sgpr_count 6
		.amdhsa_user_sgpr_private_segment_buffer 1
		.amdhsa_user_sgpr_dispatch_ptr 0
		.amdhsa_user_sgpr_queue_ptr 0
		.amdhsa_user_sgpr_kernarg_segment_ptr 1
		.amdhsa_user_sgpr_dispatch_id 0
		.amdhsa_user_sgpr_flat_scratch_init 0
		.amdhsa_user_sgpr_kernarg_preload_length 0
		.amdhsa_user_sgpr_kernarg_preload_offset 0
		.amdhsa_user_sgpr_private_segment_size 0
		.amdhsa_uses_dynamic_stack 0
		.amdhsa_system_sgpr_private_segment_wavefront_offset 0
		.amdhsa_system_sgpr_workgroup_id_x 1
		.amdhsa_system_sgpr_workgroup_id_y 0
		.amdhsa_system_sgpr_workgroup_id_z 0
		.amdhsa_system_sgpr_workgroup_info 0
		.amdhsa_system_vgpr_workitem_id 1
		.amdhsa_next_free_vgpr 29
		.amdhsa_next_free_sgpr 22
		.amdhsa_accum_offset 32
		.amdhsa_reserve_vcc 1
		.amdhsa_reserve_flat_scratch 0
		.amdhsa_float_round_mode_32 0
		.amdhsa_float_round_mode_16_64 0
		.amdhsa_float_denorm_mode_32 3
		.amdhsa_float_denorm_mode_16_64 3
		.amdhsa_dx10_clamp 1
		.amdhsa_ieee_mode 1
		.amdhsa_fp16_overflow 0
		.amdhsa_tg_split 0
		.amdhsa_exception_fp_ieee_invalid_op 0
		.amdhsa_exception_fp_denorm_src 0
		.amdhsa_exception_fp_ieee_div_zero 0
		.amdhsa_exception_fp_ieee_overflow 0
		.amdhsa_exception_fp_ieee_underflow 0
		.amdhsa_exception_fp_ieee_inexact 0
		.amdhsa_exception_int_div_zero 0
	.end_amdhsa_kernel
	.section	.text._ZN4vllm3moe17topkGatingSoftmaxIDF16_Li1ELi1ELi8ELi2ELb0ELi8ELNS0_23SharedExpertScoringFuncE1EEEvPKT_PKbPfiPiS9_iiiiii,"axG",@progbits,_ZN4vllm3moe17topkGatingSoftmaxIDF16_Li1ELi1ELi8ELi2ELb0ELi8ELNS0_23SharedExpertScoringFuncE1EEEvPKT_PKbPfiPiS9_iiiiii,comdat
.Lfunc_end115:
	.size	_ZN4vllm3moe17topkGatingSoftmaxIDF16_Li1ELi1ELi8ELi2ELb0ELi8ELNS0_23SharedExpertScoringFuncE1EEEvPKT_PKbPfiPiS9_iiiiii, .Lfunc_end115-_ZN4vllm3moe17topkGatingSoftmaxIDF16_Li1ELi1ELi8ELi2ELb0ELi8ELNS0_23SharedExpertScoringFuncE1EEEvPKT_PKbPfiPiS9_iiiiii
                                        ; -- End function
	.section	.AMDGPU.csdata,"",@progbits
; Kernel info:
; codeLenInByte = 2592
; NumSgprs: 26
; NumVgprs: 29
; NumAgprs: 0
; TotalNumVgprs: 29
; ScratchSize: 0
; MemoryBound: 0
; FloatMode: 240
; IeeeMode: 1
; LDSByteSize: 0 bytes/workgroup (compile time only)
; SGPRBlocks: 3
; VGPRBlocks: 3
; NumSGPRsForWavesPerEU: 26
; NumVGPRsForWavesPerEU: 29
; AccumOffset: 32
; Occupancy: 8
; WaveLimiterHint : 0
; COMPUTE_PGM_RSRC2:SCRATCH_EN: 0
; COMPUTE_PGM_RSRC2:USER_SGPR: 6
; COMPUTE_PGM_RSRC2:TRAP_HANDLER: 0
; COMPUTE_PGM_RSRC2:TGID_X_EN: 1
; COMPUTE_PGM_RSRC2:TGID_Y_EN: 0
; COMPUTE_PGM_RSRC2:TGID_Z_EN: 0
; COMPUTE_PGM_RSRC2:TIDIG_COMP_CNT: 1
; COMPUTE_PGM_RSRC3_GFX90A:ACCUM_OFFSET: 7
; COMPUTE_PGM_RSRC3_GFX90A:TG_SPLIT: 0
	.section	.text._ZN4vllm3moe17topkGatingSoftmaxIDF16_Li2ELi2ELi8ELi4ELb1ELi0ELNS0_23SharedExpertScoringFuncE0EEEvPKT_PKbPfiPiS9_iiiiii,"axG",@progbits,_ZN4vllm3moe17topkGatingSoftmaxIDF16_Li2ELi2ELi8ELi4ELb1ELi0ELNS0_23SharedExpertScoringFuncE0EEEvPKT_PKbPfiPiS9_iiiiii,comdat
	.protected	_ZN4vllm3moe17topkGatingSoftmaxIDF16_Li2ELi2ELi8ELi4ELb1ELi0ELNS0_23SharedExpertScoringFuncE0EEEvPKT_PKbPfiPiS9_iiiiii ; -- Begin function _ZN4vllm3moe17topkGatingSoftmaxIDF16_Li2ELi2ELi8ELi4ELb1ELi0ELNS0_23SharedExpertScoringFuncE0EEEvPKT_PKbPfiPiS9_iiiiii
	.globl	_ZN4vllm3moe17topkGatingSoftmaxIDF16_Li2ELi2ELi8ELi4ELb1ELi0ELNS0_23SharedExpertScoringFuncE0EEEvPKT_PKbPfiPiS9_iiiiii
	.p2align	8
	.type	_ZN4vllm3moe17topkGatingSoftmaxIDF16_Li2ELi2ELi8ELi4ELb1ELi0ELNS0_23SharedExpertScoringFuncE0EEEvPKT_PKbPfiPiS9_iiiiii,@function
_ZN4vllm3moe17topkGatingSoftmaxIDF16_Li2ELi2ELi8ELi4ELb1ELi0ELNS0_23SharedExpertScoringFuncE0EEEvPKT_PKbPfiPiS9_iiiiii: ; @_ZN4vllm3moe17topkGatingSoftmaxIDF16_Li2ELi2ELi8ELi4ELb1ELi0ELNS0_23SharedExpertScoringFuncE0EEEvPKT_PKbPfiPiS9_iiiiii
; %bb.0:
	s_load_dword s20, s[4:5], 0x18
	v_bfe_u32 v1, v0, 10, 10
	s_lshl_b32 s24, s6, 9
	v_lshlrev_b32_e32 v12, 6, v1
	v_and_b32_e32 v13, 0x3ff, v0
	v_add3_u32 v10, v12, v13, s24
	s_waitcnt lgkmcnt(0)
	v_cmp_gt_i32_e32 vcc, s20, v10
	s_and_saveexec_b64 s[0:1], vcc
	s_cbranch_execz .LBB116_20
; %bb.1:
	s_load_dwordx4 s[0:3], s[4:5], 0x0
	s_load_dwordx2 s[6:7], s[4:5], 0x10
	s_waitcnt lgkmcnt(0)
	s_cmp_eq_u64 s[2:3], 0
	s_cbranch_scc1 .LBB116_3
; %bb.2:
	v_ashrrev_i32_e32 v1, 31, v10
	v_mov_b32_e32 v2, s3
	v_add_co_u32_e32 v0, vcc, s2, v10
	v_addc_co_u32_e32 v1, vcc, v2, v1, vcc
	global_load_ubyte v0, v[0:1], off
	s_waitcnt vmcnt(0)
	v_and_b32_e32 v0, 1, v0
	v_cmp_eq_u32_e32 vcc, 1, v0
	s_xor_b64 s[2:3], vcc, -1
	s_orn2_b64 s[18:19], s[2:3], exec
	s_branch .LBB116_4
.LBB116_3:
	s_mov_b64 s[18:19], -1
.LBB116_4:
	s_load_dwordx4 s[8:11], s[4:5], 0x30
	s_waitcnt lgkmcnt(0)
	s_cmp_gt_i32 s8, 0
	s_cselect_b64 s[16:17], -1, 0
	s_cmp_lt_i32 s8, 1
	s_cbranch_scc1 .LBB116_9
; %bb.5:
	s_load_dwordx2 s[2:3], s[4:5], 0x40
	s_load_dwordx4 s[12:15], s[4:5], 0x20
	v_mov_b32_e32 v2, s1
	v_mov_b32_e32 v4, s7
	s_mov_b32 s21, 0x3fb8aa3b
	s_waitcnt lgkmcnt(0)
	v_mul_lo_u32 v0, v10, s3
	v_ashrrev_i32_e32 v1, 31, v0
	v_lshlrev_b64 v[0:1], 1, v[0:1]
	v_add_co_u32_e32 v0, vcc, s0, v0
	v_addc_co_u32_e32 v1, vcc, v2, v1, vcc
	global_load_dword v14, v[0:1], off
	v_mul_lo_u32 v0, v10, s11
	v_ashrrev_i32_e32 v1, 31, v0
	v_mul_lo_u32 v2, v10, s8
	v_lshlrev_b64 v[6:7], 2, v[0:1]
	v_ashrrev_i32_e32 v3, 31, v2
	v_add_co_u32_e32 v8, vcc, s6, v6
	v_lshlrev_b64 v[2:3], 2, v[2:3]
	v_addc_co_u32_e64 v9, s[0:1], v4, v7, vcc
	v_mul_lo_u32 v0, v10, s2
	v_mov_b32_e32 v4, s15
	v_ashrrev_i32_e32 v1, 31, v0
	v_add_co_u32_e64 v16, s[0:1], s14, v2
	v_addc_co_u32_e64 v17, s[0:1], v4, v3, s[0:1]
	v_lshlrev_b64 v[4:5], 2, v[0:1]
	v_mov_b32_e32 v6, s13
	v_add_co_u32_e64 v18, s[0:1], s12, v4
	v_addc_co_u32_e64 v19, s[0:1], v6, v5, s[0:1]
	s_mov_b32 s22, 0xc2ce8ed0
	s_mov_b32 s23, 0x42b17218
	v_mov_b32_e32 v11, 0x7f800000
	s_waitcnt vmcnt(0)
	v_cvt_f32_f16_e32 v0, v14
	v_cvt_f32_f16_sdwa v1, v14 dst_sel:DWORD dst_unused:UNUSED_PAD src0_sel:WORD_1
	v_cmp_lt_f16_sdwa s[0:1], v14, v14 src0_sel:DWORD src1_sel:WORD_1
	v_cndmask_b32_e64 v6, 0, 1, s[0:1]
	v_cmp_le_i32_e64 s[2:3], s9, v6
	v_cndmask_b32_e64 v15, v0, v1, s[0:1]
	v_sub_f32_e32 v14, v15, v15
	v_mul_f32_e32 v21, 0x3fb8aa3b, v14
	v_fma_f32 v22, v14, s21, -v21
	v_rndne_f32_e32 v23, v21
	v_fmac_f32_e32 v22, 0x32a5705f, v14
	v_sub_f32_e32 v21, v21, v23
	v_add_f32_e32 v21, v21, v22
	v_cmp_gt_i32_e64 s[4:5], s10, v6
	v_cvt_i32_f32_e32 v23, v23
	v_exp_f32_e32 v21, v21
	s_and_b64 s[2:3], s[2:3], s[4:5]
	v_subrev_u32_e32 v20, s9, v6
	s_and_b64 s[2:3], s[18:19], s[2:3]
	v_cndmask_b32_e64 v20, 2, v20, s[2:3]
	global_store_dword v[18:19], v20, off
	v_ldexp_f32 v18, v21, v23
	v_cmp_ngt_f32_e64 s[2:3], s22, v14
	v_cndmask_b32_e64 v18, 0, v18, s[2:3]
	v_cmp_nlt_f32_e64 s[2:3], s23, v14
	s_cmp_eq_u32 s8, 1
	v_cndmask_b32_e64 v14, v11, v18, s[2:3]
	global_store_dword v[8:9], v14, off
	global_store_dword v[16:17], v10, off
	s_cbranch_scc1 .LBB116_8
; %bb.6:
	v_mov_b32_e32 v9, 0xff800000
	v_cndmask_b32_e64 v0, v9, v0, s[0:1]
	v_cmp_ne_u32_e64 s[0:1], 1, v6
	v_cndmask_b32_e64 v1, v9, v1, s[0:1]
	v_mov_b32_e32 v6, s15
	v_add_co_u32_e64 v2, s[0:1], s14, v2
	v_addc_co_u32_e64 v3, s[0:1], v3, v6, s[0:1]
	v_add_co_u32_e64 v2, s[0:1], 4, v2
	v_addc_co_u32_e64 v3, s[0:1], 0, v3, s[0:1]
	v_mov_b32_e32 v6, s13
	v_add_co_u32_e64 v4, s[0:1], s12, v4
	v_addc_co_u32_e64 v5, s[0:1], v5, v6, s[0:1]
	v_mov_b32_e32 v6, s7
	v_addc_co_u32_e32 v7, vcc, v7, v6, vcc
	v_add_co_u32_e64 v4, s[0:1], 4, v4
	v_add_co_u32_e32 v6, vcc, 4, v8
	s_add_i32 s24, s24, s20
	v_addc_co_u32_e64 v5, s[0:1], 0, v5, s[0:1]
	v_addc_co_u32_e32 v7, vcc, 0, v7, vcc
	s_add_i32 s2, s8, -1
	v_add3_u32 v8, s24, v13, v12
.LBB116_7:                              ; =>This Inner Loop Header: Depth=1
	v_cmp_gt_f32_e32 vcc, v1, v0
	v_cndmask_b32_e32 v12, v0, v1, vcc
	v_cndmask_b32_e64 v13, 0, 1, vcc
	v_sub_f32_e32 v12, v12, v15
	v_cndmask_b32_e32 v1, v1, v9, vcc
	v_cndmask_b32_e32 v0, v9, v0, vcc
	v_cmp_le_i32_e32 vcc, s9, v13
	v_cmp_gt_i32_e64 s[0:1], s10, v13
	v_mul_f32_e32 v16, 0x3fb8aa3b, v12
	s_and_b64 s[0:1], vcc, s[0:1]
	v_fma_f32 v17, v12, s21, -v16
	v_rndne_f32_e32 v18, v16
	v_subrev_u32_e32 v13, s9, v13
	v_fmac_f32_e32 v17, 0x32a5705f, v12
	v_sub_f32_e32 v16, v16, v18
	s_and_b64 vcc, s[18:19], s[0:1]
	v_cndmask_b32_e32 v13, 2, v13, vcc
	v_add_f32_e32 v16, v16, v17
	v_cvt_i32_f32_e32 v18, v18
	global_store_dword v[4:5], v13, off
	global_store_dword v[2:3], v8, off
	v_add_co_u32_e32 v2, vcc, 4, v2
	v_exp_f32_e32 v13, v16
	v_addc_co_u32_e32 v3, vcc, 0, v3, vcc
	v_add_co_u32_e32 v4, vcc, 4, v4
	v_addc_co_u32_e32 v5, vcc, 0, v5, vcc
	v_ldexp_f32 v13, v13, v18
	v_cmp_ngt_f32_e32 vcc, s22, v12
	v_cndmask_b32_e32 v13, 0, v13, vcc
	v_cmp_nlt_f32_e32 vcc, s23, v12
	v_cndmask_b32_e32 v12, v11, v13, vcc
	s_add_i32 s2, s2, -1
	global_store_dword v[6:7], v12, off
	v_add_co_u32_e32 v6, vcc, 4, v6
	v_add_u32_e32 v8, s20, v8
	s_cmp_eq_u32 s2, 0
	v_add_f32_e32 v14, v14, v12
	v_addc_co_u32_e32 v7, vcc, 0, v7, vcc
	s_cbranch_scc0 .LBB116_7
.LBB116_8:
	v_cmp_neq_f32_e32 vcc, 0, v14
	s_and_b64 exec, exec, vcc
	s_cbranch_execnz .LBB116_10
	s_branch .LBB116_20
.LBB116_9:
	v_mov_b32_e32 v14, 0
	v_cmp_neq_f32_e32 vcc, 0, v14
	s_and_b64 exec, exec, vcc
	s_cbranch_execz .LBB116_20
.LBB116_10:
	s_andn2_b64 vcc, exec, s[16:17]
	s_cbranch_vccnz .LBB116_20
; %bb.11:
	v_div_scale_f32 v0, s[0:1], v14, v14, 1.0
	v_rcp_f32_e32 v1, v0
	v_div_scale_f32 v2, vcc, 1.0, v14, 1.0
	s_cmp_gt_u32 s8, 3
	v_fma_f32 v3, -v0, v1, 1.0
	v_fmac_f32_e32 v1, v3, v1
	v_mul_f32_e32 v3, v2, v1
	v_fma_f32 v4, -v0, v3, v2
	v_fmac_f32_e32 v3, v4, v1
	v_fma_f32 v0, -v0, v3, v2
	v_div_fmas_f32 v0, v0, v1, v3
	v_mul_lo_u32 v2, v10, s11
	v_div_fixup_f32 v0, v0, v14, 1.0
	v_ashrrev_i32_e32 v3, 31, v2
	s_cbranch_scc0 .LBB116_15
; %bb.12:
	v_lshlrev_b64 v[4:5], 2, v[2:3]
	v_mov_b32_e32 v6, s7
	v_add_co_u32_e32 v4, vcc, s6, v4
	v_addc_co_u32_e32 v5, vcc, v5, v6, vcc
	s_and_b32 s4, s8, 0x7ffffffc
	v_add_co_u32_e32 v4, vcc, 8, v4
	v_mov_b32_e32 v1, v0
	v_addc_co_u32_e32 v5, vcc, 0, v5, vcc
	s_mov_b32 s0, s4
.LBB116_13:                             ; =>This Inner Loop Header: Depth=1
	global_load_dwordx4 v[6:9], v[4:5], off offset:-8
	s_add_i32 s0, s0, -4
	s_cmp_lg_u32 s0, 0
	s_waitcnt vmcnt(0)
	v_pk_mul_f32 v[6:7], v[0:1], v[6:7]
	v_pk_mul_f32 v[8:9], v[0:1], v[8:9]
	global_store_dwordx4 v[4:5], v[6:9], off offset:-8
	v_add_co_u32_e32 v4, vcc, 16, v4
	v_addc_co_u32_e32 v5, vcc, 0, v5, vcc
	s_cbranch_scc1 .LBB116_13
; %bb.14:
	s_cmp_lg_u32 s4, s8
	s_cselect_b64 s[0:1], -1, 0
	s_branch .LBB116_17
.LBB116_15:
	s_mov_b64 s[0:1], 0
                                        ; implicit-def: $sgpr4
	s_cbranch_execz .LBB116_17
; %bb.16:
	s_mov_b64 s[0:1], -1
	s_mov_b32 s4, 0
.LBB116_17:
	s_andn2_b64 vcc, exec, s[0:1]
	s_cbranch_vccnz .LBB116_20
; %bb.18:
	v_add_co_u32_e32 v2, vcc, s4, v2
	v_addc_co_u32_e32 v3, vcc, 0, v3, vcc
	v_lshlrev_b64 v[2:3], 2, v[2:3]
	v_mov_b32_e32 v1, s7
	v_add_co_u32_e32 v2, vcc, s6, v2
	s_sub_i32 s0, s8, s4
	v_addc_co_u32_e32 v3, vcc, v1, v3, vcc
.LBB116_19:                             ; =>This Inner Loop Header: Depth=1
	global_load_dword v1, v[2:3], off
	s_add_i32 s0, s0, -1
	s_cmp_lg_u32 s0, 0
	s_waitcnt vmcnt(0)
	v_mul_f32_e32 v1, v0, v1
	global_store_dword v[2:3], v1, off
	v_add_co_u32_e32 v2, vcc, 4, v2
	v_addc_co_u32_e32 v3, vcc, 0, v3, vcc
	s_cbranch_scc1 .LBB116_19
.LBB116_20:
	s_endpgm
	.section	.rodata,"a",@progbits
	.p2align	6, 0x0
	.amdhsa_kernel _ZN4vllm3moe17topkGatingSoftmaxIDF16_Li2ELi2ELi8ELi4ELb1ELi0ELNS0_23SharedExpertScoringFuncE0EEEvPKT_PKbPfiPiS9_iiiiii
		.amdhsa_group_segment_fixed_size 0
		.amdhsa_private_segment_fixed_size 0
		.amdhsa_kernarg_size 72
		.amdhsa_user_sgpr_count 6
		.amdhsa_user_sgpr_private_segment_buffer 1
		.amdhsa_user_sgpr_dispatch_ptr 0
		.amdhsa_user_sgpr_queue_ptr 0
		.amdhsa_user_sgpr_kernarg_segment_ptr 1
		.amdhsa_user_sgpr_dispatch_id 0
		.amdhsa_user_sgpr_flat_scratch_init 0
		.amdhsa_user_sgpr_kernarg_preload_length 0
		.amdhsa_user_sgpr_kernarg_preload_offset 0
		.amdhsa_user_sgpr_private_segment_size 0
		.amdhsa_uses_dynamic_stack 0
		.amdhsa_system_sgpr_private_segment_wavefront_offset 0
		.amdhsa_system_sgpr_workgroup_id_x 1
		.amdhsa_system_sgpr_workgroup_id_y 0
		.amdhsa_system_sgpr_workgroup_id_z 0
		.amdhsa_system_sgpr_workgroup_info 0
		.amdhsa_system_vgpr_workitem_id 1
		.amdhsa_next_free_vgpr 24
		.amdhsa_next_free_sgpr 25
		.amdhsa_accum_offset 24
		.amdhsa_reserve_vcc 1
		.amdhsa_reserve_flat_scratch 0
		.amdhsa_float_round_mode_32 0
		.amdhsa_float_round_mode_16_64 0
		.amdhsa_float_denorm_mode_32 3
		.amdhsa_float_denorm_mode_16_64 3
		.amdhsa_dx10_clamp 1
		.amdhsa_ieee_mode 1
		.amdhsa_fp16_overflow 0
		.amdhsa_tg_split 0
		.amdhsa_exception_fp_ieee_invalid_op 0
		.amdhsa_exception_fp_denorm_src 0
		.amdhsa_exception_fp_ieee_div_zero 0
		.amdhsa_exception_fp_ieee_overflow 0
		.amdhsa_exception_fp_ieee_underflow 0
		.amdhsa_exception_fp_ieee_inexact 0
		.amdhsa_exception_int_div_zero 0
	.end_amdhsa_kernel
	.section	.text._ZN4vllm3moe17topkGatingSoftmaxIDF16_Li2ELi2ELi8ELi4ELb1ELi0ELNS0_23SharedExpertScoringFuncE0EEEvPKT_PKbPfiPiS9_iiiiii,"axG",@progbits,_ZN4vllm3moe17topkGatingSoftmaxIDF16_Li2ELi2ELi8ELi4ELb1ELi0ELNS0_23SharedExpertScoringFuncE0EEEvPKT_PKbPfiPiS9_iiiiii,comdat
.Lfunc_end116:
	.size	_ZN4vllm3moe17topkGatingSoftmaxIDF16_Li2ELi2ELi8ELi4ELb1ELi0ELNS0_23SharedExpertScoringFuncE0EEEvPKT_PKbPfiPiS9_iiiiii, .Lfunc_end116-_ZN4vllm3moe17topkGatingSoftmaxIDF16_Li2ELi2ELi8ELi4ELb1ELi0ELNS0_23SharedExpertScoringFuncE0EEEvPKT_PKbPfiPiS9_iiiiii
                                        ; -- End function
	.section	.AMDGPU.csdata,"",@progbits
; Kernel info:
; codeLenInByte = 1244
; NumSgprs: 29
; NumVgprs: 24
; NumAgprs: 0
; TotalNumVgprs: 24
; ScratchSize: 0
; MemoryBound: 0
; FloatMode: 240
; IeeeMode: 1
; LDSByteSize: 0 bytes/workgroup (compile time only)
; SGPRBlocks: 3
; VGPRBlocks: 2
; NumSGPRsForWavesPerEU: 29
; NumVGPRsForWavesPerEU: 24
; AccumOffset: 24
; Occupancy: 8
; WaveLimiterHint : 0
; COMPUTE_PGM_RSRC2:SCRATCH_EN: 0
; COMPUTE_PGM_RSRC2:USER_SGPR: 6
; COMPUTE_PGM_RSRC2:TRAP_HANDLER: 0
; COMPUTE_PGM_RSRC2:TGID_X_EN: 1
; COMPUTE_PGM_RSRC2:TGID_Y_EN: 0
; COMPUTE_PGM_RSRC2:TGID_Z_EN: 0
; COMPUTE_PGM_RSRC2:TIDIG_COMP_CNT: 1
; COMPUTE_PGM_RSRC3_GFX90A:ACCUM_OFFSET: 5
; COMPUTE_PGM_RSRC3_GFX90A:TG_SPLIT: 0
	.section	.text._ZN4vllm3moe17topkGatingSoftmaxIDF16_Li2ELi2ELi8ELi4ELb0ELi0ELNS0_23SharedExpertScoringFuncE0EEEvPKT_PKbPfiPiS9_iiiiii,"axG",@progbits,_ZN4vllm3moe17topkGatingSoftmaxIDF16_Li2ELi2ELi8ELi4ELb0ELi0ELNS0_23SharedExpertScoringFuncE0EEEvPKT_PKbPfiPiS9_iiiiii,comdat
	.protected	_ZN4vllm3moe17topkGatingSoftmaxIDF16_Li2ELi2ELi8ELi4ELb0ELi0ELNS0_23SharedExpertScoringFuncE0EEEvPKT_PKbPfiPiS9_iiiiii ; -- Begin function _ZN4vllm3moe17topkGatingSoftmaxIDF16_Li2ELi2ELi8ELi4ELb0ELi0ELNS0_23SharedExpertScoringFuncE0EEEvPKT_PKbPfiPiS9_iiiiii
	.globl	_ZN4vllm3moe17topkGatingSoftmaxIDF16_Li2ELi2ELi8ELi4ELb0ELi0ELNS0_23SharedExpertScoringFuncE0EEEvPKT_PKbPfiPiS9_iiiiii
	.p2align	8
	.type	_ZN4vllm3moe17topkGatingSoftmaxIDF16_Li2ELi2ELi8ELi4ELb0ELi0ELNS0_23SharedExpertScoringFuncE0EEEvPKT_PKbPfiPiS9_iiiiii,@function
_ZN4vllm3moe17topkGatingSoftmaxIDF16_Li2ELi2ELi8ELi4ELb0ELi0ELNS0_23SharedExpertScoringFuncE0EEEvPKT_PKbPfiPiS9_iiiiii: ; @_ZN4vllm3moe17topkGatingSoftmaxIDF16_Li2ELi2ELi8ELi4ELb0ELi0ELNS0_23SharedExpertScoringFuncE0EEEvPKT_PKbPfiPiS9_iiiiii
; %bb.0:
	s_load_dword s18, s[4:5], 0x18
	v_bfe_u32 v1, v0, 10, 10
	s_lshl_b32 s21, s6, 9
	v_lshlrev_b32_e32 v13, 6, v1
	v_and_b32_e32 v14, 0x3ff, v0
	v_add3_u32 v3, v13, v14, s21
	s_waitcnt lgkmcnt(0)
	v_cmp_gt_i32_e32 vcc, s18, v3
	s_and_saveexec_b64 s[0:1], vcc
	s_cbranch_execz .LBB117_20
; %bb.1:
	s_load_dwordx4 s[0:3], s[4:5], 0x0
	s_load_dwordx2 s[12:13], s[4:5], 0x10
	s_waitcnt lgkmcnt(0)
	s_cmp_eq_u64 s[2:3], 0
	s_cbranch_scc1 .LBB117_3
; %bb.2:
	v_ashrrev_i32_e32 v1, 31, v3
	v_mov_b32_e32 v2, s3
	v_add_co_u32_e32 v0, vcc, s2, v3
	v_addc_co_u32_e32 v1, vcc, v2, v1, vcc
	global_load_ubyte v0, v[0:1], off
	s_waitcnt vmcnt(0)
	v_and_b32_e32 v0, 1, v0
	v_cmp_eq_u32_e32 vcc, 1, v0
	s_xor_b64 s[2:3], vcc, -1
	s_orn2_b64 s[16:17], s[2:3], exec
	s_branch .LBB117_4
.LBB117_3:
	s_mov_b64 s[16:17], -1
.LBB117_4:
	s_load_dwordx2 s[2:3], s[4:5], 0x40
	s_load_dwordx4 s[8:11], s[4:5], 0x30
	v_mov_b32_e32 v2, s1
	s_waitcnt lgkmcnt(0)
	v_mul_lo_u32 v0, v3, s3
	v_ashrrev_i32_e32 v1, 31, v0
	v_lshlrev_b64 v[0:1], 1, v[0:1]
	v_add_co_u32_e32 v0, vcc, s0, v0
	v_addc_co_u32_e32 v1, vcc, v2, v1, vcc
	global_load_dword v2, v[0:1], off
	s_cmp_gt_i32 s8, 0
	s_cselect_b64 s[14:15], -1, 0
	s_cmp_lt_i32 s8, 1
	s_waitcnt vmcnt(0)
	v_cvt_f32_f16_e32 v0, v2
	v_cvt_f32_f16_sdwa v1, v2 dst_sel:DWORD dst_unused:UNUSED_PAD src0_sel:WORD_1
	v_cmp_lt_f16_sdwa vcc, v2, v2 src0_sel:DWORD src1_sel:WORD_1
	v_cndmask_b32_e32 v2, v0, v1, vcc
	s_cbranch_scc1 .LBB117_8
; %bb.5:
	v_sub_f32_e32 v5, v2, v2
	v_mul_f32_e32 v7, 0x3fb8aa3b, v5
	s_mov_b32 s19, 0x3fb8aa3b
	v_rndne_f32_e32 v8, v7
	v_sub_f32_e32 v9, v7, v8
	v_fma_f32 v7, v5, s19, -v7
	v_fmac_f32_e32 v7, 0x32a5705f, v5
	v_add_f32_e32 v7, v9, v7
	v_exp_f32_e32 v7, v7
	v_cvt_i32_f32_e32 v8, v8
	v_cndmask_b32_e64 v18, 0, 1, vcc
	v_mul_lo_u32 v6, v3, s2
	v_cmp_le_i32_e64 s[0:1], s9, v18
	v_cmp_gt_i32_e64 s[2:3], s10, v18
	s_mov_b32 s20, 0xc2ce8ed0
	v_mul_lo_u32 v4, v3, s11
	s_and_b64 s[24:25], s[0:1], s[2:3]
	v_ldexp_f32 v7, v7, v8
	v_cmp_ngt_f32_e64 s[0:1], s20, v5
	s_mov_b32 s22, 0x42b17218
	s_load_dwordx4 s[4:7], s[4:5], 0x20
	v_cndmask_b32_e64 v7, 0, v7, s[0:1]
	v_cmp_nlt_f32_e64 s[0:1], s22, v5
	v_ashrrev_i32_e32 v5, 31, v4
	v_mov_b32_e32 v15, 0x7f800000
	v_lshlrev_b64 v[8:9], 2, v[4:5]
	v_cndmask_b32_e64 v12, v15, v7, s[0:1]
	v_mov_b32_e32 v4, s13
	v_add_co_u32_e64 v10, s[0:1], s12, v8
	v_addc_co_u32_e64 v11, s[2:3], v4, v9, s[0:1]
	v_ashrrev_i32_e32 v7, 31, v6
	v_subrev_u32_e32 v4, s9, v18
	s_and_b64 s[2:3], s[16:17], s[24:25]
	v_lshlrev_b64 v[6:7], 2, v[6:7]
	v_mul_lo_u32 v16, v3, s8
	v_cndmask_b32_e64 v8, 2, v4, s[2:3]
	s_waitcnt lgkmcnt(0)
	v_mov_b32_e32 v5, s5
	v_add_co_u32_e64 v4, s[2:3], s4, v6
	v_addc_co_u32_e64 v5, s[2:3], v5, v7, s[2:3]
	v_ashrrev_i32_e32 v17, 31, v16
	global_store_dword v[10:11], v12, off
	global_store_dword v[4:5], v8, off
	v_lshlrev_b64 v[4:5], 2, v[16:17]
	v_mov_b32_e32 v11, 0xff800000
	v_mov_b32_e32 v8, s7
	v_add_co_u32_e64 v16, s[2:3], s6, v4
	v_cndmask_b32_e32 v0, v11, v0, vcc
	v_cmp_ne_u32_e32 vcc, 1, v18
	v_addc_co_u32_e64 v17, s[2:3], v8, v5, s[2:3]
	s_cmp_eq_u32 s8, 1
	v_cndmask_b32_e32 v1, v11, v1, vcc
	global_store_dword v[16:17], v3, off
	s_cbranch_scc1 .LBB117_9
; %bb.6:
	v_mov_b32_e32 v8, s7
	v_add_co_u32_e32 v4, vcc, s6, v4
	v_addc_co_u32_e32 v5, vcc, v5, v8, vcc
	v_add_co_u32_e32 v4, vcc, 4, v4
	v_addc_co_u32_e32 v5, vcc, 0, v5, vcc
	v_mov_b32_e32 v8, s5
	v_add_co_u32_e32 v6, vcc, s4, v6
	v_addc_co_u32_e32 v7, vcc, v7, v8, vcc
	v_add_co_u32_e32 v6, vcc, 4, v6
	v_mov_b32_e32 v8, s13
	v_addc_co_u32_e32 v7, vcc, 0, v7, vcc
	v_addc_co_u32_e64 v9, vcc, v9, v8, s[0:1]
	v_add_co_u32_e32 v8, vcc, 4, v10
	s_add_i32 s21, s21, s18
	v_addc_co_u32_e32 v9, vcc, 0, v9, vcc
	s_add_i32 s2, s8, -1
	v_add3_u32 v10, s21, v14, v13
.LBB117_7:                              ; =>This Inner Loop Header: Depth=1
	v_cmp_gt_f32_e32 vcc, v1, v0
	v_cndmask_b32_e32 v13, v0, v1, vcc
	v_cndmask_b32_e64 v14, 0, 1, vcc
	v_sub_f32_e32 v13, v13, v2
	v_cndmask_b32_e32 v1, v1, v11, vcc
	v_cndmask_b32_e32 v0, v11, v0, vcc
	v_cmp_le_i32_e32 vcc, s9, v14
	v_cmp_gt_i32_e64 s[0:1], s10, v14
	v_mul_f32_e32 v16, 0x3fb8aa3b, v13
	s_and_b64 s[0:1], vcc, s[0:1]
	v_fma_f32 v17, v13, s19, -v16
	v_rndne_f32_e32 v18, v16
	v_subrev_u32_e32 v14, s9, v14
	v_fmac_f32_e32 v17, 0x32a5705f, v13
	v_sub_f32_e32 v16, v16, v18
	s_and_b64 vcc, s[16:17], s[0:1]
	v_cndmask_b32_e32 v14, 2, v14, vcc
	v_add_f32_e32 v16, v16, v17
	v_cvt_i32_f32_e32 v18, v18
	global_store_dword v[6:7], v14, off
	global_store_dword v[4:5], v10, off
	v_add_co_u32_e32 v4, vcc, 4, v4
	v_exp_f32_e32 v14, v16
	v_addc_co_u32_e32 v5, vcc, 0, v5, vcc
	v_add_co_u32_e32 v6, vcc, 4, v6
	v_addc_co_u32_e32 v7, vcc, 0, v7, vcc
	v_ldexp_f32 v14, v14, v18
	v_cmp_ngt_f32_e32 vcc, s20, v13
	v_cndmask_b32_e32 v14, 0, v14, vcc
	v_cmp_nlt_f32_e32 vcc, s22, v13
	v_cndmask_b32_e32 v13, v15, v14, vcc
	s_add_i32 s2, s2, -1
	global_store_dword v[8:9], v13, off
	v_add_co_u32_e32 v8, vcc, 4, v8
	v_add_u32_e32 v10, s18, v10
	s_cmp_eq_u32 s2, 0
	v_add_f32_e32 v12, v12, v13
	v_addc_co_u32_e32 v9, vcc, 0, v9, vcc
	s_cbranch_scc0 .LBB117_7
	s_branch .LBB117_9
.LBB117_8:
	v_mov_b32_e32 v12, 0
.LBB117_9:
	v_pk_add_f32 v[0:1], v[0:1], v[2:3] op_sel_hi:[1,0] neg_lo:[0,1] neg_hi:[0,1]
	s_mov_b32 s0, 0x3fb8aa3b
	v_mul_f32_e32 v2, 0x3fb8aa3b, v1
	v_fma_f32 v4, v1, s0, -v2
	v_rndne_f32_e32 v5, v2
	v_fmac_f32_e32 v4, 0x32a5705f, v1
	v_sub_f32_e32 v2, v2, v5
	v_add_f32_e32 v2, v2, v4
	v_exp_f32_e32 v2, v2
	v_cvt_i32_f32_e32 v4, v5
	s_mov_b32 s1, 0xc2ce8ed0
	v_cmp_ngt_f32_e32 vcc, s1, v1
	s_mov_b32 s2, 0x42b17218
	v_ldexp_f32 v2, v2, v4
	v_mul_f32_e32 v4, 0x3fb8aa3b, v0
	v_fma_f32 v5, v0, s0, -v4
	v_rndne_f32_e32 v6, v4
	v_fmac_f32_e32 v5, 0x32a5705f, v0
	v_sub_f32_e32 v4, v4, v6
	v_add_f32_e32 v4, v4, v5
	v_exp_f32_e32 v4, v4
	v_cvt_i32_f32_e32 v5, v6
	v_cndmask_b32_e32 v2, 0, v2, vcc
	v_mov_b32_e32 v6, 0x7f800000
	v_cmp_nlt_f32_e32 vcc, s2, v1
	v_cndmask_b32_e32 v1, v6, v2, vcc
	v_ldexp_f32 v2, v4, v5
	v_cmp_ngt_f32_e32 vcc, s1, v0
	v_cndmask_b32_e32 v2, 0, v2, vcc
	v_cmp_nlt_f32_e32 vcc, s2, v0
	v_cndmask_b32_e32 v0, v6, v2, vcc
	v_add_f32_e32 v0, v0, v1
	v_add_f32_e32 v0, v12, v0
	v_cmp_neq_f32_e32 vcc, 0, v0
	s_and_b64 exec, exec, vcc
	s_cbranch_execz .LBB117_20
; %bb.10:
	s_andn2_b64 vcc, exec, s[14:15]
	s_cbranch_vccnz .LBB117_20
; %bb.11:
	v_div_scale_f32 v1, s[0:1], v0, v0, 1.0
	v_rcp_f32_e32 v2, v1
	v_div_scale_f32 v4, vcc, 1.0, v0, 1.0
	s_cmp_gt_u32 s8, 3
	v_fma_f32 v5, -v1, v2, 1.0
	v_fmac_f32_e32 v2, v5, v2
	v_mul_f32_e32 v5, v4, v2
	v_fma_f32 v6, -v1, v5, v4
	v_fmac_f32_e32 v5, v6, v2
	v_fma_f32 v1, -v1, v5, v4
	v_div_fmas_f32 v1, v1, v2, v5
	v_mul_lo_u32 v2, v3, s11
	v_div_fixup_f32 v0, v1, v0, 1.0
	v_ashrrev_i32_e32 v3, 31, v2
	s_cbranch_scc0 .LBB117_15
; %bb.12:
	v_lshlrev_b64 v[4:5], 2, v[2:3]
	v_mov_b32_e32 v6, s13
	v_add_co_u32_e32 v4, vcc, s12, v4
	v_addc_co_u32_e32 v5, vcc, v5, v6, vcc
	s_and_b32 s4, s8, 0x7ffffffc
	v_add_co_u32_e32 v4, vcc, 8, v4
	v_mov_b32_e32 v1, v0
	v_addc_co_u32_e32 v5, vcc, 0, v5, vcc
	s_mov_b32 s0, s4
.LBB117_13:                             ; =>This Inner Loop Header: Depth=1
	global_load_dwordx4 v[6:9], v[4:5], off offset:-8
	s_add_i32 s0, s0, -4
	s_cmp_lg_u32 s0, 0
	s_waitcnt vmcnt(0)
	v_pk_mul_f32 v[6:7], v[0:1], v[6:7]
	v_pk_mul_f32 v[8:9], v[0:1], v[8:9]
	global_store_dwordx4 v[4:5], v[6:9], off offset:-8
	v_add_co_u32_e32 v4, vcc, 16, v4
	v_addc_co_u32_e32 v5, vcc, 0, v5, vcc
	s_cbranch_scc1 .LBB117_13
; %bb.14:
	s_cmp_lg_u32 s4, s8
	s_cselect_b64 s[0:1], -1, 0
	s_branch .LBB117_17
.LBB117_15:
	s_mov_b64 s[0:1], 0
                                        ; implicit-def: $sgpr4
	s_cbranch_execz .LBB117_17
; %bb.16:
	s_mov_b64 s[0:1], -1
	s_mov_b32 s4, 0
.LBB117_17:
	s_andn2_b64 vcc, exec, s[0:1]
	s_cbranch_vccnz .LBB117_20
; %bb.18:
	v_add_co_u32_e32 v2, vcc, s4, v2
	v_addc_co_u32_e32 v3, vcc, 0, v3, vcc
	v_lshlrev_b64 v[2:3], 2, v[2:3]
	v_mov_b32_e32 v1, s13
	v_add_co_u32_e32 v2, vcc, s12, v2
	s_sub_i32 s0, s8, s4
	v_addc_co_u32_e32 v3, vcc, v1, v3, vcc
.LBB117_19:                             ; =>This Inner Loop Header: Depth=1
	global_load_dword v1, v[2:3], off
	s_add_i32 s0, s0, -1
	s_cmp_lg_u32 s0, 0
	s_waitcnt vmcnt(0)
	v_mul_f32_e32 v1, v0, v1
	global_store_dword v[2:3], v1, off
	v_add_co_u32_e32 v2, vcc, 4, v2
	v_addc_co_u32_e32 v3, vcc, 0, v3, vcc
	s_cbranch_scc1 .LBB117_19
.LBB117_20:
	s_endpgm
	.section	.rodata,"a",@progbits
	.p2align	6, 0x0
	.amdhsa_kernel _ZN4vllm3moe17topkGatingSoftmaxIDF16_Li2ELi2ELi8ELi4ELb0ELi0ELNS0_23SharedExpertScoringFuncE0EEEvPKT_PKbPfiPiS9_iiiiii
		.amdhsa_group_segment_fixed_size 0
		.amdhsa_private_segment_fixed_size 0
		.amdhsa_kernarg_size 72
		.amdhsa_user_sgpr_count 6
		.amdhsa_user_sgpr_private_segment_buffer 1
		.amdhsa_user_sgpr_dispatch_ptr 0
		.amdhsa_user_sgpr_queue_ptr 0
		.amdhsa_user_sgpr_kernarg_segment_ptr 1
		.amdhsa_user_sgpr_dispatch_id 0
		.amdhsa_user_sgpr_flat_scratch_init 0
		.amdhsa_user_sgpr_kernarg_preload_length 0
		.amdhsa_user_sgpr_kernarg_preload_offset 0
		.amdhsa_user_sgpr_private_segment_size 0
		.amdhsa_uses_dynamic_stack 0
		.amdhsa_system_sgpr_private_segment_wavefront_offset 0
		.amdhsa_system_sgpr_workgroup_id_x 1
		.amdhsa_system_sgpr_workgroup_id_y 0
		.amdhsa_system_sgpr_workgroup_id_z 0
		.amdhsa_system_sgpr_workgroup_info 0
		.amdhsa_system_vgpr_workitem_id 1
		.amdhsa_next_free_vgpr 19
		.amdhsa_next_free_sgpr 26
		.amdhsa_accum_offset 20
		.amdhsa_reserve_vcc 1
		.amdhsa_reserve_flat_scratch 0
		.amdhsa_float_round_mode_32 0
		.amdhsa_float_round_mode_16_64 0
		.amdhsa_float_denorm_mode_32 3
		.amdhsa_float_denorm_mode_16_64 3
		.amdhsa_dx10_clamp 1
		.amdhsa_ieee_mode 1
		.amdhsa_fp16_overflow 0
		.amdhsa_tg_split 0
		.amdhsa_exception_fp_ieee_invalid_op 0
		.amdhsa_exception_fp_denorm_src 0
		.amdhsa_exception_fp_ieee_div_zero 0
		.amdhsa_exception_fp_ieee_overflow 0
		.amdhsa_exception_fp_ieee_underflow 0
		.amdhsa_exception_fp_ieee_inexact 0
		.amdhsa_exception_int_div_zero 0
	.end_amdhsa_kernel
	.section	.text._ZN4vllm3moe17topkGatingSoftmaxIDF16_Li2ELi2ELi8ELi4ELb0ELi0ELNS0_23SharedExpertScoringFuncE0EEEvPKT_PKbPfiPiS9_iiiiii,"axG",@progbits,_ZN4vllm3moe17topkGatingSoftmaxIDF16_Li2ELi2ELi8ELi4ELb0ELi0ELNS0_23SharedExpertScoringFuncE0EEEvPKT_PKbPfiPiS9_iiiiii,comdat
.Lfunc_end117:
	.size	_ZN4vllm3moe17topkGatingSoftmaxIDF16_Li2ELi2ELi8ELi4ELb0ELi0ELNS0_23SharedExpertScoringFuncE0EEEvPKT_PKbPfiPiS9_iiiiii, .Lfunc_end117-_ZN4vllm3moe17topkGatingSoftmaxIDF16_Li2ELi2ELi8ELi4ELb0ELi0ELNS0_23SharedExpertScoringFuncE0EEEvPKT_PKbPfiPiS9_iiiiii
                                        ; -- End function
	.section	.AMDGPU.csdata,"",@progbits
; Kernel info:
; codeLenInByte = 1376
; NumSgprs: 30
; NumVgprs: 19
; NumAgprs: 0
; TotalNumVgprs: 19
; ScratchSize: 0
; MemoryBound: 0
; FloatMode: 240
; IeeeMode: 1
; LDSByteSize: 0 bytes/workgroup (compile time only)
; SGPRBlocks: 3
; VGPRBlocks: 2
; NumSGPRsForWavesPerEU: 30
; NumVGPRsForWavesPerEU: 19
; AccumOffset: 20
; Occupancy: 8
; WaveLimiterHint : 0
; COMPUTE_PGM_RSRC2:SCRATCH_EN: 0
; COMPUTE_PGM_RSRC2:USER_SGPR: 6
; COMPUTE_PGM_RSRC2:TRAP_HANDLER: 0
; COMPUTE_PGM_RSRC2:TGID_X_EN: 1
; COMPUTE_PGM_RSRC2:TGID_Y_EN: 0
; COMPUTE_PGM_RSRC2:TGID_Z_EN: 0
; COMPUTE_PGM_RSRC2:TIDIG_COMP_CNT: 1
; COMPUTE_PGM_RSRC3_GFX90A:ACCUM_OFFSET: 4
; COMPUTE_PGM_RSRC3_GFX90A:TG_SPLIT: 0
	.section	.text._ZN4vllm3moe17topkGatingSoftmaxIDF16_Li2ELi2ELi8ELi4ELb1ELi1ELNS0_23SharedExpertScoringFuncE1EEEvPKT_PKbPfiPiS9_iiiiii,"axG",@progbits,_ZN4vllm3moe17topkGatingSoftmaxIDF16_Li2ELi2ELi8ELi4ELb1ELi1ELNS0_23SharedExpertScoringFuncE1EEEvPKT_PKbPfiPiS9_iiiiii,comdat
	.protected	_ZN4vllm3moe17topkGatingSoftmaxIDF16_Li2ELi2ELi8ELi4ELb1ELi1ELNS0_23SharedExpertScoringFuncE1EEEvPKT_PKbPfiPiS9_iiiiii ; -- Begin function _ZN4vllm3moe17topkGatingSoftmaxIDF16_Li2ELi2ELi8ELi4ELb1ELi1ELNS0_23SharedExpertScoringFuncE1EEEvPKT_PKbPfiPiS9_iiiiii
	.globl	_ZN4vllm3moe17topkGatingSoftmaxIDF16_Li2ELi2ELi8ELi4ELb1ELi1ELNS0_23SharedExpertScoringFuncE1EEEvPKT_PKbPfiPiS9_iiiiii
	.p2align	8
	.type	_ZN4vllm3moe17topkGatingSoftmaxIDF16_Li2ELi2ELi8ELi4ELb1ELi1ELNS0_23SharedExpertScoringFuncE1EEEvPKT_PKbPfiPiS9_iiiiii,@function
_ZN4vllm3moe17topkGatingSoftmaxIDF16_Li2ELi2ELi8ELi4ELb1ELi1ELNS0_23SharedExpertScoringFuncE1EEEvPKT_PKbPfiPiS9_iiiiii: ; @_ZN4vllm3moe17topkGatingSoftmaxIDF16_Li2ELi2ELi8ELi4ELb1ELi1ELNS0_23SharedExpertScoringFuncE1EEEvPKT_PKbPfiPiS9_iiiiii
; %bb.0:
	s_load_dword s18, s[4:5], 0x18
	v_bfe_u32 v1, v0, 10, 10
	s_lshl_b32 s19, s6, 9
	v_lshlrev_b32_e32 v11, 6, v1
	v_and_b32_e32 v12, 0x3ff, v0
	v_add3_u32 v13, v11, v12, s19
	s_waitcnt lgkmcnt(0)
	v_cmp_gt_i32_e32 vcc, s18, v13
	s_and_saveexec_b64 s[0:1], vcc
	s_cbranch_execz .LBB118_19
; %bb.1:
	s_load_dwordx4 s[0:3], s[4:5], 0x0
	s_load_dwordx2 s[12:13], s[4:5], 0x10
	s_waitcnt lgkmcnt(0)
	s_cmp_eq_u64 s[2:3], 0
	s_cbranch_scc1 .LBB118_3
; %bb.2:
	v_ashrrev_i32_e32 v1, 31, v13
	v_mov_b32_e32 v2, s3
	v_add_co_u32_e32 v0, vcc, s2, v13
	v_addc_co_u32_e32 v1, vcc, v2, v1, vcc
	global_load_ubyte v0, v[0:1], off
	s_waitcnt vmcnt(0)
	v_and_b32_e32 v0, 1, v0
	v_cmp_eq_u32_e32 vcc, 1, v0
	s_xor_b64 s[2:3], vcc, -1
	s_orn2_b64 s[14:15], s[2:3], exec
	s_branch .LBB118_4
.LBB118_3:
	s_mov_b64 s[14:15], -1
.LBB118_4:
	s_load_dwordx2 s[2:3], s[4:5], 0x40
	s_load_dwordx4 s[8:11], s[4:5], 0x30
	v_mov_b32_e32 v2, s1
	s_mov_b32 s1, 0x32a5705f
	s_mov_b32 s20, 0xc2ce8ed0
	s_waitcnt lgkmcnt(0)
	v_mul_lo_u32 v0, v13, s3
	v_ashrrev_i32_e32 v1, 31, v0
	v_lshlrev_b64 v[0:1], 1, v[0:1]
	v_add_co_u32_e32 v0, vcc, s0, v0
	v_addc_co_u32_e32 v1, vcc, v2, v1, vcc
	global_load_ushort v3, v[0:1], off offset:4
	global_load_dword v2, v[0:1], off
	s_mov_b32 s0, 0x3fb8aa3b
	s_mov_b32 s21, 0x42b17218
	v_mov_b32_e32 v1, 0x7f800000
	v_mul_lo_u32 v0, v13, s11
	v_add_u32_e32 v4, s8, v0
	v_mov_b32_e32 v6, s13
	s_cmp_gt_i32 s8, 0
	v_mov_b32_e32 v10, 0
	s_cselect_b64 s[16:17], -1, 0
	s_cmp_lt_i32 s8, 1
	s_waitcnt vmcnt(1)
	v_cvt_f32_f16_e64 v7, -v3
	v_mul_f32_e32 v5, 0x3fb8aa3b, v7
	v_fma_mix_f32 v8, -v3, s0, -v5 op_sel_hi:[1,0,0]
	v_rndne_f32_e32 v9, v5
	v_fma_mix_f32 v3, -v3, s1, v8 op_sel_hi:[1,0,0]
	v_sub_f32_e32 v5, v5, v9
	v_add_f32_e32 v3, v5, v3
	v_cvt_i32_f32_e32 v8, v9
	v_exp_f32_e32 v3, v3
	v_cmp_ngt_f32_e32 vcc, s20, v7
	v_ashrrev_i32_e32 v5, 31, v4
	v_lshlrev_b64 v[4:5], 2, v[4:5]
	v_ldexp_f32 v3, v3, v8
	v_cndmask_b32_e32 v3, 0, v3, vcc
	v_cmp_nlt_f32_e32 vcc, s21, v7
	v_cndmask_b32_e32 v3, v1, v3, vcc
	v_add_f32_e32 v3, 1.0, v3
	v_div_scale_f32 v7, s[6:7], v3, v3, 1.0
	v_rcp_f32_e32 v8, v7
	v_add_co_u32_e32 v4, vcc, s12, v4
	v_addc_co_u32_e32 v5, vcc, v6, v5, vcc
	v_fma_f32 v9, -v7, v8, 1.0
	v_div_scale_f32 v6, vcc, 1.0, v3, 1.0
	v_fmac_f32_e32 v8, v9, v8
	v_mul_f32_e32 v9, v6, v8
	v_fma_f32 v14, -v7, v9, v6
	v_fmac_f32_e32 v9, v14, v8
	v_fma_f32 v6, -v7, v9, v6
	v_div_fmas_f32 v6, v6, v8, v9
	v_div_fixup_f32 v3, v6, v3, 1.0
	global_store_dword v[4:5], v3, off
	s_cbranch_scc1 .LBB118_8
; %bb.5:
	s_waitcnt vmcnt(1)
	v_cvt_f32_f16_e32 v16, v2
	v_cvt_f32_f16_sdwa v15, v2 dst_sel:DWORD dst_unused:UNUSED_PAD src0_sel:WORD_1
	v_cmp_lt_f16_sdwa vcc, v2, v2 src0_sel:DWORD src1_sel:WORD_1
	v_cndmask_b32_e64 v17, 0, 1, vcc
	v_mul_lo_u32 v4, v13, s2
	v_cndmask_b32_e32 v14, v16, v15, vcc
	v_sub_f32_e32 v2, v14, v14
	v_mul_f32_e32 v3, 0x3fb8aa3b, v2
	v_fma_f32 v5, v2, s0, -v3
	v_rndne_f32_e32 v6, v3
	v_fmac_f32_e32 v5, 0x32a5705f, v2
	v_sub_f32_e32 v3, v3, v6
	v_add_f32_e32 v3, v3, v5
	v_exp_f32_e32 v3, v3
	v_cvt_i32_f32_e32 v5, v6
	v_cmp_le_i32_e64 s[0:1], s9, v17
	v_cmp_gt_i32_e64 s[2:3], s10, v17
	s_and_b64 s[22:23], s[0:1], s[2:3]
	v_ldexp_f32 v3, v3, v5
	v_cmp_ngt_f32_e64 s[0:1], s20, v2
	v_cndmask_b32_e64 v3, 0, v3, s[0:1]
	v_cmp_nlt_f32_e64 s[0:1], s21, v2
	s_load_dwordx4 s[4:7], s[4:5], 0x20
	v_cndmask_b32_e64 v10, v1, v3, s[0:1]
	v_ashrrev_i32_e32 v1, 31, v0
	v_lshlrev_b64 v[2:3], 2, v[0:1]
	v_mov_b32_e32 v1, s13
	v_add_co_u32_e64 v8, s[0:1], s12, v2
	v_addc_co_u32_e64 v9, s[2:3], v1, v3, s[0:1]
	v_ashrrev_i32_e32 v5, 31, v4
	v_subrev_u32_e32 v1, s9, v17
	s_and_b64 s[2:3], s[14:15], s[22:23]
	v_lshlrev_b64 v[6:7], 2, v[4:5]
	v_mul_lo_u32 v18, v13, s8
	v_cndmask_b32_e64 v1, 2, v1, s[2:3]
	s_waitcnt lgkmcnt(0)
	v_mov_b32_e32 v2, s5
	v_add_co_u32_e64 v4, s[2:3], s4, v6
	v_addc_co_u32_e64 v5, s[2:3], v2, v7, s[2:3]
	v_ashrrev_i32_e32 v19, 31, v18
	global_store_dword v[4:5], v1, off
	v_lshlrev_b64 v[4:5], 2, v[18:19]
	v_mov_b32_e32 v1, s7
	v_add_co_u32_e64 v18, s[2:3], s6, v4
	v_addc_co_u32_e64 v19, s[2:3], v1, v5, s[2:3]
	s_cmp_eq_u32 s8, 1
	global_store_dword v[8:9], v10, off
	global_store_dword v[18:19], v13, off
	s_cbranch_scc1 .LBB118_8
; %bb.6:
	v_mov_b32_e32 v13, 0xff800000
	v_cndmask_b32_e32 v2, v13, v16, vcc
	v_cmp_ne_u32_e32 vcc, 1, v17
	v_cndmask_b32_e32 v1, v13, v15, vcc
	v_mov_b32_e32 v9, s7
	v_add_co_u32_e32 v4, vcc, s6, v4
	v_addc_co_u32_e32 v5, vcc, v5, v9, vcc
	v_add_co_u32_e32 v4, vcc, 4, v4
	v_addc_co_u32_e32 v5, vcc, 0, v5, vcc
	v_mov_b32_e32 v9, s5
	v_add_co_u32_e32 v6, vcc, s4, v6
	v_addc_co_u32_e32 v7, vcc, v7, v9, vcc
	v_add_co_u32_e32 v6, vcc, 4, v6
	v_mov_b32_e32 v9, s13
	v_addc_co_u32_e32 v7, vcc, 0, v7, vcc
	v_addc_co_u32_e64 v3, vcc, v3, v9, s[0:1]
	v_add_co_u32_e32 v8, vcc, 4, v8
	s_add_i32 s19, s19, s18
	v_addc_co_u32_e32 v9, vcc, 0, v3, vcc
	s_add_i32 s2, s8, -1
	v_add3_u32 v3, s19, v12, v11
	s_mov_b32 s3, 0x3fb8aa3b
	s_mov_b32 s4, 0xc2ce8ed0
	;; [unrolled: 1-line block ×3, first 2 shown]
	v_mov_b32_e32 v11, 0x7f800000
.LBB118_7:                              ; =>This Inner Loop Header: Depth=1
	v_cmp_gt_f32_e32 vcc, v1, v2
	v_cndmask_b32_e32 v12, v2, v1, vcc
	v_cndmask_b32_e64 v15, 0, 1, vcc
	v_sub_f32_e32 v12, v12, v14
	v_cndmask_b32_e32 v1, v1, v13, vcc
	v_cndmask_b32_e32 v2, v13, v2, vcc
	v_cmp_le_i32_e32 vcc, s9, v15
	v_cmp_gt_i32_e64 s[0:1], s10, v15
	v_mul_f32_e32 v16, 0x3fb8aa3b, v12
	s_and_b64 s[0:1], vcc, s[0:1]
	v_fma_f32 v17, v12, s3, -v16
	v_rndne_f32_e32 v18, v16
	v_subrev_u32_e32 v15, s9, v15
	v_fmac_f32_e32 v17, 0x32a5705f, v12
	v_sub_f32_e32 v16, v16, v18
	s_and_b64 vcc, s[14:15], s[0:1]
	v_cndmask_b32_e32 v15, 2, v15, vcc
	v_add_f32_e32 v16, v16, v17
	v_cvt_i32_f32_e32 v18, v18
	global_store_dword v[6:7], v15, off
	global_store_dword v[4:5], v3, off
	v_add_co_u32_e32 v4, vcc, 4, v4
	v_exp_f32_e32 v15, v16
	v_addc_co_u32_e32 v5, vcc, 0, v5, vcc
	v_add_co_u32_e32 v6, vcc, 4, v6
	v_addc_co_u32_e32 v7, vcc, 0, v7, vcc
	v_ldexp_f32 v15, v15, v18
	v_cmp_ngt_f32_e32 vcc, s4, v12
	v_cndmask_b32_e32 v15, 0, v15, vcc
	v_cmp_nlt_f32_e32 vcc, s5, v12
	v_cndmask_b32_e32 v12, v11, v15, vcc
	s_add_i32 s2, s2, -1
	global_store_dword v[8:9], v12, off
	v_add_co_u32_e32 v8, vcc, 4, v8
	v_add_u32_e32 v3, s18, v3
	s_cmp_eq_u32 s2, 0
	v_add_f32_e32 v10, v10, v12
	v_addc_co_u32_e32 v9, vcc, 0, v9, vcc
	s_cbranch_scc0 .LBB118_7
.LBB118_8:
	v_cmp_neq_f32_e32 vcc, 0, v10
	s_and_b64 exec, exec, vcc
	s_cbranch_execz .LBB118_19
; %bb.9:
	s_andn2_b64 vcc, exec, s[16:17]
	s_cbranch_vccnz .LBB118_19
; %bb.10:
	v_div_scale_f32 v1, s[0:1], v10, v10, 1.0
	s_waitcnt vmcnt(1)
	v_rcp_f32_e32 v2, v1
	v_div_scale_f32 v3, vcc, 1.0, v10, 1.0
	s_cmp_gt_u32 s8, 3
	v_fma_f32 v4, -v1, v2, 1.0
	v_fmac_f32_e32 v2, v4, v2
	v_mul_f32_e32 v4, v3, v2
	v_fma_f32 v5, -v1, v4, v3
	v_fmac_f32_e32 v4, v5, v2
	v_fma_f32 v1, -v1, v4, v3
	v_div_fmas_f32 v1, v1, v2, v4
	v_div_fixup_f32 v2, v1, v10, 1.0
	v_ashrrev_i32_e32 v1, 31, v0
	s_cbranch_scc0 .LBB118_14
; %bb.11:
	v_lshlrev_b64 v[4:5], 2, v[0:1]
	v_mov_b32_e32 v6, s13
	v_add_co_u32_e32 v4, vcc, s12, v4
	v_addc_co_u32_e32 v5, vcc, v5, v6, vcc
	s_and_b32 s4, s8, 0x7ffffffc
	v_add_co_u32_e32 v4, vcc, 8, v4
	v_mov_b32_e32 v3, v2
	v_addc_co_u32_e32 v5, vcc, 0, v5, vcc
	s_mov_b32 s0, s4
.LBB118_12:                             ; =>This Inner Loop Header: Depth=1
	global_load_dwordx4 v[6:9], v[4:5], off offset:-8
	s_add_i32 s0, s0, -4
	s_cmp_lg_u32 s0, 0
	s_waitcnt vmcnt(0)
	v_pk_mul_f32 v[6:7], v[2:3], v[6:7]
	v_pk_mul_f32 v[8:9], v[2:3], v[8:9]
	global_store_dwordx4 v[4:5], v[6:9], off offset:-8
	v_add_co_u32_e32 v4, vcc, 16, v4
	v_addc_co_u32_e32 v5, vcc, 0, v5, vcc
	s_cbranch_scc1 .LBB118_12
; %bb.13:
	s_cmp_lg_u32 s4, s8
	s_cselect_b64 s[0:1], -1, 0
	s_branch .LBB118_16
.LBB118_14:
	s_mov_b64 s[0:1], 0
                                        ; implicit-def: $sgpr4
	s_cbranch_execz .LBB118_16
; %bb.15:
	s_mov_b64 s[0:1], -1
	s_mov_b32 s4, 0
.LBB118_16:
	s_andn2_b64 vcc, exec, s[0:1]
	s_cbranch_vccnz .LBB118_19
; %bb.17:
	v_add_co_u32_e32 v0, vcc, s4, v0
	v_addc_co_u32_e32 v1, vcc, 0, v1, vcc
	v_lshlrev_b64 v[0:1], 2, v[0:1]
	v_mov_b32_e32 v3, s13
	v_add_co_u32_e32 v0, vcc, s12, v0
	s_sub_i32 s0, s8, s4
	v_addc_co_u32_e32 v1, vcc, v3, v1, vcc
.LBB118_18:                             ; =>This Inner Loop Header: Depth=1
	global_load_dword v3, v[0:1], off
	s_add_i32 s0, s0, -1
	s_cmp_lg_u32 s0, 0
	s_waitcnt vmcnt(0)
	v_mul_f32_e32 v3, v2, v3
	global_store_dword v[0:1], v3, off
	v_add_co_u32_e32 v0, vcc, 4, v0
	v_addc_co_u32_e32 v1, vcc, 0, v1, vcc
	s_cbranch_scc1 .LBB118_18
.LBB118_19:
	s_endpgm
	.section	.rodata,"a",@progbits
	.p2align	6, 0x0
	.amdhsa_kernel _ZN4vllm3moe17topkGatingSoftmaxIDF16_Li2ELi2ELi8ELi4ELb1ELi1ELNS0_23SharedExpertScoringFuncE1EEEvPKT_PKbPfiPiS9_iiiiii
		.amdhsa_group_segment_fixed_size 0
		.amdhsa_private_segment_fixed_size 0
		.amdhsa_kernarg_size 72
		.amdhsa_user_sgpr_count 6
		.amdhsa_user_sgpr_private_segment_buffer 1
		.amdhsa_user_sgpr_dispatch_ptr 0
		.amdhsa_user_sgpr_queue_ptr 0
		.amdhsa_user_sgpr_kernarg_segment_ptr 1
		.amdhsa_user_sgpr_dispatch_id 0
		.amdhsa_user_sgpr_flat_scratch_init 0
		.amdhsa_user_sgpr_kernarg_preload_length 0
		.amdhsa_user_sgpr_kernarg_preload_offset 0
		.amdhsa_user_sgpr_private_segment_size 0
		.amdhsa_uses_dynamic_stack 0
		.amdhsa_system_sgpr_private_segment_wavefront_offset 0
		.amdhsa_system_sgpr_workgroup_id_x 1
		.amdhsa_system_sgpr_workgroup_id_y 0
		.amdhsa_system_sgpr_workgroup_id_z 0
		.amdhsa_system_sgpr_workgroup_info 0
		.amdhsa_system_vgpr_workitem_id 1
		.amdhsa_next_free_vgpr 20
		.amdhsa_next_free_sgpr 24
		.amdhsa_accum_offset 20
		.amdhsa_reserve_vcc 1
		.amdhsa_reserve_flat_scratch 0
		.amdhsa_float_round_mode_32 0
		.amdhsa_float_round_mode_16_64 0
		.amdhsa_float_denorm_mode_32 3
		.amdhsa_float_denorm_mode_16_64 3
		.amdhsa_dx10_clamp 1
		.amdhsa_ieee_mode 1
		.amdhsa_fp16_overflow 0
		.amdhsa_tg_split 0
		.amdhsa_exception_fp_ieee_invalid_op 0
		.amdhsa_exception_fp_denorm_src 0
		.amdhsa_exception_fp_ieee_div_zero 0
		.amdhsa_exception_fp_ieee_overflow 0
		.amdhsa_exception_fp_ieee_underflow 0
		.amdhsa_exception_fp_ieee_inexact 0
		.amdhsa_exception_int_div_zero 0
	.end_amdhsa_kernel
	.section	.text._ZN4vllm3moe17topkGatingSoftmaxIDF16_Li2ELi2ELi8ELi4ELb1ELi1ELNS0_23SharedExpertScoringFuncE1EEEvPKT_PKbPfiPiS9_iiiiii,"axG",@progbits,_ZN4vllm3moe17topkGatingSoftmaxIDF16_Li2ELi2ELi8ELi4ELb1ELi1ELNS0_23SharedExpertScoringFuncE1EEEvPKT_PKbPfiPiS9_iiiiii,comdat
.Lfunc_end118:
	.size	_ZN4vllm3moe17topkGatingSoftmaxIDF16_Li2ELi2ELi8ELi4ELb1ELi1ELNS0_23SharedExpertScoringFuncE1EEEvPKT_PKbPfiPiS9_iiiiii, .Lfunc_end118-_ZN4vllm3moe17topkGatingSoftmaxIDF16_Li2ELi2ELi8ELi4ELb1ELi1ELNS0_23SharedExpertScoringFuncE1EEEvPKT_PKbPfiPiS9_iiiiii
                                        ; -- End function
	.section	.AMDGPU.csdata,"",@progbits
; Kernel info:
; codeLenInByte = 1424
; NumSgprs: 28
; NumVgprs: 20
; NumAgprs: 0
; TotalNumVgprs: 20
; ScratchSize: 0
; MemoryBound: 0
; FloatMode: 240
; IeeeMode: 1
; LDSByteSize: 0 bytes/workgroup (compile time only)
; SGPRBlocks: 3
; VGPRBlocks: 2
; NumSGPRsForWavesPerEU: 28
; NumVGPRsForWavesPerEU: 20
; AccumOffset: 20
; Occupancy: 8
; WaveLimiterHint : 0
; COMPUTE_PGM_RSRC2:SCRATCH_EN: 0
; COMPUTE_PGM_RSRC2:USER_SGPR: 6
; COMPUTE_PGM_RSRC2:TRAP_HANDLER: 0
; COMPUTE_PGM_RSRC2:TGID_X_EN: 1
; COMPUTE_PGM_RSRC2:TGID_Y_EN: 0
; COMPUTE_PGM_RSRC2:TGID_Z_EN: 0
; COMPUTE_PGM_RSRC2:TIDIG_COMP_CNT: 1
; COMPUTE_PGM_RSRC3_GFX90A:ACCUM_OFFSET: 4
; COMPUTE_PGM_RSRC3_GFX90A:TG_SPLIT: 0
	.section	.text._ZN4vllm3moe17topkGatingSoftmaxIDF16_Li2ELi2ELi8ELi4ELb0ELi1ELNS0_23SharedExpertScoringFuncE1EEEvPKT_PKbPfiPiS9_iiiiii,"axG",@progbits,_ZN4vllm3moe17topkGatingSoftmaxIDF16_Li2ELi2ELi8ELi4ELb0ELi1ELNS0_23SharedExpertScoringFuncE1EEEvPKT_PKbPfiPiS9_iiiiii,comdat
	.protected	_ZN4vllm3moe17topkGatingSoftmaxIDF16_Li2ELi2ELi8ELi4ELb0ELi1ELNS0_23SharedExpertScoringFuncE1EEEvPKT_PKbPfiPiS9_iiiiii ; -- Begin function _ZN4vllm3moe17topkGatingSoftmaxIDF16_Li2ELi2ELi8ELi4ELb0ELi1ELNS0_23SharedExpertScoringFuncE1EEEvPKT_PKbPfiPiS9_iiiiii
	.globl	_ZN4vllm3moe17topkGatingSoftmaxIDF16_Li2ELi2ELi8ELi4ELb0ELi1ELNS0_23SharedExpertScoringFuncE1EEEvPKT_PKbPfiPiS9_iiiiii
	.p2align	8
	.type	_ZN4vllm3moe17topkGatingSoftmaxIDF16_Li2ELi2ELi8ELi4ELb0ELi1ELNS0_23SharedExpertScoringFuncE1EEEvPKT_PKbPfiPiS9_iiiiii,@function
_ZN4vllm3moe17topkGatingSoftmaxIDF16_Li2ELi2ELi8ELi4ELb0ELi1ELNS0_23SharedExpertScoringFuncE1EEEvPKT_PKbPfiPiS9_iiiiii: ; @_ZN4vllm3moe17topkGatingSoftmaxIDF16_Li2ELi2ELi8ELi4ELb0ELi1ELNS0_23SharedExpertScoringFuncE1EEEvPKT_PKbPfiPiS9_iiiiii
; %bb.0:
	s_load_dword s18, s[4:5], 0x18
	v_bfe_u32 v1, v0, 10, 10
	s_lshl_b32 s22, s6, 9
	v_lshlrev_b32_e32 v15, 6, v1
	v_and_b32_e32 v16, 0x3ff, v0
	v_add3_u32 v17, v15, v16, s22
	s_waitcnt lgkmcnt(0)
	v_cmp_gt_i32_e32 vcc, s18, v17
	s_and_saveexec_b64 s[0:1], vcc
	s_cbranch_execz .LBB119_19
; %bb.1:
	s_load_dwordx4 s[0:3], s[4:5], 0x0
	s_load_dwordx2 s[12:13], s[4:5], 0x10
	s_waitcnt lgkmcnt(0)
	s_cmp_eq_u64 s[2:3], 0
	s_cbranch_scc1 .LBB119_3
; %bb.2:
	v_ashrrev_i32_e32 v1, 31, v17
	v_mov_b32_e32 v2, s3
	v_add_co_u32_e32 v0, vcc, s2, v17
	v_addc_co_u32_e32 v1, vcc, v2, v1, vcc
	global_load_ubyte v0, v[0:1], off
	s_waitcnt vmcnt(0)
	v_and_b32_e32 v0, 1, v0
	v_cmp_eq_u32_e32 vcc, 1, v0
	s_xor_b64 s[2:3], vcc, -1
	s_orn2_b64 s[14:15], s[2:3], exec
	s_branch .LBB119_4
.LBB119_3:
	s_mov_b64 s[14:15], -1
.LBB119_4:
	s_load_dwordx2 s[2:3], s[4:5], 0x40
	s_load_dwordx4 s[8:11], s[4:5], 0x30
	v_mov_b32_e32 v2, s1
	s_mov_b32 s20, 0x3fb8aa3b
	s_mov_b32 s19, 0xc2ce8ed0
	s_waitcnt lgkmcnt(0)
	v_mul_lo_u32 v0, v17, s3
	v_ashrrev_i32_e32 v1, 31, v0
	v_lshlrev_b64 v[0:1], 1, v[0:1]
	v_add_co_u32_e32 v0, vcc, s0, v0
	v_addc_co_u32_e32 v1, vcc, v2, v1, vcc
	global_load_ushort v4, v[0:1], off offset:4
	global_load_dword v8, v[0:1], off
	s_mov_b32 s0, 0x32a5705f
	v_mul_lo_u32 v0, v17, s11
	v_add_u32_e32 v2, s8, v0
	v_ashrrev_i32_e32 v3, 31, v2
	v_lshlrev_b64 v[2:3], 2, v[2:3]
	v_mov_b32_e32 v1, s13
	s_mov_b32 s21, 0x42b17218
	v_mov_b32_e32 v5, 0x7f800000
	s_cmp_gt_i32 s8, 0
	v_mov_b32_e32 v14, 0
	s_cselect_b64 s[16:17], -1, 0
	s_cmp_lt_i32 s8, 1
	s_waitcnt vmcnt(1)
	v_cvt_f32_f16_e64 v9, -v4
	v_mul_f32_e32 v6, 0x3fb8aa3b, v9
	v_fma_mix_f32 v7, -v4, s20, -v6 op_sel_hi:[1,0,0]
	v_rndne_f32_e32 v10, v6
	v_fma_mix_f32 v4, -v4, s0, v7 op_sel_hi:[1,0,0]
	v_sub_f32_e32 v6, v6, v10
	v_add_f32_e32 v4, v6, v4
	v_cvt_i32_f32_e32 v10, v10
	v_exp_f32_e32 v4, v4
	v_add_co_u32_e32 v6, vcc, s12, v2
	v_addc_co_u32_e32 v7, vcc, v1, v3, vcc
	v_ldexp_f32 v1, v4, v10
	v_cmp_ngt_f32_e32 vcc, s19, v9
	v_cndmask_b32_e32 v1, 0, v1, vcc
	v_cmp_nlt_f32_e32 vcc, s21, v9
	v_cndmask_b32_e32 v1, v5, v1, vcc
	v_add_f32_e32 v1, 1.0, v1
	v_div_scale_f32 v4, s[0:1], v1, v1, 1.0
	v_rcp_f32_e32 v9, v4
	v_div_scale_f32 v10, vcc, 1.0, v1, 1.0
	s_waitcnt vmcnt(0)
	v_cvt_f32_f16_e32 v2, v8
	v_fma_f32 v11, -v4, v9, 1.0
	v_fmac_f32_e32 v9, v11, v9
	v_mul_f32_e32 v11, v10, v9
	v_cvt_f32_f16_sdwa v3, v8 dst_sel:DWORD dst_unused:UNUSED_PAD src0_sel:WORD_1
	v_fma_f32 v12, -v4, v11, v10
	v_fmac_f32_e32 v11, v12, v9
	v_fma_f32 v4, -v4, v11, v10
	v_div_fmas_f32 v4, v4, v9, v11
	v_cmp_lt_f16_sdwa vcc, v8, v8 src0_sel:DWORD src1_sel:WORD_1
	v_div_fixup_f32 v1, v4, v1, 1.0
	v_cndmask_b32_e32 v4, v2, v3, vcc
	global_store_dword v[6:7], v1, off
	s_cbranch_scc1 .LBB119_8
; %bb.5:
	v_sub_f32_e32 v1, v4, v4
	v_mul_f32_e32 v7, 0x3fb8aa3b, v1
	v_rndne_f32_e32 v8, v7
	v_sub_f32_e32 v9, v7, v8
	v_fma_f32 v7, v1, s20, -v7
	v_fmac_f32_e32 v7, 0x32a5705f, v1
	v_add_f32_e32 v7, v9, v7
	v_exp_f32_e32 v7, v7
	v_cvt_i32_f32_e32 v8, v8
	v_cndmask_b32_e64 v20, 0, 1, vcc
	v_mul_lo_u32 v6, v17, s2
	v_cmp_le_i32_e64 s[0:1], s9, v20
	v_cmp_gt_i32_e64 s[2:3], s10, v20
	s_and_b64 s[24:25], s[0:1], s[2:3]
	v_ldexp_f32 v7, v7, v8
	v_cmp_ngt_f32_e64 s[0:1], s19, v1
	s_load_dwordx4 s[4:7], s[4:5], 0x20
	v_cndmask_b32_e64 v7, 0, v7, s[0:1]
	v_cmp_nlt_f32_e64 s[0:1], s21, v1
	v_ashrrev_i32_e32 v1, 31, v0
	v_lshlrev_b64 v[10:11], 2, v[0:1]
	v_cndmask_b32_e64 v14, v5, v7, s[0:1]
	v_mov_b32_e32 v1, s13
	v_add_co_u32_e64 v12, s[0:1], s12, v10
	v_addc_co_u32_e64 v13, s[2:3], v1, v11, s[0:1]
	v_ashrrev_i32_e32 v7, 31, v6
	v_subrev_u32_e32 v1, s9, v20
	s_and_b64 s[2:3], s[14:15], s[24:25]
	v_lshlrev_b64 v[8:9], 2, v[6:7]
	v_mul_lo_u32 v18, v17, s8
	v_cndmask_b32_e64 v1, 2, v1, s[2:3]
	s_waitcnt lgkmcnt(0)
	v_mov_b32_e32 v7, s5
	v_add_co_u32_e64 v6, s[2:3], s4, v8
	v_addc_co_u32_e64 v7, s[2:3], v7, v9, s[2:3]
	v_ashrrev_i32_e32 v19, 31, v18
	global_store_dword v[6:7], v1, off
	v_lshlrev_b64 v[6:7], 2, v[18:19]
	v_mov_b32_e32 v1, s7
	v_add_co_u32_e64 v18, s[2:3], s6, v6
	v_addc_co_u32_e64 v19, s[2:3], v1, v7, s[2:3]
	v_mov_b32_e32 v1, 0xff800000
	v_cndmask_b32_e32 v2, v1, v2, vcc
	v_cmp_ne_u32_e32 vcc, 1, v20
	s_cmp_eq_u32 s8, 1
	v_cndmask_b32_e32 v3, v1, v3, vcc
	global_store_dword v[12:13], v14, off
	global_store_dword v[18:19], v17, off
	s_cbranch_scc1 .LBB119_8
; %bb.6:
	v_mov_b32_e32 v10, s7
	v_add_co_u32_e32 v6, vcc, s6, v6
	v_addc_co_u32_e32 v7, vcc, v7, v10, vcc
	v_add_co_u32_e32 v6, vcc, 4, v6
	v_addc_co_u32_e32 v7, vcc, 0, v7, vcc
	v_mov_b32_e32 v10, s5
	v_add_co_u32_e32 v8, vcc, s4, v8
	v_addc_co_u32_e32 v9, vcc, v9, v10, vcc
	v_add_co_u32_e32 v8, vcc, 4, v8
	v_mov_b32_e32 v10, s13
	v_addc_co_u32_e32 v9, vcc, 0, v9, vcc
	v_addc_co_u32_e64 v11, vcc, v11, v10, s[0:1]
	v_add_co_u32_e32 v10, vcc, 4, v12
	s_add_i32 s22, s22, s18
	v_addc_co_u32_e32 v11, vcc, 0, v11, vcc
	s_add_i32 s2, s8, -1
	v_add3_u32 v12, s22, v16, v15
	s_mov_b32 s3, 0x3fb8aa3b
	s_mov_b32 s4, 0xc2ce8ed0
	;; [unrolled: 1-line block ×3, first 2 shown]
	v_mov_b32_e32 v13, 0x7f800000
.LBB119_7:                              ; =>This Inner Loop Header: Depth=1
	v_cmp_gt_f32_e32 vcc, v3, v2
	v_cndmask_b32_e32 v15, v2, v3, vcc
	v_cndmask_b32_e64 v16, 0, 1, vcc
	v_sub_f32_e32 v15, v15, v4
	v_cndmask_b32_e32 v3, v3, v1, vcc
	v_cndmask_b32_e32 v2, v1, v2, vcc
	v_cmp_le_i32_e32 vcc, s9, v16
	v_cmp_gt_i32_e64 s[0:1], s10, v16
	v_mul_f32_e32 v17, 0x3fb8aa3b, v15
	s_and_b64 s[0:1], vcc, s[0:1]
	v_fma_f32 v18, v15, s3, -v17
	v_rndne_f32_e32 v19, v17
	v_subrev_u32_e32 v16, s9, v16
	v_fmac_f32_e32 v18, 0x32a5705f, v15
	v_sub_f32_e32 v17, v17, v19
	s_and_b64 vcc, s[14:15], s[0:1]
	v_cndmask_b32_e32 v16, 2, v16, vcc
	v_add_f32_e32 v17, v17, v18
	v_cvt_i32_f32_e32 v19, v19
	global_store_dword v[8:9], v16, off
	global_store_dword v[6:7], v12, off
	v_add_co_u32_e32 v6, vcc, 4, v6
	v_exp_f32_e32 v16, v17
	v_addc_co_u32_e32 v7, vcc, 0, v7, vcc
	v_add_co_u32_e32 v8, vcc, 4, v8
	v_addc_co_u32_e32 v9, vcc, 0, v9, vcc
	v_ldexp_f32 v16, v16, v19
	v_cmp_ngt_f32_e32 vcc, s4, v15
	v_cndmask_b32_e32 v16, 0, v16, vcc
	v_cmp_nlt_f32_e32 vcc, s5, v15
	v_cndmask_b32_e32 v15, v13, v16, vcc
	s_add_i32 s2, s2, -1
	global_store_dword v[10:11], v15, off
	v_add_co_u32_e32 v10, vcc, 4, v10
	v_add_u32_e32 v12, s18, v12
	s_cmp_eq_u32 s2, 0
	v_add_f32_e32 v14, v14, v15
	v_addc_co_u32_e32 v11, vcc, 0, v11, vcc
	s_cbranch_scc0 .LBB119_7
.LBB119_8:
	v_pk_add_f32 v[2:3], v[2:3], v[4:5] op_sel_hi:[1,0] neg_lo:[0,1] neg_hi:[0,1]
	v_mul_f32_e32 v1, 0x3fb8aa3b, v3
	v_fma_f32 v4, v3, s20, -v1
	v_rndne_f32_e32 v6, v1
	v_fmac_f32_e32 v4, 0x32a5705f, v3
	v_sub_f32_e32 v1, v1, v6
	v_add_f32_e32 v1, v1, v4
	v_cvt_i32_f32_e32 v4, v6
	v_exp_f32_e32 v1, v1
	v_cmp_ngt_f32_e32 vcc, s19, v3
	v_ldexp_f32 v1, v1, v4
	v_mul_f32_e32 v4, 0x3fb8aa3b, v2
	v_fma_f32 v6, v2, s20, -v4
	v_rndne_f32_e32 v7, v4
	v_fmac_f32_e32 v6, 0x32a5705f, v2
	v_sub_f32_e32 v4, v4, v7
	v_add_f32_e32 v4, v4, v6
	v_exp_f32_e32 v4, v4
	v_cvt_i32_f32_e32 v6, v7
	v_cndmask_b32_e32 v1, 0, v1, vcc
	v_cmp_nlt_f32_e32 vcc, s21, v3
	v_cndmask_b32_e32 v1, v5, v1, vcc
	v_ldexp_f32 v3, v4, v6
	v_cmp_ngt_f32_e32 vcc, s19, v2
	v_cndmask_b32_e32 v3, 0, v3, vcc
	v_cmp_nlt_f32_e32 vcc, s21, v2
	v_cndmask_b32_e32 v2, v5, v3, vcc
	v_add_f32_e32 v1, v2, v1
	v_add_f32_e32 v1, v14, v1
	v_cmp_neq_f32_e32 vcc, 0, v1
	s_and_b64 exec, exec, vcc
	s_cbranch_execz .LBB119_19
; %bb.9:
	s_andn2_b64 vcc, exec, s[16:17]
	s_cbranch_vccnz .LBB119_19
; %bb.10:
	v_div_scale_f32 v2, s[0:1], v1, v1, 1.0
	v_rcp_f32_e32 v3, v2
	v_div_scale_f32 v4, vcc, 1.0, v1, 1.0
	s_cmp_gt_u32 s8, 3
	v_fma_f32 v5, -v2, v3, 1.0
	v_fmac_f32_e32 v3, v5, v3
	v_mul_f32_e32 v5, v4, v3
	v_fma_f32 v6, -v2, v5, v4
	v_fmac_f32_e32 v5, v6, v3
	v_fma_f32 v2, -v2, v5, v4
	v_div_fmas_f32 v2, v2, v3, v5
	v_div_fixup_f32 v2, v2, v1, 1.0
	v_ashrrev_i32_e32 v1, 31, v0
	s_cbranch_scc0 .LBB119_14
; %bb.11:
	v_lshlrev_b64 v[4:5], 2, v[0:1]
	v_mov_b32_e32 v6, s13
	v_add_co_u32_e32 v4, vcc, s12, v4
	v_addc_co_u32_e32 v5, vcc, v5, v6, vcc
	s_and_b32 s4, s8, 0x7ffffffc
	v_add_co_u32_e32 v4, vcc, 8, v4
	v_mov_b32_e32 v3, v2
	v_addc_co_u32_e32 v5, vcc, 0, v5, vcc
	s_mov_b32 s0, s4
.LBB119_12:                             ; =>This Inner Loop Header: Depth=1
	global_load_dwordx4 v[6:9], v[4:5], off offset:-8
	s_add_i32 s0, s0, -4
	s_cmp_lg_u32 s0, 0
	s_waitcnt vmcnt(0)
	v_pk_mul_f32 v[6:7], v[2:3], v[6:7]
	v_pk_mul_f32 v[8:9], v[2:3], v[8:9]
	global_store_dwordx4 v[4:5], v[6:9], off offset:-8
	v_add_co_u32_e32 v4, vcc, 16, v4
	v_addc_co_u32_e32 v5, vcc, 0, v5, vcc
	s_cbranch_scc1 .LBB119_12
; %bb.13:
	s_cmp_lg_u32 s4, s8
	s_cselect_b64 s[0:1], -1, 0
	s_branch .LBB119_16
.LBB119_14:
	s_mov_b64 s[0:1], 0
                                        ; implicit-def: $sgpr4
	s_cbranch_execz .LBB119_16
; %bb.15:
	s_mov_b64 s[0:1], -1
	s_mov_b32 s4, 0
.LBB119_16:
	s_andn2_b64 vcc, exec, s[0:1]
	s_cbranch_vccnz .LBB119_19
; %bb.17:
	v_add_co_u32_e32 v0, vcc, s4, v0
	v_addc_co_u32_e32 v1, vcc, 0, v1, vcc
	v_lshlrev_b64 v[0:1], 2, v[0:1]
	v_mov_b32_e32 v3, s13
	v_add_co_u32_e32 v0, vcc, s12, v0
	s_sub_i32 s0, s8, s4
	v_addc_co_u32_e32 v1, vcc, v3, v1, vcc
.LBB119_18:                             ; =>This Inner Loop Header: Depth=1
	global_load_dword v3, v[0:1], off
	s_add_i32 s0, s0, -1
	s_cmp_lg_u32 s0, 0
	s_waitcnt vmcnt(0)
	v_mul_f32_e32 v3, v2, v3
	global_store_dword v[0:1], v3, off
	v_add_co_u32_e32 v0, vcc, 4, v0
	v_addc_co_u32_e32 v1, vcc, 0, v1, vcc
	s_cbranch_scc1 .LBB119_18
.LBB119_19:
	s_endpgm
	.section	.rodata,"a",@progbits
	.p2align	6, 0x0
	.amdhsa_kernel _ZN4vllm3moe17topkGatingSoftmaxIDF16_Li2ELi2ELi8ELi4ELb0ELi1ELNS0_23SharedExpertScoringFuncE1EEEvPKT_PKbPfiPiS9_iiiiii
		.amdhsa_group_segment_fixed_size 0
		.amdhsa_private_segment_fixed_size 0
		.amdhsa_kernarg_size 72
		.amdhsa_user_sgpr_count 6
		.amdhsa_user_sgpr_private_segment_buffer 1
		.amdhsa_user_sgpr_dispatch_ptr 0
		.amdhsa_user_sgpr_queue_ptr 0
		.amdhsa_user_sgpr_kernarg_segment_ptr 1
		.amdhsa_user_sgpr_dispatch_id 0
		.amdhsa_user_sgpr_flat_scratch_init 0
		.amdhsa_user_sgpr_kernarg_preload_length 0
		.amdhsa_user_sgpr_kernarg_preload_offset 0
		.amdhsa_user_sgpr_private_segment_size 0
		.amdhsa_uses_dynamic_stack 0
		.amdhsa_system_sgpr_private_segment_wavefront_offset 0
		.amdhsa_system_sgpr_workgroup_id_x 1
		.amdhsa_system_sgpr_workgroup_id_y 0
		.amdhsa_system_sgpr_workgroup_id_z 0
		.amdhsa_system_sgpr_workgroup_info 0
		.amdhsa_system_vgpr_workitem_id 1
		.amdhsa_next_free_vgpr 21
		.amdhsa_next_free_sgpr 26
		.amdhsa_accum_offset 24
		.amdhsa_reserve_vcc 1
		.amdhsa_reserve_flat_scratch 0
		.amdhsa_float_round_mode_32 0
		.amdhsa_float_round_mode_16_64 0
		.amdhsa_float_denorm_mode_32 3
		.amdhsa_float_denorm_mode_16_64 3
		.amdhsa_dx10_clamp 1
		.amdhsa_ieee_mode 1
		.amdhsa_fp16_overflow 0
		.amdhsa_tg_split 0
		.amdhsa_exception_fp_ieee_invalid_op 0
		.amdhsa_exception_fp_denorm_src 0
		.amdhsa_exception_fp_ieee_div_zero 0
		.amdhsa_exception_fp_ieee_overflow 0
		.amdhsa_exception_fp_ieee_underflow 0
		.amdhsa_exception_fp_ieee_inexact 0
		.amdhsa_exception_int_div_zero 0
	.end_amdhsa_kernel
	.section	.text._ZN4vllm3moe17topkGatingSoftmaxIDF16_Li2ELi2ELi8ELi4ELb0ELi1ELNS0_23SharedExpertScoringFuncE1EEEvPKT_PKbPfiPiS9_iiiiii,"axG",@progbits,_ZN4vllm3moe17topkGatingSoftmaxIDF16_Li2ELi2ELi8ELi4ELb0ELi1ELNS0_23SharedExpertScoringFuncE1EEEvPKT_PKbPfiPiS9_iiiiii,comdat
.Lfunc_end119:
	.size	_ZN4vllm3moe17topkGatingSoftmaxIDF16_Li2ELi2ELi8ELi4ELb0ELi1ELNS0_23SharedExpertScoringFuncE1EEEvPKT_PKbPfiPiS9_iiiiii, .Lfunc_end119-_ZN4vllm3moe17topkGatingSoftmaxIDF16_Li2ELi2ELi8ELi4ELb0ELi1ELNS0_23SharedExpertScoringFuncE1EEEvPKT_PKbPfiPiS9_iiiiii
                                        ; -- End function
	.section	.AMDGPU.csdata,"",@progbits
; Kernel info:
; codeLenInByte = 1572
; NumSgprs: 30
; NumVgprs: 21
; NumAgprs: 0
; TotalNumVgprs: 21
; ScratchSize: 0
; MemoryBound: 0
; FloatMode: 240
; IeeeMode: 1
; LDSByteSize: 0 bytes/workgroup (compile time only)
; SGPRBlocks: 3
; VGPRBlocks: 2
; NumSGPRsForWavesPerEU: 30
; NumVGPRsForWavesPerEU: 21
; AccumOffset: 24
; Occupancy: 8
; WaveLimiterHint : 0
; COMPUTE_PGM_RSRC2:SCRATCH_EN: 0
; COMPUTE_PGM_RSRC2:USER_SGPR: 6
; COMPUTE_PGM_RSRC2:TRAP_HANDLER: 0
; COMPUTE_PGM_RSRC2:TGID_X_EN: 1
; COMPUTE_PGM_RSRC2:TGID_Y_EN: 0
; COMPUTE_PGM_RSRC2:TGID_Z_EN: 0
; COMPUTE_PGM_RSRC2:TIDIG_COMP_CNT: 1
; COMPUTE_PGM_RSRC3_GFX90A:ACCUM_OFFSET: 5
; COMPUTE_PGM_RSRC3_GFX90A:TG_SPLIT: 0
	.section	.text._ZN4vllm3moe17topkGatingSoftmaxIDF16_Li2ELi2ELi8ELi4ELb1ELi2ELNS0_23SharedExpertScoringFuncE1EEEvPKT_PKbPfiPiS9_iiiiii,"axG",@progbits,_ZN4vllm3moe17topkGatingSoftmaxIDF16_Li2ELi2ELi8ELi4ELb1ELi2ELNS0_23SharedExpertScoringFuncE1EEEvPKT_PKbPfiPiS9_iiiiii,comdat
	.protected	_ZN4vllm3moe17topkGatingSoftmaxIDF16_Li2ELi2ELi8ELi4ELb1ELi2ELNS0_23SharedExpertScoringFuncE1EEEvPKT_PKbPfiPiS9_iiiiii ; -- Begin function _ZN4vllm3moe17topkGatingSoftmaxIDF16_Li2ELi2ELi8ELi4ELb1ELi2ELNS0_23SharedExpertScoringFuncE1EEEvPKT_PKbPfiPiS9_iiiiii
	.globl	_ZN4vllm3moe17topkGatingSoftmaxIDF16_Li2ELi2ELi8ELi4ELb1ELi2ELNS0_23SharedExpertScoringFuncE1EEEvPKT_PKbPfiPiS9_iiiiii
	.p2align	8
	.type	_ZN4vllm3moe17topkGatingSoftmaxIDF16_Li2ELi2ELi8ELi4ELb1ELi2ELNS0_23SharedExpertScoringFuncE1EEEvPKT_PKbPfiPiS9_iiiiii,@function
_ZN4vllm3moe17topkGatingSoftmaxIDF16_Li2ELi2ELi8ELi4ELb1ELi2ELNS0_23SharedExpertScoringFuncE1EEEvPKT_PKbPfiPiS9_iiiiii: ; @_ZN4vllm3moe17topkGatingSoftmaxIDF16_Li2ELi2ELi8ELi4ELb1ELi2ELNS0_23SharedExpertScoringFuncE1EEEvPKT_PKbPfiPiS9_iiiiii
; %bb.0:
	s_load_dword s18, s[4:5], 0x18
	v_bfe_u32 v1, v0, 10, 10
	s_lshl_b32 s19, s6, 9
	v_lshlrev_b32_e32 v11, 6, v1
	v_and_b32_e32 v12, 0x3ff, v0
	v_add3_u32 v13, v11, v12, s19
	s_waitcnt lgkmcnt(0)
	v_cmp_gt_i32_e32 vcc, s18, v13
	s_and_saveexec_b64 s[0:1], vcc
	s_cbranch_execz .LBB120_19
; %bb.1:
	s_load_dwordx4 s[0:3], s[4:5], 0x0
	s_load_dwordx2 s[12:13], s[4:5], 0x10
	s_waitcnt lgkmcnt(0)
	s_cmp_eq_u64 s[2:3], 0
	s_cbranch_scc1 .LBB120_3
; %bb.2:
	v_ashrrev_i32_e32 v1, 31, v13
	v_mov_b32_e32 v2, s3
	v_add_co_u32_e32 v0, vcc, s2, v13
	v_addc_co_u32_e32 v1, vcc, v2, v1, vcc
	global_load_ubyte v0, v[0:1], off
	s_waitcnt vmcnt(0)
	v_and_b32_e32 v0, 1, v0
	v_cmp_eq_u32_e32 vcc, 1, v0
	s_xor_b64 s[2:3], vcc, -1
	s_orn2_b64 s[14:15], s[2:3], exec
	s_branch .LBB120_4
.LBB120_3:
	s_mov_b64 s[14:15], -1
.LBB120_4:
	s_load_dwordx2 s[2:3], s[4:5], 0x40
	s_load_dwordx4 s[8:11], s[4:5], 0x30
	v_mov_b32_e32 v2, s1
	v_mov_b32_e32 v6, s13
	s_mov_b32 s20, 0xc2ce8ed0
	s_waitcnt lgkmcnt(0)
	v_mul_lo_u32 v0, v13, s3
	v_ashrrev_i32_e32 v1, 31, v0
	v_lshlrev_b64 v[0:1], 1, v[0:1]
	v_add_co_u32_e32 v0, vcc, s0, v0
	v_addc_co_u32_e32 v1, vcc, v2, v1, vcc
	global_load_dwordx2 v[2:3], v[0:1], off
	s_mov_b32 s3, 0x3fb8aa3b
	s_mov_b32 s0, 0x32a5705f
	v_mul_lo_u32 v0, v13, s11
	v_add_u32_e32 v4, s8, v0
	v_ashrrev_i32_e32 v5, 31, v4
	v_lshlrev_b64 v[4:5], 2, v[4:5]
	v_add_co_u32_e32 v4, vcc, s12, v4
	v_addc_co_u32_e32 v5, vcc, v6, v5, vcc
	s_mov_b32 s21, 0x42b17218
	v_mov_b32_e32 v1, 0x7f800000
	s_cmp_gt_i32 s8, 0
	v_mov_b32_e32 v10, 0
	s_cselect_b64 s[16:17], -1, 0
	s_cmp_lt_i32 s8, 1
	s_waitcnt vmcnt(0)
	v_cvt_f32_f16_e64 v7, -v3
	v_cvt_f32_f16_sdwa v8, -v3 dst_sel:DWORD dst_unused:UNUSED_PAD src0_sel:WORD_1
	v_mul_f32_e32 v9, 0x3fb8aa3b, v7
	v_mul_f32_e32 v14, 0x3fb8aa3b, v8
	v_fma_mix_f32 v15, -v3, s3, -v9 op_sel_hi:[1,0,0]
	v_rndne_f32_e32 v16, v9
	v_fma_mix_f32 v17, -v3, s3, -v14 op_sel:[1,0,0] op_sel_hi:[1,0,0]
	v_rndne_f32_e32 v18, v14
	v_fma_mix_f32 v15, -v3, s0, v15 op_sel_hi:[1,0,0]
	v_sub_f32_e32 v9, v9, v16
	v_fma_mix_f32 v3, -v3, s0, v17 op_sel:[1,0,0] op_sel_hi:[1,0,0]
	v_sub_f32_e32 v14, v14, v18
	v_add_f32_e32 v9, v9, v15
	v_cvt_i32_f32_e32 v16, v16
	v_add_f32_e32 v3, v14, v3
	v_exp_f32_e32 v9, v9
	v_cvt_i32_f32_e32 v17, v18
	v_exp_f32_e32 v3, v3
	v_cmp_ngt_f32_e32 vcc, s20, v7
	v_ldexp_f32 v6, v9, v16
	v_cndmask_b32_e32 v6, 0, v6, vcc
	v_ldexp_f32 v3, v3, v17
	v_cmp_ngt_f32_e32 vcc, s20, v8
	v_cndmask_b32_e32 v3, 0, v3, vcc
	v_cmp_nlt_f32_e32 vcc, s21, v7
	v_cndmask_b32_e32 v6, v1, v6, vcc
	v_cmp_nlt_f32_e32 vcc, s21, v8
	v_cndmask_b32_e32 v7, v1, v3, vcc
	v_pk_add_f32 v[6:7], v[6:7], 1.0 op_sel_hi:[1,0]
	v_div_scale_f32 v3, s[0:1], v7, v7, 1.0
	v_div_scale_f32 v9, s[0:1], v6, v6, 1.0
	v_rcp_f32_e32 v14, v3
	v_rcp_f32_e32 v15, v9
	v_div_scale_f32 v8, vcc, 1.0, v7, 1.0
	v_fma_f32 v17, -v3, v14, 1.0
	v_fma_f32 v18, -v9, v15, 1.0
	v_fmac_f32_e32 v14, v17, v14
	v_div_scale_f32 v16, s[0:1], 1.0, v6, 1.0
	v_fmac_f32_e32 v15, v18, v15
	v_mul_f32_e32 v17, v8, v14
	v_mul_f32_e32 v18, v16, v15
	v_fma_f32 v19, -v3, v17, v8
	v_fma_f32 v20, -v9, v18, v16
	v_fmac_f32_e32 v17, v19, v14
	v_fmac_f32_e32 v18, v20, v15
	v_fma_f32 v3, -v3, v17, v8
	v_fma_f32 v8, -v9, v18, v16
	v_div_fmas_f32 v3, v3, v14, v17
	s_mov_b64 vcc, s[0:1]
	v_div_fixup_f32 v7, v3, v7, 1.0
	v_div_fmas_f32 v3, v8, v15, v18
	v_div_fixup_f32 v6, v3, v6, 1.0
	global_store_dwordx2 v[4:5], v[6:7], off
	s_cbranch_scc1 .LBB120_8
; %bb.5:
	v_cvt_f32_f16_e32 v16, v2
	v_cvt_f32_f16_sdwa v15, v2 dst_sel:DWORD dst_unused:UNUSED_PAD src0_sel:WORD_1
	v_cmp_lt_f16_sdwa vcc, v2, v2 src0_sel:DWORD src1_sel:WORD_1
	v_cndmask_b32_e64 v17, 0, 1, vcc
	v_mul_lo_u32 v4, v13, s2
	v_cndmask_b32_e32 v14, v16, v15, vcc
	v_sub_f32_e32 v2, v14, v14
	v_mul_f32_e32 v3, 0x3fb8aa3b, v2
	v_fma_f32 v5, v2, s3, -v3
	v_rndne_f32_e32 v6, v3
	v_fmac_f32_e32 v5, 0x32a5705f, v2
	v_sub_f32_e32 v3, v3, v6
	v_add_f32_e32 v3, v3, v5
	v_exp_f32_e32 v3, v3
	v_cvt_i32_f32_e32 v5, v6
	v_cmp_le_i32_e64 s[0:1], s9, v17
	v_cmp_gt_i32_e64 s[2:3], s10, v17
	s_and_b64 s[22:23], s[0:1], s[2:3]
	v_ldexp_f32 v3, v3, v5
	v_cmp_ngt_f32_e64 s[0:1], s20, v2
	v_cndmask_b32_e64 v3, 0, v3, s[0:1]
	v_cmp_nlt_f32_e64 s[0:1], s21, v2
	s_load_dwordx4 s[4:7], s[4:5], 0x20
	v_cndmask_b32_e64 v10, v1, v3, s[0:1]
	v_ashrrev_i32_e32 v1, 31, v0
	v_lshlrev_b64 v[2:3], 2, v[0:1]
	v_mov_b32_e32 v1, s13
	v_add_co_u32_e64 v8, s[0:1], s12, v2
	v_addc_co_u32_e64 v9, s[2:3], v1, v3, s[0:1]
	v_ashrrev_i32_e32 v5, 31, v4
	v_subrev_u32_e32 v1, s9, v17
	s_and_b64 s[2:3], s[14:15], s[22:23]
	v_lshlrev_b64 v[6:7], 2, v[4:5]
	v_mul_lo_u32 v18, v13, s8
	v_cndmask_b32_e64 v1, 2, v1, s[2:3]
	s_waitcnt lgkmcnt(0)
	v_mov_b32_e32 v2, s5
	v_add_co_u32_e64 v4, s[2:3], s4, v6
	v_addc_co_u32_e64 v5, s[2:3], v2, v7, s[2:3]
	v_ashrrev_i32_e32 v19, 31, v18
	global_store_dword v[4:5], v1, off
	v_lshlrev_b64 v[4:5], 2, v[18:19]
	v_mov_b32_e32 v1, s7
	v_add_co_u32_e64 v18, s[2:3], s6, v4
	v_addc_co_u32_e64 v19, s[2:3], v1, v5, s[2:3]
	s_cmp_eq_u32 s8, 1
	global_store_dword v[8:9], v10, off
	global_store_dword v[18:19], v13, off
	s_cbranch_scc1 .LBB120_8
; %bb.6:
	v_mov_b32_e32 v13, 0xff800000
	v_cndmask_b32_e32 v2, v13, v16, vcc
	v_cmp_ne_u32_e32 vcc, 1, v17
	v_cndmask_b32_e32 v1, v13, v15, vcc
	v_mov_b32_e32 v9, s7
	v_add_co_u32_e32 v4, vcc, s6, v4
	v_addc_co_u32_e32 v5, vcc, v5, v9, vcc
	v_add_co_u32_e32 v4, vcc, 4, v4
	v_addc_co_u32_e32 v5, vcc, 0, v5, vcc
	v_mov_b32_e32 v9, s5
	v_add_co_u32_e32 v6, vcc, s4, v6
	v_addc_co_u32_e32 v7, vcc, v7, v9, vcc
	v_add_co_u32_e32 v6, vcc, 4, v6
	v_mov_b32_e32 v9, s13
	v_addc_co_u32_e32 v7, vcc, 0, v7, vcc
	v_addc_co_u32_e64 v3, vcc, v3, v9, s[0:1]
	v_add_co_u32_e32 v8, vcc, 4, v8
	s_add_i32 s19, s19, s18
	v_addc_co_u32_e32 v9, vcc, 0, v3, vcc
	s_add_i32 s2, s8, -1
	v_add3_u32 v3, s19, v12, v11
	s_mov_b32 s3, 0x3fb8aa3b
	s_mov_b32 s4, 0xc2ce8ed0
	;; [unrolled: 1-line block ×3, first 2 shown]
	v_mov_b32_e32 v11, 0x7f800000
.LBB120_7:                              ; =>This Inner Loop Header: Depth=1
	v_cmp_gt_f32_e32 vcc, v1, v2
	v_cndmask_b32_e32 v12, v2, v1, vcc
	v_cndmask_b32_e64 v15, 0, 1, vcc
	v_sub_f32_e32 v12, v12, v14
	v_cndmask_b32_e32 v1, v1, v13, vcc
	v_cndmask_b32_e32 v2, v13, v2, vcc
	v_cmp_le_i32_e32 vcc, s9, v15
	v_cmp_gt_i32_e64 s[0:1], s10, v15
	v_mul_f32_e32 v16, 0x3fb8aa3b, v12
	s_and_b64 s[0:1], vcc, s[0:1]
	v_fma_f32 v17, v12, s3, -v16
	v_rndne_f32_e32 v18, v16
	v_subrev_u32_e32 v15, s9, v15
	v_fmac_f32_e32 v17, 0x32a5705f, v12
	v_sub_f32_e32 v16, v16, v18
	s_and_b64 vcc, s[14:15], s[0:1]
	v_cndmask_b32_e32 v15, 2, v15, vcc
	v_add_f32_e32 v16, v16, v17
	v_cvt_i32_f32_e32 v18, v18
	global_store_dword v[6:7], v15, off
	global_store_dword v[4:5], v3, off
	v_add_co_u32_e32 v4, vcc, 4, v4
	v_exp_f32_e32 v15, v16
	v_addc_co_u32_e32 v5, vcc, 0, v5, vcc
	v_add_co_u32_e32 v6, vcc, 4, v6
	v_addc_co_u32_e32 v7, vcc, 0, v7, vcc
	v_ldexp_f32 v15, v15, v18
	v_cmp_ngt_f32_e32 vcc, s4, v12
	v_cndmask_b32_e32 v15, 0, v15, vcc
	v_cmp_nlt_f32_e32 vcc, s5, v12
	v_cndmask_b32_e32 v12, v11, v15, vcc
	s_add_i32 s2, s2, -1
	global_store_dword v[8:9], v12, off
	v_add_co_u32_e32 v8, vcc, 4, v8
	v_add_u32_e32 v3, s18, v3
	s_cmp_eq_u32 s2, 0
	v_add_f32_e32 v10, v10, v12
	v_addc_co_u32_e32 v9, vcc, 0, v9, vcc
	s_cbranch_scc0 .LBB120_7
.LBB120_8:
	v_cmp_neq_f32_e32 vcc, 0, v10
	s_and_b64 exec, exec, vcc
	s_cbranch_execz .LBB120_19
; %bb.9:
	s_andn2_b64 vcc, exec, s[16:17]
	s_cbranch_vccnz .LBB120_19
; %bb.10:
	v_div_scale_f32 v1, s[0:1], v10, v10, 1.0
	v_rcp_f32_e32 v2, v1
	v_div_scale_f32 v3, vcc, 1.0, v10, 1.0
	s_cmp_gt_u32 s8, 3
	v_fma_f32 v4, -v1, v2, 1.0
	v_fmac_f32_e32 v2, v4, v2
	v_mul_f32_e32 v4, v3, v2
	v_fma_f32 v5, -v1, v4, v3
	v_fmac_f32_e32 v4, v5, v2
	v_fma_f32 v1, -v1, v4, v3
	v_div_fmas_f32 v1, v1, v2, v4
	v_div_fixup_f32 v2, v1, v10, 1.0
	v_ashrrev_i32_e32 v1, 31, v0
	s_cbranch_scc0 .LBB120_14
; %bb.11:
	v_lshlrev_b64 v[4:5], 2, v[0:1]
	v_mov_b32_e32 v6, s13
	v_add_co_u32_e32 v4, vcc, s12, v4
	v_addc_co_u32_e32 v5, vcc, v5, v6, vcc
	s_and_b32 s4, s8, 0x7ffffffc
	v_add_co_u32_e32 v4, vcc, 8, v4
	v_mov_b32_e32 v3, v2
	v_addc_co_u32_e32 v5, vcc, 0, v5, vcc
	s_mov_b32 s0, s4
.LBB120_12:                             ; =>This Inner Loop Header: Depth=1
	global_load_dwordx4 v[6:9], v[4:5], off offset:-8
	s_add_i32 s0, s0, -4
	s_cmp_lg_u32 s0, 0
	s_waitcnt vmcnt(0)
	v_pk_mul_f32 v[6:7], v[2:3], v[6:7]
	v_pk_mul_f32 v[8:9], v[2:3], v[8:9]
	global_store_dwordx4 v[4:5], v[6:9], off offset:-8
	v_add_co_u32_e32 v4, vcc, 16, v4
	v_addc_co_u32_e32 v5, vcc, 0, v5, vcc
	s_cbranch_scc1 .LBB120_12
; %bb.13:
	s_cmp_lg_u32 s4, s8
	s_cselect_b64 s[0:1], -1, 0
	s_branch .LBB120_16
.LBB120_14:
	s_mov_b64 s[0:1], 0
                                        ; implicit-def: $sgpr4
	s_cbranch_execz .LBB120_16
; %bb.15:
	s_mov_b64 s[0:1], -1
	s_mov_b32 s4, 0
.LBB120_16:
	s_andn2_b64 vcc, exec, s[0:1]
	s_cbranch_vccnz .LBB120_19
; %bb.17:
	v_add_co_u32_e32 v0, vcc, s4, v0
	v_addc_co_u32_e32 v1, vcc, 0, v1, vcc
	v_lshlrev_b64 v[0:1], 2, v[0:1]
	v_mov_b32_e32 v3, s13
	v_add_co_u32_e32 v0, vcc, s12, v0
	s_sub_i32 s0, s8, s4
	v_addc_co_u32_e32 v1, vcc, v3, v1, vcc
.LBB120_18:                             ; =>This Inner Loop Header: Depth=1
	global_load_dword v3, v[0:1], off
	s_add_i32 s0, s0, -1
	s_cmp_lg_u32 s0, 0
	s_waitcnt vmcnt(0)
	v_mul_f32_e32 v3, v2, v3
	global_store_dword v[0:1], v3, off
	v_add_co_u32_e32 v0, vcc, 4, v0
	v_addc_co_u32_e32 v1, vcc, 0, v1, vcc
	s_cbranch_scc1 .LBB120_18
.LBB120_19:
	s_endpgm
	.section	.rodata,"a",@progbits
	.p2align	6, 0x0
	.amdhsa_kernel _ZN4vllm3moe17topkGatingSoftmaxIDF16_Li2ELi2ELi8ELi4ELb1ELi2ELNS0_23SharedExpertScoringFuncE1EEEvPKT_PKbPfiPiS9_iiiiii
		.amdhsa_group_segment_fixed_size 0
		.amdhsa_private_segment_fixed_size 0
		.amdhsa_kernarg_size 72
		.amdhsa_user_sgpr_count 6
		.amdhsa_user_sgpr_private_segment_buffer 1
		.amdhsa_user_sgpr_dispatch_ptr 0
		.amdhsa_user_sgpr_queue_ptr 0
		.amdhsa_user_sgpr_kernarg_segment_ptr 1
		.amdhsa_user_sgpr_dispatch_id 0
		.amdhsa_user_sgpr_flat_scratch_init 0
		.amdhsa_user_sgpr_kernarg_preload_length 0
		.amdhsa_user_sgpr_kernarg_preload_offset 0
		.amdhsa_user_sgpr_private_segment_size 0
		.amdhsa_uses_dynamic_stack 0
		.amdhsa_system_sgpr_private_segment_wavefront_offset 0
		.amdhsa_system_sgpr_workgroup_id_x 1
		.amdhsa_system_sgpr_workgroup_id_y 0
		.amdhsa_system_sgpr_workgroup_id_z 0
		.amdhsa_system_sgpr_workgroup_info 0
		.amdhsa_system_vgpr_workitem_id 1
		.amdhsa_next_free_vgpr 21
		.amdhsa_next_free_sgpr 24
		.amdhsa_accum_offset 24
		.amdhsa_reserve_vcc 1
		.amdhsa_reserve_flat_scratch 0
		.amdhsa_float_round_mode_32 0
		.amdhsa_float_round_mode_16_64 0
		.amdhsa_float_denorm_mode_32 3
		.amdhsa_float_denorm_mode_16_64 3
		.amdhsa_dx10_clamp 1
		.amdhsa_ieee_mode 1
		.amdhsa_fp16_overflow 0
		.amdhsa_tg_split 0
		.amdhsa_exception_fp_ieee_invalid_op 0
		.amdhsa_exception_fp_denorm_src 0
		.amdhsa_exception_fp_ieee_div_zero 0
		.amdhsa_exception_fp_ieee_overflow 0
		.amdhsa_exception_fp_ieee_underflow 0
		.amdhsa_exception_fp_ieee_inexact 0
		.amdhsa_exception_int_div_zero 0
	.end_amdhsa_kernel
	.section	.text._ZN4vllm3moe17topkGatingSoftmaxIDF16_Li2ELi2ELi8ELi4ELb1ELi2ELNS0_23SharedExpertScoringFuncE1EEEvPKT_PKbPfiPiS9_iiiiii,"axG",@progbits,_ZN4vllm3moe17topkGatingSoftmaxIDF16_Li2ELi2ELi8ELi4ELb1ELi2ELNS0_23SharedExpertScoringFuncE1EEEvPKT_PKbPfiPiS9_iiiiii,comdat
.Lfunc_end120:
	.size	_ZN4vllm3moe17topkGatingSoftmaxIDF16_Li2ELi2ELi8ELi4ELb1ELi2ELNS0_23SharedExpertScoringFuncE1EEEvPKT_PKbPfiPiS9_iiiiii, .Lfunc_end120-_ZN4vllm3moe17topkGatingSoftmaxIDF16_Li2ELi2ELi8ELi4ELb1ELi2ELNS0_23SharedExpertScoringFuncE1EEEvPKT_PKbPfiPiS9_iiiiii
                                        ; -- End function
	.section	.AMDGPU.csdata,"",@progbits
; Kernel info:
; codeLenInByte = 1564
; NumSgprs: 28
; NumVgprs: 21
; NumAgprs: 0
; TotalNumVgprs: 21
; ScratchSize: 0
; MemoryBound: 0
; FloatMode: 240
; IeeeMode: 1
; LDSByteSize: 0 bytes/workgroup (compile time only)
; SGPRBlocks: 3
; VGPRBlocks: 2
; NumSGPRsForWavesPerEU: 28
; NumVGPRsForWavesPerEU: 21
; AccumOffset: 24
; Occupancy: 8
; WaveLimiterHint : 0
; COMPUTE_PGM_RSRC2:SCRATCH_EN: 0
; COMPUTE_PGM_RSRC2:USER_SGPR: 6
; COMPUTE_PGM_RSRC2:TRAP_HANDLER: 0
; COMPUTE_PGM_RSRC2:TGID_X_EN: 1
; COMPUTE_PGM_RSRC2:TGID_Y_EN: 0
; COMPUTE_PGM_RSRC2:TGID_Z_EN: 0
; COMPUTE_PGM_RSRC2:TIDIG_COMP_CNT: 1
; COMPUTE_PGM_RSRC3_GFX90A:ACCUM_OFFSET: 5
; COMPUTE_PGM_RSRC3_GFX90A:TG_SPLIT: 0
	.section	.text._ZN4vllm3moe17topkGatingSoftmaxIDF16_Li2ELi2ELi8ELi4ELb0ELi2ELNS0_23SharedExpertScoringFuncE1EEEvPKT_PKbPfiPiS9_iiiiii,"axG",@progbits,_ZN4vllm3moe17topkGatingSoftmaxIDF16_Li2ELi2ELi8ELi4ELb0ELi2ELNS0_23SharedExpertScoringFuncE1EEEvPKT_PKbPfiPiS9_iiiiii,comdat
	.protected	_ZN4vllm3moe17topkGatingSoftmaxIDF16_Li2ELi2ELi8ELi4ELb0ELi2ELNS0_23SharedExpertScoringFuncE1EEEvPKT_PKbPfiPiS9_iiiiii ; -- Begin function _ZN4vllm3moe17topkGatingSoftmaxIDF16_Li2ELi2ELi8ELi4ELb0ELi2ELNS0_23SharedExpertScoringFuncE1EEEvPKT_PKbPfiPiS9_iiiiii
	.globl	_ZN4vllm3moe17topkGatingSoftmaxIDF16_Li2ELi2ELi8ELi4ELb0ELi2ELNS0_23SharedExpertScoringFuncE1EEEvPKT_PKbPfiPiS9_iiiiii
	.p2align	8
	.type	_ZN4vllm3moe17topkGatingSoftmaxIDF16_Li2ELi2ELi8ELi4ELb0ELi2ELNS0_23SharedExpertScoringFuncE1EEEvPKT_PKbPfiPiS9_iiiiii,@function
_ZN4vllm3moe17topkGatingSoftmaxIDF16_Li2ELi2ELi8ELi4ELb0ELi2ELNS0_23SharedExpertScoringFuncE1EEEvPKT_PKbPfiPiS9_iiiiii: ; @_ZN4vllm3moe17topkGatingSoftmaxIDF16_Li2ELi2ELi8ELi4ELb0ELi2ELNS0_23SharedExpertScoringFuncE1EEEvPKT_PKbPfiPiS9_iiiiii
; %bb.0:
	s_load_dword s18, s[4:5], 0x18
	v_bfe_u32 v1, v0, 10, 10
	s_lshl_b32 s22, s6, 9
	v_lshlrev_b32_e32 v15, 6, v1
	v_and_b32_e32 v16, 0x3ff, v0
	v_add3_u32 v17, v15, v16, s22
	s_waitcnt lgkmcnt(0)
	v_cmp_gt_i32_e32 vcc, s18, v17
	s_and_saveexec_b64 s[0:1], vcc
	s_cbranch_execz .LBB121_19
; %bb.1:
	s_load_dwordx4 s[0:3], s[4:5], 0x0
	s_load_dwordx2 s[12:13], s[4:5], 0x10
	s_waitcnt lgkmcnt(0)
	s_cmp_eq_u64 s[2:3], 0
	s_cbranch_scc1 .LBB121_3
; %bb.2:
	v_ashrrev_i32_e32 v1, 31, v17
	v_mov_b32_e32 v2, s3
	v_add_co_u32_e32 v0, vcc, s2, v17
	v_addc_co_u32_e32 v1, vcc, v2, v1, vcc
	global_load_ubyte v0, v[0:1], off
	s_waitcnt vmcnt(0)
	v_and_b32_e32 v0, 1, v0
	v_cmp_eq_u32_e32 vcc, 1, v0
	s_xor_b64 s[2:3], vcc, -1
	s_orn2_b64 s[14:15], s[2:3], exec
	s_branch .LBB121_4
.LBB121_3:
	s_mov_b64 s[14:15], -1
.LBB121_4:
	s_load_dwordx2 s[2:3], s[4:5], 0x40
	s_load_dwordx4 s[8:11], s[4:5], 0x30
	v_mov_b32_e32 v2, s1
	s_mov_b32 s20, 0x3fb8aa3b
	s_mov_b32 s19, 0xc2ce8ed0
	s_waitcnt lgkmcnt(0)
	v_mul_lo_u32 v0, v17, s3
	v_ashrrev_i32_e32 v1, 31, v0
	v_lshlrev_b64 v[0:1], 1, v[0:1]
	v_add_co_u32_e32 v0, vcc, s0, v0
	v_addc_co_u32_e32 v1, vcc, v2, v1, vcc
	global_load_dwordx2 v[6:7], v[0:1], off
	v_mul_lo_u32 v0, v17, s11
	v_add_u32_e32 v2, s8, v0
	v_ashrrev_i32_e32 v3, 31, v2
	v_lshlrev_b64 v[2:3], 2, v[2:3]
	v_mov_b32_e32 v1, s13
	v_add_co_u32_e32 v8, vcc, s12, v2
	v_addc_co_u32_e32 v9, vcc, v1, v3, vcc
	s_mov_b32 s0, 0x32a5705f
	s_mov_b32 s21, 0x42b17218
	v_mov_b32_e32 v5, 0x7f800000
	s_cmp_gt_i32 s8, 0
	v_mov_b32_e32 v14, 0
	s_cselect_b64 s[16:17], -1, 0
	s_cmp_lt_i32 s8, 1
	s_waitcnt vmcnt(0)
	v_cvt_f32_f16_e64 v10, -v7
	v_cvt_f32_f16_sdwa v4, -v7 dst_sel:DWORD dst_unused:UNUSED_PAD src0_sel:WORD_1
	v_mul_f32_e32 v1, 0x3fb8aa3b, v10
	v_mul_f32_e32 v2, 0x3fb8aa3b, v4
	v_fma_mix_f32 v3, -v7, s20, -v1 op_sel_hi:[1,0,0]
	v_rndne_f32_e32 v11, v1
	v_fma_mix_f32 v12, -v7, s20, -v2 op_sel:[1,0,0] op_sel_hi:[1,0,0]
	v_rndne_f32_e32 v13, v2
	v_fma_mix_f32 v3, -v7, s0, v3 op_sel_hi:[1,0,0]
	v_sub_f32_e32 v1, v1, v11
	v_fma_mix_f32 v7, -v7, s0, v12 op_sel:[1,0,0] op_sel_hi:[1,0,0]
	v_sub_f32_e32 v2, v2, v13
	v_add_f32_e32 v1, v1, v3
	v_cvt_i32_f32_e32 v11, v11
	v_add_f32_e32 v2, v2, v7
	v_exp_f32_e32 v1, v1
	v_cvt_i32_f32_e32 v12, v13
	v_exp_f32_e32 v7, v2
	v_cmp_ngt_f32_e32 vcc, s19, v10
	v_ldexp_f32 v1, v1, v11
	v_cndmask_b32_e32 v1, 0, v1, vcc
	v_ldexp_f32 v7, v7, v12
	v_cmp_ngt_f32_e32 vcc, s19, v4
	v_cndmask_b32_e32 v7, 0, v7, vcc
	v_cmp_nlt_f32_e32 vcc, s21, v10
	v_cndmask_b32_e32 v10, v5, v1, vcc
	v_cmp_nlt_f32_e32 vcc, s21, v4
	v_cndmask_b32_e32 v11, v5, v7, vcc
	v_pk_add_f32 v[10:11], v[10:11], 1.0 op_sel_hi:[1,0]
	v_div_scale_f32 v1, s[0:1], v11, v11, 1.0
	v_div_scale_f32 v7, s[0:1], v10, v10, 1.0
	v_rcp_f32_e32 v12, v1
	v_rcp_f32_e32 v13, v7
	v_div_scale_f32 v4, vcc, 1.0, v11, 1.0
	v_fma_f32 v19, -v1, v12, 1.0
	v_fma_f32 v20, -v7, v13, 1.0
	v_fmac_f32_e32 v12, v19, v12
	v_div_scale_f32 v18, s[0:1], 1.0, v10, 1.0
	v_fmac_f32_e32 v13, v20, v13
	v_mul_f32_e32 v19, v4, v12
	v_mul_f32_e32 v20, v18, v13
	v_fma_f32 v21, -v1, v19, v4
	v_cvt_f32_f16_e32 v2, v6
	v_cvt_f32_f16_sdwa v3, v6 dst_sel:DWORD dst_unused:UNUSED_PAD src0_sel:WORD_1
	v_fma_f32 v22, -v7, v20, v18
	v_fmac_f32_e32 v19, v21, v12
	v_fmac_f32_e32 v20, v22, v13
	v_fma_f32 v1, -v1, v19, v4
	v_fma_f32 v4, -v7, v20, v18
	v_div_fmas_f32 v1, v1, v12, v19
	s_mov_b64 vcc, s[0:1]
	v_div_fixup_f32 v11, v1, v11, 1.0
	v_div_fmas_f32 v1, v4, v13, v20
	v_cmp_lt_f16_sdwa vcc, v6, v6 src0_sel:DWORD src1_sel:WORD_1
	v_div_fixup_f32 v10, v1, v10, 1.0
	v_cndmask_b32_e32 v4, v2, v3, vcc
	global_store_dwordx2 v[8:9], v[10:11], off
	s_cbranch_scc1 .LBB121_8
; %bb.5:
	v_sub_f32_e32 v1, v4, v4
	v_mul_f32_e32 v7, 0x3fb8aa3b, v1
	v_rndne_f32_e32 v8, v7
	v_sub_f32_e32 v9, v7, v8
	v_fma_f32 v7, v1, s20, -v7
	v_fmac_f32_e32 v7, 0x32a5705f, v1
	v_add_f32_e32 v7, v9, v7
	v_exp_f32_e32 v7, v7
	v_cvt_i32_f32_e32 v8, v8
	v_cndmask_b32_e64 v20, 0, 1, vcc
	v_mul_lo_u32 v6, v17, s2
	v_cmp_le_i32_e64 s[0:1], s9, v20
	v_cmp_gt_i32_e64 s[2:3], s10, v20
	s_and_b64 s[24:25], s[0:1], s[2:3]
	v_ldexp_f32 v7, v7, v8
	v_cmp_ngt_f32_e64 s[0:1], s19, v1
	s_load_dwordx4 s[4:7], s[4:5], 0x20
	v_cndmask_b32_e64 v7, 0, v7, s[0:1]
	v_cmp_nlt_f32_e64 s[0:1], s21, v1
	v_ashrrev_i32_e32 v1, 31, v0
	v_lshlrev_b64 v[10:11], 2, v[0:1]
	v_cndmask_b32_e64 v14, v5, v7, s[0:1]
	v_mov_b32_e32 v1, s13
	v_add_co_u32_e64 v12, s[0:1], s12, v10
	v_addc_co_u32_e64 v13, s[2:3], v1, v11, s[0:1]
	v_ashrrev_i32_e32 v7, 31, v6
	v_subrev_u32_e32 v1, s9, v20
	s_and_b64 s[2:3], s[14:15], s[24:25]
	v_lshlrev_b64 v[8:9], 2, v[6:7]
	v_mul_lo_u32 v18, v17, s8
	v_cndmask_b32_e64 v1, 2, v1, s[2:3]
	s_waitcnt lgkmcnt(0)
	v_mov_b32_e32 v7, s5
	v_add_co_u32_e64 v6, s[2:3], s4, v8
	v_addc_co_u32_e64 v7, s[2:3], v7, v9, s[2:3]
	v_ashrrev_i32_e32 v19, 31, v18
	global_store_dword v[6:7], v1, off
	v_lshlrev_b64 v[6:7], 2, v[18:19]
	v_mov_b32_e32 v1, s7
	v_add_co_u32_e64 v18, s[2:3], s6, v6
	v_addc_co_u32_e64 v19, s[2:3], v1, v7, s[2:3]
	v_mov_b32_e32 v1, 0xff800000
	v_cndmask_b32_e32 v2, v1, v2, vcc
	v_cmp_ne_u32_e32 vcc, 1, v20
	s_cmp_eq_u32 s8, 1
	v_cndmask_b32_e32 v3, v1, v3, vcc
	global_store_dword v[12:13], v14, off
	global_store_dword v[18:19], v17, off
	s_cbranch_scc1 .LBB121_8
; %bb.6:
	v_mov_b32_e32 v10, s7
	v_add_co_u32_e32 v6, vcc, s6, v6
	v_addc_co_u32_e32 v7, vcc, v7, v10, vcc
	v_add_co_u32_e32 v6, vcc, 4, v6
	v_addc_co_u32_e32 v7, vcc, 0, v7, vcc
	v_mov_b32_e32 v10, s5
	v_add_co_u32_e32 v8, vcc, s4, v8
	v_addc_co_u32_e32 v9, vcc, v9, v10, vcc
	v_add_co_u32_e32 v8, vcc, 4, v8
	v_mov_b32_e32 v10, s13
	v_addc_co_u32_e32 v9, vcc, 0, v9, vcc
	v_addc_co_u32_e64 v11, vcc, v11, v10, s[0:1]
	v_add_co_u32_e32 v10, vcc, 4, v12
	s_add_i32 s22, s22, s18
	v_addc_co_u32_e32 v11, vcc, 0, v11, vcc
	s_add_i32 s2, s8, -1
	v_add3_u32 v12, s22, v16, v15
	s_mov_b32 s3, 0x3fb8aa3b
	s_mov_b32 s4, 0xc2ce8ed0
	;; [unrolled: 1-line block ×3, first 2 shown]
	v_mov_b32_e32 v13, 0x7f800000
.LBB121_7:                              ; =>This Inner Loop Header: Depth=1
	v_cmp_gt_f32_e32 vcc, v3, v2
	v_cndmask_b32_e32 v15, v2, v3, vcc
	v_cndmask_b32_e64 v16, 0, 1, vcc
	v_sub_f32_e32 v15, v15, v4
	v_cndmask_b32_e32 v3, v3, v1, vcc
	v_cndmask_b32_e32 v2, v1, v2, vcc
	v_cmp_le_i32_e32 vcc, s9, v16
	v_cmp_gt_i32_e64 s[0:1], s10, v16
	v_mul_f32_e32 v17, 0x3fb8aa3b, v15
	s_and_b64 s[0:1], vcc, s[0:1]
	v_fma_f32 v18, v15, s3, -v17
	v_rndne_f32_e32 v19, v17
	v_subrev_u32_e32 v16, s9, v16
	v_fmac_f32_e32 v18, 0x32a5705f, v15
	v_sub_f32_e32 v17, v17, v19
	s_and_b64 vcc, s[14:15], s[0:1]
	v_cndmask_b32_e32 v16, 2, v16, vcc
	v_add_f32_e32 v17, v17, v18
	v_cvt_i32_f32_e32 v19, v19
	global_store_dword v[8:9], v16, off
	global_store_dword v[6:7], v12, off
	v_add_co_u32_e32 v6, vcc, 4, v6
	v_exp_f32_e32 v16, v17
	v_addc_co_u32_e32 v7, vcc, 0, v7, vcc
	v_add_co_u32_e32 v8, vcc, 4, v8
	v_addc_co_u32_e32 v9, vcc, 0, v9, vcc
	v_ldexp_f32 v16, v16, v19
	v_cmp_ngt_f32_e32 vcc, s4, v15
	v_cndmask_b32_e32 v16, 0, v16, vcc
	v_cmp_nlt_f32_e32 vcc, s5, v15
	v_cndmask_b32_e32 v15, v13, v16, vcc
	s_add_i32 s2, s2, -1
	global_store_dword v[10:11], v15, off
	v_add_co_u32_e32 v10, vcc, 4, v10
	v_add_u32_e32 v12, s18, v12
	s_cmp_eq_u32 s2, 0
	v_add_f32_e32 v14, v14, v15
	v_addc_co_u32_e32 v11, vcc, 0, v11, vcc
	s_cbranch_scc0 .LBB121_7
.LBB121_8:
	v_pk_add_f32 v[2:3], v[2:3], v[4:5] op_sel_hi:[1,0] neg_lo:[0,1] neg_hi:[0,1]
	v_mul_f32_e32 v1, 0x3fb8aa3b, v3
	v_fma_f32 v4, v3, s20, -v1
	v_rndne_f32_e32 v6, v1
	v_fmac_f32_e32 v4, 0x32a5705f, v3
	v_sub_f32_e32 v1, v1, v6
	v_add_f32_e32 v1, v1, v4
	v_cvt_i32_f32_e32 v4, v6
	v_exp_f32_e32 v1, v1
	v_cmp_ngt_f32_e32 vcc, s19, v3
	v_ldexp_f32 v1, v1, v4
	v_mul_f32_e32 v4, 0x3fb8aa3b, v2
	v_fma_f32 v6, v2, s20, -v4
	v_rndne_f32_e32 v7, v4
	v_fmac_f32_e32 v6, 0x32a5705f, v2
	v_sub_f32_e32 v4, v4, v7
	v_add_f32_e32 v4, v4, v6
	v_exp_f32_e32 v4, v4
	v_cvt_i32_f32_e32 v6, v7
	v_cndmask_b32_e32 v1, 0, v1, vcc
	v_cmp_nlt_f32_e32 vcc, s21, v3
	v_cndmask_b32_e32 v1, v5, v1, vcc
	v_ldexp_f32 v3, v4, v6
	v_cmp_ngt_f32_e32 vcc, s19, v2
	v_cndmask_b32_e32 v3, 0, v3, vcc
	v_cmp_nlt_f32_e32 vcc, s21, v2
	v_cndmask_b32_e32 v2, v5, v3, vcc
	v_add_f32_e32 v1, v2, v1
	v_add_f32_e32 v1, v14, v1
	v_cmp_neq_f32_e32 vcc, 0, v1
	s_and_b64 exec, exec, vcc
	s_cbranch_execz .LBB121_19
; %bb.9:
	s_andn2_b64 vcc, exec, s[16:17]
	s_cbranch_vccnz .LBB121_19
; %bb.10:
	v_div_scale_f32 v2, s[0:1], v1, v1, 1.0
	v_rcp_f32_e32 v3, v2
	v_div_scale_f32 v4, vcc, 1.0, v1, 1.0
	s_cmp_gt_u32 s8, 3
	v_fma_f32 v5, -v2, v3, 1.0
	v_fmac_f32_e32 v3, v5, v3
	v_mul_f32_e32 v5, v4, v3
	v_fma_f32 v6, -v2, v5, v4
	v_fmac_f32_e32 v5, v6, v3
	v_fma_f32 v2, -v2, v5, v4
	v_div_fmas_f32 v2, v2, v3, v5
	v_div_fixup_f32 v2, v2, v1, 1.0
	v_ashrrev_i32_e32 v1, 31, v0
	s_cbranch_scc0 .LBB121_14
; %bb.11:
	v_lshlrev_b64 v[4:5], 2, v[0:1]
	v_mov_b32_e32 v6, s13
	v_add_co_u32_e32 v4, vcc, s12, v4
	v_addc_co_u32_e32 v5, vcc, v5, v6, vcc
	s_and_b32 s4, s8, 0x7ffffffc
	v_add_co_u32_e32 v4, vcc, 8, v4
	v_mov_b32_e32 v3, v2
	v_addc_co_u32_e32 v5, vcc, 0, v5, vcc
	s_mov_b32 s0, s4
.LBB121_12:                             ; =>This Inner Loop Header: Depth=1
	global_load_dwordx4 v[6:9], v[4:5], off offset:-8
	s_add_i32 s0, s0, -4
	s_cmp_lg_u32 s0, 0
	s_waitcnt vmcnt(0)
	v_pk_mul_f32 v[6:7], v[2:3], v[6:7]
	v_pk_mul_f32 v[8:9], v[2:3], v[8:9]
	global_store_dwordx4 v[4:5], v[6:9], off offset:-8
	v_add_co_u32_e32 v4, vcc, 16, v4
	v_addc_co_u32_e32 v5, vcc, 0, v5, vcc
	s_cbranch_scc1 .LBB121_12
; %bb.13:
	s_cmp_lg_u32 s4, s8
	s_cselect_b64 s[0:1], -1, 0
	s_branch .LBB121_16
.LBB121_14:
	s_mov_b64 s[0:1], 0
                                        ; implicit-def: $sgpr4
	s_cbranch_execz .LBB121_16
; %bb.15:
	s_mov_b64 s[0:1], -1
	s_mov_b32 s4, 0
.LBB121_16:
	s_andn2_b64 vcc, exec, s[0:1]
	s_cbranch_vccnz .LBB121_19
; %bb.17:
	v_add_co_u32_e32 v0, vcc, s4, v0
	v_addc_co_u32_e32 v1, vcc, 0, v1, vcc
	v_lshlrev_b64 v[0:1], 2, v[0:1]
	v_mov_b32_e32 v3, s13
	v_add_co_u32_e32 v0, vcc, s12, v0
	s_sub_i32 s0, s8, s4
	v_addc_co_u32_e32 v1, vcc, v3, v1, vcc
.LBB121_18:                             ; =>This Inner Loop Header: Depth=1
	global_load_dword v3, v[0:1], off
	s_add_i32 s0, s0, -1
	s_cmp_lg_u32 s0, 0
	s_waitcnt vmcnt(0)
	v_mul_f32_e32 v3, v2, v3
	global_store_dword v[0:1], v3, off
	v_add_co_u32_e32 v0, vcc, 4, v0
	v_addc_co_u32_e32 v1, vcc, 0, v1, vcc
	s_cbranch_scc1 .LBB121_18
.LBB121_19:
	s_endpgm
	.section	.rodata,"a",@progbits
	.p2align	6, 0x0
	.amdhsa_kernel _ZN4vllm3moe17topkGatingSoftmaxIDF16_Li2ELi2ELi8ELi4ELb0ELi2ELNS0_23SharedExpertScoringFuncE1EEEvPKT_PKbPfiPiS9_iiiiii
		.amdhsa_group_segment_fixed_size 0
		.amdhsa_private_segment_fixed_size 0
		.amdhsa_kernarg_size 72
		.amdhsa_user_sgpr_count 6
		.amdhsa_user_sgpr_private_segment_buffer 1
		.amdhsa_user_sgpr_dispatch_ptr 0
		.amdhsa_user_sgpr_queue_ptr 0
		.amdhsa_user_sgpr_kernarg_segment_ptr 1
		.amdhsa_user_sgpr_dispatch_id 0
		.amdhsa_user_sgpr_flat_scratch_init 0
		.amdhsa_user_sgpr_kernarg_preload_length 0
		.amdhsa_user_sgpr_kernarg_preload_offset 0
		.amdhsa_user_sgpr_private_segment_size 0
		.amdhsa_uses_dynamic_stack 0
		.amdhsa_system_sgpr_private_segment_wavefront_offset 0
		.amdhsa_system_sgpr_workgroup_id_x 1
		.amdhsa_system_sgpr_workgroup_id_y 0
		.amdhsa_system_sgpr_workgroup_id_z 0
		.amdhsa_system_sgpr_workgroup_info 0
		.amdhsa_system_vgpr_workitem_id 1
		.amdhsa_next_free_vgpr 23
		.amdhsa_next_free_sgpr 26
		.amdhsa_accum_offset 24
		.amdhsa_reserve_vcc 1
		.amdhsa_reserve_flat_scratch 0
		.amdhsa_float_round_mode_32 0
		.amdhsa_float_round_mode_16_64 0
		.amdhsa_float_denorm_mode_32 3
		.amdhsa_float_denorm_mode_16_64 3
		.amdhsa_dx10_clamp 1
		.amdhsa_ieee_mode 1
		.amdhsa_fp16_overflow 0
		.amdhsa_tg_split 0
		.amdhsa_exception_fp_ieee_invalid_op 0
		.amdhsa_exception_fp_denorm_src 0
		.amdhsa_exception_fp_ieee_div_zero 0
		.amdhsa_exception_fp_ieee_overflow 0
		.amdhsa_exception_fp_ieee_underflow 0
		.amdhsa_exception_fp_ieee_inexact 0
		.amdhsa_exception_int_div_zero 0
	.end_amdhsa_kernel
	.section	.text._ZN4vllm3moe17topkGatingSoftmaxIDF16_Li2ELi2ELi8ELi4ELb0ELi2ELNS0_23SharedExpertScoringFuncE1EEEvPKT_PKbPfiPiS9_iiiiii,"axG",@progbits,_ZN4vllm3moe17topkGatingSoftmaxIDF16_Li2ELi2ELi8ELi4ELb0ELi2ELNS0_23SharedExpertScoringFuncE1EEEvPKT_PKbPfiPiS9_iiiiii,comdat
.Lfunc_end121:
	.size	_ZN4vllm3moe17topkGatingSoftmaxIDF16_Li2ELi2ELi8ELi4ELb0ELi2ELNS0_23SharedExpertScoringFuncE1EEEvPKT_PKbPfiPiS9_iiiiii, .Lfunc_end121-_ZN4vllm3moe17topkGatingSoftmaxIDF16_Li2ELi2ELi8ELi4ELb0ELi2ELNS0_23SharedExpertScoringFuncE1EEEvPKT_PKbPfiPiS9_iiiiii
                                        ; -- End function
	.section	.AMDGPU.csdata,"",@progbits
; Kernel info:
; codeLenInByte = 1716
; NumSgprs: 30
; NumVgprs: 23
; NumAgprs: 0
; TotalNumVgprs: 23
; ScratchSize: 0
; MemoryBound: 0
; FloatMode: 240
; IeeeMode: 1
; LDSByteSize: 0 bytes/workgroup (compile time only)
; SGPRBlocks: 3
; VGPRBlocks: 2
; NumSGPRsForWavesPerEU: 30
; NumVGPRsForWavesPerEU: 23
; AccumOffset: 24
; Occupancy: 8
; WaveLimiterHint : 0
; COMPUTE_PGM_RSRC2:SCRATCH_EN: 0
; COMPUTE_PGM_RSRC2:USER_SGPR: 6
; COMPUTE_PGM_RSRC2:TRAP_HANDLER: 0
; COMPUTE_PGM_RSRC2:TGID_X_EN: 1
; COMPUTE_PGM_RSRC2:TGID_Y_EN: 0
; COMPUTE_PGM_RSRC2:TGID_Z_EN: 0
; COMPUTE_PGM_RSRC2:TIDIG_COMP_CNT: 1
; COMPUTE_PGM_RSRC3_GFX90A:ACCUM_OFFSET: 5
; COMPUTE_PGM_RSRC3_GFX90A:TG_SPLIT: 0
	.section	.text._ZN4vllm3moe17topkGatingSoftmaxIDF16_Li2ELi2ELi8ELi4ELb1ELi4ELNS0_23SharedExpertScoringFuncE1EEEvPKT_PKbPfiPiS9_iiiiii,"axG",@progbits,_ZN4vllm3moe17topkGatingSoftmaxIDF16_Li2ELi2ELi8ELi4ELb1ELi4ELNS0_23SharedExpertScoringFuncE1EEEvPKT_PKbPfiPiS9_iiiiii,comdat
	.protected	_ZN4vllm3moe17topkGatingSoftmaxIDF16_Li2ELi2ELi8ELi4ELb1ELi4ELNS0_23SharedExpertScoringFuncE1EEEvPKT_PKbPfiPiS9_iiiiii ; -- Begin function _ZN4vllm3moe17topkGatingSoftmaxIDF16_Li2ELi2ELi8ELi4ELb1ELi4ELNS0_23SharedExpertScoringFuncE1EEEvPKT_PKbPfiPiS9_iiiiii
	.globl	_ZN4vllm3moe17topkGatingSoftmaxIDF16_Li2ELi2ELi8ELi4ELb1ELi4ELNS0_23SharedExpertScoringFuncE1EEEvPKT_PKbPfiPiS9_iiiiii
	.p2align	8
	.type	_ZN4vllm3moe17topkGatingSoftmaxIDF16_Li2ELi2ELi8ELi4ELb1ELi4ELNS0_23SharedExpertScoringFuncE1EEEvPKT_PKbPfiPiS9_iiiiii,@function
_ZN4vllm3moe17topkGatingSoftmaxIDF16_Li2ELi2ELi8ELi4ELb1ELi4ELNS0_23SharedExpertScoringFuncE1EEEvPKT_PKbPfiPiS9_iiiiii: ; @_ZN4vllm3moe17topkGatingSoftmaxIDF16_Li2ELi2ELi8ELi4ELb1ELi4ELNS0_23SharedExpertScoringFuncE1EEEvPKT_PKbPfiPiS9_iiiiii
; %bb.0:
	s_load_dword s20, s[4:5], 0x18
	v_bfe_u32 v1, v0, 10, 10
	s_lshl_b32 s21, s6, 9
	v_lshlrev_b32_e32 v13, 6, v1
	v_and_b32_e32 v14, 0x3ff, v0
	v_add3_u32 v15, v13, v14, s21
	s_waitcnt lgkmcnt(0)
	v_cmp_gt_i32_e32 vcc, s20, v15
	s_and_saveexec_b64 s[0:1], vcc
	s_cbranch_execz .LBB122_19
; %bb.1:
	s_load_dwordx4 s[0:3], s[4:5], 0x0
	s_load_dwordx2 s[12:13], s[4:5], 0x10
	s_waitcnt lgkmcnt(0)
	s_cmp_eq_u64 s[2:3], 0
	s_cbranch_scc1 .LBB122_3
; %bb.2:
	v_ashrrev_i32_e32 v1, 31, v15
	v_mov_b32_e32 v2, s3
	v_add_co_u32_e32 v0, vcc, s2, v15
	v_addc_co_u32_e32 v1, vcc, v2, v1, vcc
	global_load_ubyte v0, v[0:1], off
	s_waitcnt vmcnt(0)
	v_and_b32_e32 v0, 1, v0
	v_cmp_eq_u32_e32 vcc, 1, v0
	s_xor_b64 s[2:3], vcc, -1
	s_orn2_b64 s[14:15], s[2:3], exec
	s_branch .LBB122_4
.LBB122_3:
	s_mov_b64 s[14:15], -1
.LBB122_4:
	s_load_dwordx2 s[16:17], s[4:5], 0x40
	s_load_dwordx4 s[8:11], s[4:5], 0x30
	v_mov_b32_e32 v2, s1
	v_mov_b32_e32 v5, s13
	s_mov_b32 s22, 0x3fb8aa3b
	s_waitcnt lgkmcnt(0)
	v_mul_lo_u32 v0, v15, s17
	v_ashrrev_i32_e32 v1, 31, v0
	v_lshlrev_b64 v[0:1], 1, v[0:1]
	v_add_co_u32_e32 v0, vcc, s0, v0
	v_addc_co_u32_e32 v1, vcc, v2, v1, vcc
	global_load_dwordx3 v[0:2], v[0:1], off
	v_mul_lo_u32 v4, v15, s11
	v_add_u32_e32 v6, s8, v4
	v_ashrrev_i32_e32 v7, 31, v6
	v_lshlrev_b64 v[6:7], 2, v[6:7]
	v_add_co_u32_e32 v10, vcc, s12, v6
	v_addc_co_u32_e32 v11, vcc, v5, v7, vcc
	s_mov_b32 s0, 0x32a5705f
	s_mov_b32 s17, 0xc2ce8ed0
	;; [unrolled: 1-line block ×3, first 2 shown]
	v_mov_b32_e32 v3, 0x7f800000
	s_cmp_gt_i32 s8, 0
	v_mov_b32_e32 v12, 0
	s_cselect_b64 s[18:19], -1, 0
	s_cmp_lt_i32 s8, 1
	s_waitcnt vmcnt(0)
	v_cvt_f32_f16_e64 v5, -v1
	v_cvt_f32_f16_sdwa v7, -v1 dst_sel:DWORD dst_unused:UNUSED_PAD src0_sel:WORD_1
	v_cvt_f32_f16_e64 v8, -v2
	v_cvt_f32_f16_sdwa v9, -v2 dst_sel:DWORD dst_unused:UNUSED_PAD src0_sel:WORD_1
	v_mul_f32_e32 v6, 0x3fb8aa3b, v5
	v_mul_f32_e32 v16, 0x3fb8aa3b, v7
	v_fma_mix_f32 v19, -v1, s22, -v6 op_sel_hi:[1,0,0]
	v_rndne_f32_e32 v20, v6
	v_mul_f32_e32 v17, 0x3fb8aa3b, v8
	v_fma_mix_f32 v21, -v1, s22, -v16 op_sel:[1,0,0] op_sel_hi:[1,0,0]
	v_rndne_f32_e32 v22, v16
	v_fma_mix_f32 v19, -v1, s0, v19 op_sel_hi:[1,0,0]
	v_sub_f32_e32 v6, v6, v20
	v_mul_f32_e32 v18, 0x3fb8aa3b, v9
	v_fma_mix_f32 v23, -v2, s22, -v17 op_sel_hi:[1,0,0]
	v_rndne_f32_e32 v24, v17
	v_fma_mix_f32 v1, -v1, s0, v21 op_sel:[1,0,0] op_sel_hi:[1,0,0]
	v_sub_f32_e32 v16, v16, v22
	v_add_f32_e32 v6, v6, v19
	v_fma_mix_f32 v25, -v2, s22, -v18 op_sel:[1,0,0] op_sel_hi:[1,0,0]
	v_rndne_f32_e32 v26, v18
	v_cvt_i32_f32_e32 v20, v20
	v_cvt_i32_f32_e32 v21, v22
	v_fma_mix_f32 v22, -v2, s0, v23 op_sel_hi:[1,0,0]
	v_sub_f32_e32 v17, v17, v24
	v_add_f32_e32 v1, v16, v1
	v_exp_f32_e32 v6, v6
	v_fma_mix_f32 v2, -v2, s0, v25 op_sel:[1,0,0] op_sel_hi:[1,0,0]
	v_sub_f32_e32 v18, v18, v26
	v_add_f32_e32 v16, v17, v22
	v_exp_f32_e32 v1, v1
	v_cvt_i32_f32_e32 v23, v24
	v_add_f32_e32 v2, v18, v2
	v_exp_f32_e32 v16, v16
	v_cvt_i32_f32_e32 v24, v26
	v_exp_f32_e32 v2, v2
	v_ldexp_f32 v6, v6, v20
	v_cmp_ngt_f32_e32 vcc, s17, v5
	v_ldexp_f32 v1, v1, v21
	v_cndmask_b32_e32 v6, 0, v6, vcc
	v_cmp_ngt_f32_e32 vcc, s17, v7
	v_ldexp_f32 v16, v16, v23
	v_cndmask_b32_e32 v1, 0, v1, vcc
	;; [unrolled: 3-line block ×3, first 2 shown]
	v_cmp_ngt_f32_e32 vcc, s17, v9
	v_cndmask_b32_e32 v2, 0, v2, vcc
	v_cmp_nlt_f32_e32 vcc, s23, v5
	v_cndmask_b32_e32 v6, v3, v6, vcc
	v_cmp_nlt_f32_e32 vcc, s23, v7
	;; [unrolled: 2-line block ×4, first 2 shown]
	v_pk_add_f32 v[6:7], v[6:7], 1.0 op_sel_hi:[1,0]
	v_cndmask_b32_e32 v9, v3, v2, vcc
	v_div_scale_f32 v1, s[0:1], v7, v7, 1.0
	v_pk_add_f32 v[8:9], v[8:9], 1.0 op_sel_hi:[1,0]
	v_div_scale_f32 v5, s[0:1], v6, v6, 1.0
	v_rcp_f32_e32 v18, v1
	v_div_scale_f32 v17, s[2:3], v9, v9, 1.0
	v_rcp_f32_e32 v19, v5
	v_rcp_f32_e32 v20, v17
	v_fma_f32 v22, -v1, v18, 1.0
	v_div_scale_f32 v2, vcc, 1.0, v7, 1.0
	v_fma_f32 v23, -v5, v19, 1.0
	v_fmac_f32_e32 v18, v22, v18
	v_div_scale_f32 v16, s[0:1], 1.0, v6, 1.0
	v_fma_f32 v24, -v17, v20, 1.0
	v_fmac_f32_e32 v19, v23, v19
	v_mul_f32_e32 v22, v2, v18
	v_fmac_f32_e32 v20, v24, v20
	v_mul_f32_e32 v23, v16, v19
	v_fma_f32 v24, -v1, v22, v2
	v_fma_f32 v25, -v5, v23, v16
	v_fmac_f32_e32 v22, v24, v18
	v_fmac_f32_e32 v23, v25, v19
	v_fma_f32 v1, -v1, v22, v2
	v_fma_f32 v2, -v5, v23, v16
	v_div_fmas_f32 v1, v1, v18, v22
	s_mov_b64 vcc, s[0:1]
	v_div_scale_f32 v21, s[2:3], 1.0, v9, 1.0
	v_div_fixup_f32 v7, v1, v7, 1.0
	v_div_fmas_f32 v1, v2, v19, v23
	v_div_fixup_f32 v6, v1, v6, 1.0
	v_mul_f32_e32 v1, v21, v20
	v_div_scale_f32 v5, s[0:1], v8, v8, 1.0
	v_fma_f32 v2, -v17, v1, v21
	v_rcp_f32_e32 v16, v5
	v_fmac_f32_e32 v1, v2, v20
	v_fma_f32 v2, -v17, v1, v21
	s_mov_b64 vcc, s[2:3]
	v_div_fmas_f32 v1, v2, v20, v1
	v_div_fixup_f32 v9, v1, v9, 1.0
	v_fma_f32 v1, -v5, v16, 1.0
	v_fmac_f32_e32 v16, v1, v16
	v_div_scale_f32 v1, vcc, 1.0, v8, 1.0
	v_mul_f32_e32 v2, v1, v16
	v_fma_f32 v17, -v5, v2, v1
	v_fmac_f32_e32 v2, v17, v16
	v_fma_f32 v1, -v5, v2, v1
	v_div_fmas_f32 v1, v1, v16, v2
	v_div_fixup_f32 v8, v1, v8, 1.0
	global_store_dwordx4 v[10:11], v[6:9], off
	s_cbranch_scc1 .LBB122_8
; %bb.5:
	v_cvt_f32_f16_e32 v17, v0
	v_cvt_f32_f16_sdwa v1, v0 dst_sel:DWORD dst_unused:UNUSED_PAD src0_sel:WORD_1
	v_cmp_lt_f16_sdwa vcc, v0, v0 src0_sel:DWORD src1_sel:WORD_1
	v_cndmask_b32_e64 v18, 0, 1, vcc
	v_cmp_le_i32_e64 s[0:1], s9, v18
	v_cndmask_b32_e32 v16, v17, v1, vcc
	v_sub_f32_e32 v0, v16, v16
	v_mul_f32_e32 v5, 0x3fb8aa3b, v0
	v_fma_f32 v6, v0, s22, -v5
	v_rndne_f32_e32 v7, v5
	v_fmac_f32_e32 v6, 0x32a5705f, v0
	v_sub_f32_e32 v5, v5, v7
	v_add_f32_e32 v5, v5, v6
	v_exp_f32_e32 v5, v5
	v_cvt_i32_f32_e32 v6, v7
	v_cmp_gt_i32_e64 s[2:3], s10, v18
	s_and_b64 s[24:25], s[0:1], s[2:3]
	v_cmp_ngt_f32_e64 s[0:1], s17, v0
	v_ldexp_f32 v5, v5, v6
	v_cndmask_b32_e64 v5, 0, v5, s[0:1]
	v_cmp_nlt_f32_e64 s[0:1], s23, v0
	s_load_dwordx4 s[4:7], s[4:5], 0x20
	v_cndmask_b32_e64 v12, v3, v5, s[0:1]
	v_ashrrev_i32_e32 v5, 31, v4
	v_lshlrev_b64 v[8:9], 2, v[4:5]
	v_mul_lo_u32 v2, v15, s16
	v_mov_b32_e32 v0, s13
	v_add_co_u32_e64 v10, s[0:1], s12, v8
	v_addc_co_u32_e64 v11, s[2:3], v0, v9, s[0:1]
	v_ashrrev_i32_e32 v3, 31, v2
	v_subrev_u32_e32 v0, s9, v18
	s_and_b64 s[2:3], s[14:15], s[24:25]
	v_lshlrev_b64 v[6:7], 2, v[2:3]
	v_mul_lo_u32 v20, v15, s8
	v_cndmask_b32_e64 v0, 2, v0, s[2:3]
	s_waitcnt lgkmcnt(0)
	v_mov_b32_e32 v3, s5
	v_add_co_u32_e64 v2, s[2:3], s4, v6
	v_addc_co_u32_e64 v3, s[2:3], v3, v7, s[2:3]
	v_ashrrev_i32_e32 v21, 31, v20
	global_store_dword v[2:3], v0, off
	v_lshlrev_b64 v[2:3], 2, v[20:21]
	v_mov_b32_e32 v0, s7
	v_add_co_u32_e64 v20, s[2:3], s6, v2
	v_addc_co_u32_e64 v21, s[2:3], v0, v3, s[2:3]
	s_cmp_eq_u32 s8, 1
	global_store_dword v[10:11], v12, off
	global_store_dword v[20:21], v15, off
	s_cbranch_scc1 .LBB122_8
; %bb.6:
	v_mov_b32_e32 v5, 0xff800000
	v_cndmask_b32_e32 v0, v5, v17, vcc
	v_cmp_ne_u32_e32 vcc, 1, v18
	v_cndmask_b32_e32 v1, v5, v1, vcc
	v_mov_b32_e32 v8, s7
	v_add_co_u32_e32 v2, vcc, s6, v2
	v_addc_co_u32_e32 v3, vcc, v3, v8, vcc
	v_add_co_u32_e32 v2, vcc, 4, v2
	v_addc_co_u32_e32 v3, vcc, 0, v3, vcc
	v_mov_b32_e32 v8, s5
	v_add_co_u32_e32 v6, vcc, s4, v6
	v_addc_co_u32_e32 v7, vcc, v7, v8, vcc
	v_add_co_u32_e32 v6, vcc, 4, v6
	v_mov_b32_e32 v8, s13
	v_addc_co_u32_e32 v7, vcc, 0, v7, vcc
	v_addc_co_u32_e64 v9, vcc, v9, v8, s[0:1]
	v_add_co_u32_e32 v8, vcc, 4, v10
	s_add_i32 s21, s21, s20
	v_addc_co_u32_e32 v9, vcc, 0, v9, vcc
	s_add_i32 s2, s8, -1
	v_add3_u32 v10, s21, v14, v13
	s_mov_b32 s3, 0x3fb8aa3b
	s_mov_b32 s4, 0xc2ce8ed0
	;; [unrolled: 1-line block ×3, first 2 shown]
	v_mov_b32_e32 v11, 0x7f800000
.LBB122_7:                              ; =>This Inner Loop Header: Depth=1
	v_cmp_gt_f32_e32 vcc, v1, v0
	v_cndmask_b32_e32 v13, v0, v1, vcc
	v_cndmask_b32_e64 v14, 0, 1, vcc
	v_sub_f32_e32 v13, v13, v16
	v_cndmask_b32_e32 v1, v1, v5, vcc
	v_cndmask_b32_e32 v0, v5, v0, vcc
	v_cmp_le_i32_e32 vcc, s9, v14
	v_cmp_gt_i32_e64 s[0:1], s10, v14
	v_mul_f32_e32 v15, 0x3fb8aa3b, v13
	s_and_b64 s[0:1], vcc, s[0:1]
	v_fma_f32 v17, v13, s3, -v15
	v_rndne_f32_e32 v18, v15
	v_subrev_u32_e32 v14, s9, v14
	v_fmac_f32_e32 v17, 0x32a5705f, v13
	v_sub_f32_e32 v15, v15, v18
	s_and_b64 vcc, s[14:15], s[0:1]
	v_cndmask_b32_e32 v14, 2, v14, vcc
	v_add_f32_e32 v15, v15, v17
	v_cvt_i32_f32_e32 v18, v18
	global_store_dword v[6:7], v14, off
	global_store_dword v[2:3], v10, off
	v_add_co_u32_e32 v2, vcc, 4, v2
	v_exp_f32_e32 v14, v15
	v_addc_co_u32_e32 v3, vcc, 0, v3, vcc
	v_add_co_u32_e32 v6, vcc, 4, v6
	v_addc_co_u32_e32 v7, vcc, 0, v7, vcc
	v_ldexp_f32 v14, v14, v18
	v_cmp_ngt_f32_e32 vcc, s4, v13
	v_cndmask_b32_e32 v14, 0, v14, vcc
	v_cmp_nlt_f32_e32 vcc, s5, v13
	v_cndmask_b32_e32 v13, v11, v14, vcc
	s_add_i32 s2, s2, -1
	global_store_dword v[8:9], v13, off
	v_add_co_u32_e32 v8, vcc, 4, v8
	v_add_u32_e32 v10, s20, v10
	s_cmp_eq_u32 s2, 0
	v_add_f32_e32 v12, v12, v13
	v_addc_co_u32_e32 v9, vcc, 0, v9, vcc
	s_cbranch_scc0 .LBB122_7
.LBB122_8:
	v_cmp_neq_f32_e32 vcc, 0, v12
	s_and_b64 exec, exec, vcc
	s_cbranch_execz .LBB122_19
; %bb.9:
	s_andn2_b64 vcc, exec, s[18:19]
	s_cbranch_vccnz .LBB122_19
; %bb.10:
	v_div_scale_f32 v0, s[0:1], v12, v12, 1.0
	v_rcp_f32_e32 v1, v0
	v_div_scale_f32 v2, vcc, 1.0, v12, 1.0
	s_cmp_gt_u32 s8, 3
	v_fma_f32 v3, -v0, v1, 1.0
	v_fmac_f32_e32 v1, v3, v1
	v_mul_f32_e32 v3, v2, v1
	v_fma_f32 v5, -v0, v3, v2
	v_fmac_f32_e32 v3, v5, v1
	v_fma_f32 v0, -v0, v3, v2
	v_div_fmas_f32 v0, v0, v1, v3
	v_div_fixup_f32 v0, v0, v12, 1.0
	v_ashrrev_i32_e32 v5, 31, v4
	s_cbranch_scc0 .LBB122_14
; %bb.11:
	v_lshlrev_b64 v[2:3], 2, v[4:5]
	v_mov_b32_e32 v6, s13
	v_add_co_u32_e32 v2, vcc, s12, v2
	v_addc_co_u32_e32 v3, vcc, v3, v6, vcc
	s_and_b32 s4, s8, 0x7ffffffc
	v_add_co_u32_e32 v2, vcc, 8, v2
	v_mov_b32_e32 v1, v0
	v_addc_co_u32_e32 v3, vcc, 0, v3, vcc
	s_mov_b32 s0, s4
.LBB122_12:                             ; =>This Inner Loop Header: Depth=1
	global_load_dwordx4 v[6:9], v[2:3], off offset:-8
	s_add_i32 s0, s0, -4
	s_cmp_lg_u32 s0, 0
	s_waitcnt vmcnt(0)
	v_pk_mul_f32 v[6:7], v[0:1], v[6:7]
	v_pk_mul_f32 v[8:9], v[0:1], v[8:9]
	global_store_dwordx4 v[2:3], v[6:9], off offset:-8
	v_add_co_u32_e32 v2, vcc, 16, v2
	v_addc_co_u32_e32 v3, vcc, 0, v3, vcc
	s_cbranch_scc1 .LBB122_12
; %bb.13:
	s_cmp_lg_u32 s4, s8
	s_cselect_b64 s[0:1], -1, 0
	s_branch .LBB122_16
.LBB122_14:
	s_mov_b64 s[0:1], 0
                                        ; implicit-def: $sgpr4
	s_cbranch_execz .LBB122_16
; %bb.15:
	s_mov_b64 s[0:1], -1
	s_mov_b32 s4, 0
.LBB122_16:
	s_andn2_b64 vcc, exec, s[0:1]
	s_cbranch_vccnz .LBB122_19
; %bb.17:
	v_add_co_u32_e32 v2, vcc, s4, v4
	v_addc_co_u32_e32 v3, vcc, 0, v5, vcc
	v_lshlrev_b64 v[2:3], 2, v[2:3]
	v_mov_b32_e32 v1, s13
	v_add_co_u32_e32 v2, vcc, s12, v2
	s_sub_i32 s0, s8, s4
	v_addc_co_u32_e32 v3, vcc, v1, v3, vcc
.LBB122_18:                             ; =>This Inner Loop Header: Depth=1
	global_load_dword v1, v[2:3], off
	s_add_i32 s0, s0, -1
	s_cmp_lg_u32 s0, 0
	s_waitcnt vmcnt(0)
	v_mul_f32_e32 v1, v0, v1
	global_store_dword v[2:3], v1, off
	v_add_co_u32_e32 v2, vcc, 4, v2
	v_addc_co_u32_e32 v3, vcc, 0, v3, vcc
	s_cbranch_scc1 .LBB122_18
.LBB122_19:
	s_endpgm
	.section	.rodata,"a",@progbits
	.p2align	6, 0x0
	.amdhsa_kernel _ZN4vllm3moe17topkGatingSoftmaxIDF16_Li2ELi2ELi8ELi4ELb1ELi4ELNS0_23SharedExpertScoringFuncE1EEEvPKT_PKbPfiPiS9_iiiiii
		.amdhsa_group_segment_fixed_size 0
		.amdhsa_private_segment_fixed_size 0
		.amdhsa_kernarg_size 72
		.amdhsa_user_sgpr_count 6
		.amdhsa_user_sgpr_private_segment_buffer 1
		.amdhsa_user_sgpr_dispatch_ptr 0
		.amdhsa_user_sgpr_queue_ptr 0
		.amdhsa_user_sgpr_kernarg_segment_ptr 1
		.amdhsa_user_sgpr_dispatch_id 0
		.amdhsa_user_sgpr_flat_scratch_init 0
		.amdhsa_user_sgpr_kernarg_preload_length 0
		.amdhsa_user_sgpr_kernarg_preload_offset 0
		.amdhsa_user_sgpr_private_segment_size 0
		.amdhsa_uses_dynamic_stack 0
		.amdhsa_system_sgpr_private_segment_wavefront_offset 0
		.amdhsa_system_sgpr_workgroup_id_x 1
		.amdhsa_system_sgpr_workgroup_id_y 0
		.amdhsa_system_sgpr_workgroup_id_z 0
		.amdhsa_system_sgpr_workgroup_info 0
		.amdhsa_system_vgpr_workitem_id 1
		.amdhsa_next_free_vgpr 27
		.amdhsa_next_free_sgpr 26
		.amdhsa_accum_offset 28
		.amdhsa_reserve_vcc 1
		.amdhsa_reserve_flat_scratch 0
		.amdhsa_float_round_mode_32 0
		.amdhsa_float_round_mode_16_64 0
		.amdhsa_float_denorm_mode_32 3
		.amdhsa_float_denorm_mode_16_64 3
		.amdhsa_dx10_clamp 1
		.amdhsa_ieee_mode 1
		.amdhsa_fp16_overflow 0
		.amdhsa_tg_split 0
		.amdhsa_exception_fp_ieee_invalid_op 0
		.amdhsa_exception_fp_denorm_src 0
		.amdhsa_exception_fp_ieee_div_zero 0
		.amdhsa_exception_fp_ieee_overflow 0
		.amdhsa_exception_fp_ieee_underflow 0
		.amdhsa_exception_fp_ieee_inexact 0
		.amdhsa_exception_int_div_zero 0
	.end_amdhsa_kernel
	.section	.text._ZN4vllm3moe17topkGatingSoftmaxIDF16_Li2ELi2ELi8ELi4ELb1ELi4ELNS0_23SharedExpertScoringFuncE1EEEvPKT_PKbPfiPiS9_iiiiii,"axG",@progbits,_ZN4vllm3moe17topkGatingSoftmaxIDF16_Li2ELi2ELi8ELi4ELb1ELi4ELNS0_23SharedExpertScoringFuncE1EEEvPKT_PKbPfiPiS9_iiiiii,comdat
.Lfunc_end122:
	.size	_ZN4vllm3moe17topkGatingSoftmaxIDF16_Li2ELi2ELi8ELi4ELb1ELi4ELNS0_23SharedExpertScoringFuncE1EEEvPKT_PKbPfiPiS9_iiiiii, .Lfunc_end122-_ZN4vllm3moe17topkGatingSoftmaxIDF16_Li2ELi2ELi8ELi4ELb1ELi4ELNS0_23SharedExpertScoringFuncE1EEEvPKT_PKbPfiPiS9_iiiiii
                                        ; -- End function
	.section	.AMDGPU.csdata,"",@progbits
; Kernel info:
; codeLenInByte = 1872
; NumSgprs: 30
; NumVgprs: 27
; NumAgprs: 0
; TotalNumVgprs: 27
; ScratchSize: 0
; MemoryBound: 0
; FloatMode: 240
; IeeeMode: 1
; LDSByteSize: 0 bytes/workgroup (compile time only)
; SGPRBlocks: 3
; VGPRBlocks: 3
; NumSGPRsForWavesPerEU: 30
; NumVGPRsForWavesPerEU: 27
; AccumOffset: 28
; Occupancy: 8
; WaveLimiterHint : 0
; COMPUTE_PGM_RSRC2:SCRATCH_EN: 0
; COMPUTE_PGM_RSRC2:USER_SGPR: 6
; COMPUTE_PGM_RSRC2:TRAP_HANDLER: 0
; COMPUTE_PGM_RSRC2:TGID_X_EN: 1
; COMPUTE_PGM_RSRC2:TGID_Y_EN: 0
; COMPUTE_PGM_RSRC2:TGID_Z_EN: 0
; COMPUTE_PGM_RSRC2:TIDIG_COMP_CNT: 1
; COMPUTE_PGM_RSRC3_GFX90A:ACCUM_OFFSET: 6
; COMPUTE_PGM_RSRC3_GFX90A:TG_SPLIT: 0
	.section	.text._ZN4vllm3moe17topkGatingSoftmaxIDF16_Li2ELi2ELi8ELi4ELb0ELi4ELNS0_23SharedExpertScoringFuncE1EEEvPKT_PKbPfiPiS9_iiiiii,"axG",@progbits,_ZN4vllm3moe17topkGatingSoftmaxIDF16_Li2ELi2ELi8ELi4ELb0ELi4ELNS0_23SharedExpertScoringFuncE1EEEvPKT_PKbPfiPiS9_iiiiii,comdat
	.protected	_ZN4vllm3moe17topkGatingSoftmaxIDF16_Li2ELi2ELi8ELi4ELb0ELi4ELNS0_23SharedExpertScoringFuncE1EEEvPKT_PKbPfiPiS9_iiiiii ; -- Begin function _ZN4vllm3moe17topkGatingSoftmaxIDF16_Li2ELi2ELi8ELi4ELb0ELi4ELNS0_23SharedExpertScoringFuncE1EEEvPKT_PKbPfiPiS9_iiiiii
	.globl	_ZN4vllm3moe17topkGatingSoftmaxIDF16_Li2ELi2ELi8ELi4ELb0ELi4ELNS0_23SharedExpertScoringFuncE1EEEvPKT_PKbPfiPiS9_iiiiii
	.p2align	8
	.type	_ZN4vllm3moe17topkGatingSoftmaxIDF16_Li2ELi2ELi8ELi4ELb0ELi4ELNS0_23SharedExpertScoringFuncE1EEEvPKT_PKbPfiPiS9_iiiiii,@function
_ZN4vllm3moe17topkGatingSoftmaxIDF16_Li2ELi2ELi8ELi4ELb0ELi4ELNS0_23SharedExpertScoringFuncE1EEEvPKT_PKbPfiPiS9_iiiiii: ; @_ZN4vllm3moe17topkGatingSoftmaxIDF16_Li2ELi2ELi8ELi4ELb0ELi4ELNS0_23SharedExpertScoringFuncE1EEEvPKT_PKbPfiPiS9_iiiiii
; %bb.0:
	s_load_dword s18, s[4:5], 0x18
	v_bfe_u32 v1, v0, 10, 10
	s_lshl_b32 s22, s6, 9
	v_lshlrev_b32_e32 v15, 6, v1
	v_and_b32_e32 v16, 0x3ff, v0
	v_add3_u32 v17, v15, v16, s22
	s_waitcnt lgkmcnt(0)
	v_cmp_gt_i32_e32 vcc, s18, v17
	s_and_saveexec_b64 s[0:1], vcc
	s_cbranch_execz .LBB123_19
; %bb.1:
	s_load_dwordx4 s[0:3], s[4:5], 0x0
	s_load_dwordx2 s[12:13], s[4:5], 0x10
	s_waitcnt lgkmcnt(0)
	s_cmp_eq_u64 s[2:3], 0
	s_cbranch_scc1 .LBB123_3
; %bb.2:
	v_ashrrev_i32_e32 v1, 31, v17
	v_mov_b32_e32 v2, s3
	v_add_co_u32_e32 v0, vcc, s2, v17
	v_addc_co_u32_e32 v1, vcc, v2, v1, vcc
	global_load_ubyte v0, v[0:1], off
	s_waitcnt vmcnt(0)
	v_and_b32_e32 v0, 1, v0
	v_cmp_eq_u32_e32 vcc, 1, v0
	s_xor_b64 s[2:3], vcc, -1
	s_orn2_b64 s[14:15], s[2:3], exec
	s_branch .LBB123_4
.LBB123_3:
	s_mov_b64 s[14:15], -1
.LBB123_4:
	s_load_dwordx2 s[2:3], s[4:5], 0x40
	s_load_dwordx4 s[8:11], s[4:5], 0x30
	v_mov_b32_e32 v2, s1
	s_mov_b32 s20, 0x3fb8aa3b
	s_mov_b32 s19, 0xc2ce8ed0
	s_waitcnt lgkmcnt(0)
	v_mul_lo_u32 v0, v17, s3
	v_ashrrev_i32_e32 v1, 31, v0
	v_lshlrev_b64 v[0:1], 1, v[0:1]
	v_add_co_u32_e32 v0, vcc, s0, v0
	v_addc_co_u32_e32 v1, vcc, v2, v1, vcc
	global_load_dwordx3 v[10:12], v[0:1], off
	v_mul_lo_u32 v0, v17, s11
	v_add_u32_e32 v2, s8, v0
	v_ashrrev_i32_e32 v3, 31, v2
	v_lshlrev_b64 v[2:3], 2, v[2:3]
	v_mov_b32_e32 v1, s13
	v_add_co_u32_e32 v18, vcc, s12, v2
	v_addc_co_u32_e32 v19, vcc, v1, v3, vcc
	s_mov_b32 s0, 0x32a5705f
	s_mov_b32 s21, 0x42b17218
	v_mov_b32_e32 v5, 0x7f800000
	s_cmp_gt_i32 s8, 0
	v_mov_b32_e32 v14, 0
	s_cselect_b64 s[16:17], -1, 0
	s_cmp_lt_i32 s8, 1
	s_waitcnt vmcnt(0)
	v_cvt_f32_f16_e64 v1, -v11
	v_cvt_f32_f16_sdwa v4, -v11 dst_sel:DWORD dst_unused:UNUSED_PAD src0_sel:WORD_1
	v_cvt_f32_f16_e64 v8, -v12
	v_cvt_f32_f16_sdwa v9, -v12 dst_sel:DWORD dst_unused:UNUSED_PAD src0_sel:WORD_1
	v_mul_f32_e32 v6, 0x3fb8aa3b, v1
	v_mul_f32_e32 v7, 0x3fb8aa3b, v4
	v_fma_mix_f32 v21, -v11, s20, -v6 op_sel_hi:[1,0,0]
	v_rndne_f32_e32 v22, v6
	v_mul_f32_e32 v13, 0x3fb8aa3b, v8
	v_fma_mix_f32 v23, -v11, s20, -v7 op_sel:[1,0,0] op_sel_hi:[1,0,0]
	v_rndne_f32_e32 v24, v7
	v_fma_mix_f32 v21, -v11, s0, v21 op_sel_hi:[1,0,0]
	v_sub_f32_e32 v6, v6, v22
	v_mul_f32_e32 v20, 0x3fb8aa3b, v9
	v_fma_mix_f32 v25, -v12, s20, -v13 op_sel_hi:[1,0,0]
	v_rndne_f32_e32 v26, v13
	v_fma_mix_f32 v11, -v11, s0, v23 op_sel:[1,0,0] op_sel_hi:[1,0,0]
	v_sub_f32_e32 v7, v7, v24
	v_add_f32_e32 v6, v6, v21
	v_fma_mix_f32 v27, -v12, s20, -v20 op_sel:[1,0,0] op_sel_hi:[1,0,0]
	v_rndne_f32_e32 v28, v20
	v_cvt_i32_f32_e32 v22, v22
	v_cvt_i32_f32_e32 v23, v24
	v_fma_mix_f32 v24, -v12, s0, v25 op_sel_hi:[1,0,0]
	v_sub_f32_e32 v13, v13, v26
	v_add_f32_e32 v7, v7, v11
	v_exp_f32_e32 v6, v6
	v_fma_mix_f32 v12, -v12, s0, v27 op_sel:[1,0,0] op_sel_hi:[1,0,0]
	v_sub_f32_e32 v20, v20, v28
	v_add_f32_e32 v11, v13, v24
	v_exp_f32_e32 v7, v7
	v_cvt_i32_f32_e32 v25, v26
	v_add_f32_e32 v12, v20, v12
	v_exp_f32_e32 v11, v11
	v_cvt_i32_f32_e32 v26, v28
	v_exp_f32_e32 v12, v12
	v_ldexp_f32 v6, v6, v22
	v_cmp_ngt_f32_e32 vcc, s19, v1
	v_ldexp_f32 v7, v7, v23
	v_cndmask_b32_e32 v6, 0, v6, vcc
	v_cmp_ngt_f32_e32 vcc, s19, v4
	v_ldexp_f32 v11, v11, v25
	v_cndmask_b32_e32 v7, 0, v7, vcc
	v_cmp_ngt_f32_e32 vcc, s19, v8
	v_ldexp_f32 v12, v12, v26
	v_cndmask_b32_e32 v11, 0, v11, vcc
	v_cmp_ngt_f32_e32 vcc, s19, v9
	v_cndmask_b32_e32 v12, 0, v12, vcc
	v_cmp_nlt_f32_e32 vcc, s21, v1
	v_cndmask_b32_e32 v6, v5, v6, vcc
	v_cmp_nlt_f32_e32 vcc, s21, v4
	;; [unrolled: 2-line block ×4, first 2 shown]
	v_pk_add_f32 v[6:7], v[6:7], 1.0 op_sel_hi:[1,0]
	v_cndmask_b32_e32 v9, v5, v12, vcc
	v_div_scale_f32 v1, s[0:1], v7, v7, 1.0
	v_pk_add_f32 v[8:9], v[8:9], 1.0 op_sel_hi:[1,0]
	v_div_scale_f32 v11, s[0:1], v6, v6, 1.0
	v_rcp_f32_e32 v13, v1
	v_div_scale_f32 v12, s[0:1], v9, v9, 1.0
	v_rcp_f32_e32 v20, v11
	v_rcp_f32_e32 v21, v12
	v_fma_f32 v23, -v1, v13, 1.0
	v_div_scale_f32 v4, vcc, 1.0, v7, 1.0
	v_fma_f32 v24, -v11, v20, 1.0
	v_fmac_f32_e32 v13, v23, v13
	v_div_scale_f32 v22, s[0:1], 1.0, v6, 1.0
	v_fma_f32 v25, -v12, v21, 1.0
	v_fmac_f32_e32 v20, v24, v20
	v_mul_f32_e32 v23, v4, v13
	v_fmac_f32_e32 v21, v25, v21
	v_mul_f32_e32 v24, v22, v20
	v_fma_f32 v25, -v1, v23, v4
	v_fma_f32 v26, -v11, v24, v22
	v_fmac_f32_e32 v23, v25, v13
	v_fmac_f32_e32 v24, v26, v20
	v_fma_f32 v1, -v1, v23, v4
	v_fma_f32 v4, -v11, v24, v22
	v_div_fmas_f32 v1, v1, v13, v23
	s_mov_b64 vcc, s[0:1]
	v_div_fixup_f32 v7, v1, v7, 1.0
	v_div_fmas_f32 v1, v4, v20, v24
	v_div_fixup_f32 v6, v1, v6, 1.0
	v_div_scale_f32 v1, vcc, 1.0, v9, 1.0
	v_mul_f32_e32 v4, v1, v21
	v_fma_f32 v11, -v12, v4, v1
	v_fmac_f32_e32 v4, v11, v21
	v_div_scale_f32 v11, s[0:1], v8, v8, 1.0
	v_fma_f32 v1, -v12, v4, v1
	v_rcp_f32_e32 v12, v11
	v_div_fmas_f32 v1, v1, v21, v4
	v_div_fixup_f32 v9, v1, v9, 1.0
	v_cvt_f32_f16_e32 v2, v10
	v_fma_f32 v1, -v11, v12, 1.0
	v_fmac_f32_e32 v12, v1, v12
	v_div_scale_f32 v1, vcc, 1.0, v8, 1.0
	v_mul_f32_e32 v4, v1, v12
	v_cvt_f32_f16_sdwa v3, v10 dst_sel:DWORD dst_unused:UNUSED_PAD src0_sel:WORD_1
	v_fma_f32 v13, -v11, v4, v1
	v_fmac_f32_e32 v4, v13, v12
	v_fma_f32 v1, -v11, v4, v1
	v_div_fmas_f32 v1, v1, v12, v4
	v_cmp_lt_f16_sdwa vcc, v10, v10 src0_sel:DWORD src1_sel:WORD_1
	v_div_fixup_f32 v8, v1, v8, 1.0
	v_cndmask_b32_e32 v4, v2, v3, vcc
	global_store_dwordx4 v[18:19], v[6:9], off
	s_cbranch_scc1 .LBB123_8
; %bb.5:
	v_sub_f32_e32 v1, v4, v4
	v_mul_f32_e32 v7, 0x3fb8aa3b, v1
	v_rndne_f32_e32 v8, v7
	v_sub_f32_e32 v9, v7, v8
	v_fma_f32 v7, v1, s20, -v7
	v_fmac_f32_e32 v7, 0x32a5705f, v1
	v_add_f32_e32 v7, v9, v7
	v_exp_f32_e32 v7, v7
	v_cvt_i32_f32_e32 v8, v8
	v_cndmask_b32_e64 v20, 0, 1, vcc
	v_mul_lo_u32 v6, v17, s2
	v_cmp_le_i32_e64 s[0:1], s9, v20
	v_cmp_gt_i32_e64 s[2:3], s10, v20
	s_and_b64 s[24:25], s[0:1], s[2:3]
	v_ldexp_f32 v7, v7, v8
	v_cmp_ngt_f32_e64 s[0:1], s19, v1
	s_load_dwordx4 s[4:7], s[4:5], 0x20
	v_cndmask_b32_e64 v7, 0, v7, s[0:1]
	v_cmp_nlt_f32_e64 s[0:1], s21, v1
	v_ashrrev_i32_e32 v1, 31, v0
	v_lshlrev_b64 v[10:11], 2, v[0:1]
	v_cndmask_b32_e64 v14, v5, v7, s[0:1]
	v_mov_b32_e32 v1, s13
	v_add_co_u32_e64 v12, s[0:1], s12, v10
	v_addc_co_u32_e64 v13, s[2:3], v1, v11, s[0:1]
	v_ashrrev_i32_e32 v7, 31, v6
	v_subrev_u32_e32 v1, s9, v20
	s_and_b64 s[2:3], s[14:15], s[24:25]
	v_lshlrev_b64 v[8:9], 2, v[6:7]
	v_mul_lo_u32 v18, v17, s8
	v_cndmask_b32_e64 v1, 2, v1, s[2:3]
	s_waitcnt lgkmcnt(0)
	v_mov_b32_e32 v7, s5
	v_add_co_u32_e64 v6, s[2:3], s4, v8
	v_addc_co_u32_e64 v7, s[2:3], v7, v9, s[2:3]
	v_ashrrev_i32_e32 v19, 31, v18
	global_store_dword v[6:7], v1, off
	v_lshlrev_b64 v[6:7], 2, v[18:19]
	v_mov_b32_e32 v1, s7
	v_add_co_u32_e64 v18, s[2:3], s6, v6
	v_addc_co_u32_e64 v19, s[2:3], v1, v7, s[2:3]
	v_mov_b32_e32 v1, 0xff800000
	v_cndmask_b32_e32 v2, v1, v2, vcc
	v_cmp_ne_u32_e32 vcc, 1, v20
	s_cmp_eq_u32 s8, 1
	v_cndmask_b32_e32 v3, v1, v3, vcc
	global_store_dword v[12:13], v14, off
	global_store_dword v[18:19], v17, off
	s_cbranch_scc1 .LBB123_8
; %bb.6:
	v_mov_b32_e32 v10, s7
	v_add_co_u32_e32 v6, vcc, s6, v6
	v_addc_co_u32_e32 v7, vcc, v7, v10, vcc
	v_add_co_u32_e32 v6, vcc, 4, v6
	v_addc_co_u32_e32 v7, vcc, 0, v7, vcc
	v_mov_b32_e32 v10, s5
	v_add_co_u32_e32 v8, vcc, s4, v8
	v_addc_co_u32_e32 v9, vcc, v9, v10, vcc
	v_add_co_u32_e32 v8, vcc, 4, v8
	v_mov_b32_e32 v10, s13
	v_addc_co_u32_e32 v9, vcc, 0, v9, vcc
	v_addc_co_u32_e64 v11, vcc, v11, v10, s[0:1]
	v_add_co_u32_e32 v10, vcc, 4, v12
	s_add_i32 s22, s22, s18
	v_addc_co_u32_e32 v11, vcc, 0, v11, vcc
	s_add_i32 s2, s8, -1
	v_add3_u32 v12, s22, v16, v15
	s_mov_b32 s3, 0x3fb8aa3b
	s_mov_b32 s4, 0xc2ce8ed0
	;; [unrolled: 1-line block ×3, first 2 shown]
	v_mov_b32_e32 v13, 0x7f800000
.LBB123_7:                              ; =>This Inner Loop Header: Depth=1
	v_cmp_gt_f32_e32 vcc, v3, v2
	v_cndmask_b32_e32 v15, v2, v3, vcc
	v_cndmask_b32_e64 v16, 0, 1, vcc
	v_sub_f32_e32 v15, v15, v4
	v_cndmask_b32_e32 v3, v3, v1, vcc
	v_cndmask_b32_e32 v2, v1, v2, vcc
	v_cmp_le_i32_e32 vcc, s9, v16
	v_cmp_gt_i32_e64 s[0:1], s10, v16
	v_mul_f32_e32 v17, 0x3fb8aa3b, v15
	s_and_b64 s[0:1], vcc, s[0:1]
	v_fma_f32 v18, v15, s3, -v17
	v_rndne_f32_e32 v19, v17
	v_subrev_u32_e32 v16, s9, v16
	v_fmac_f32_e32 v18, 0x32a5705f, v15
	v_sub_f32_e32 v17, v17, v19
	s_and_b64 vcc, s[14:15], s[0:1]
	v_cndmask_b32_e32 v16, 2, v16, vcc
	v_add_f32_e32 v17, v17, v18
	v_cvt_i32_f32_e32 v19, v19
	global_store_dword v[8:9], v16, off
	global_store_dword v[6:7], v12, off
	v_add_co_u32_e32 v6, vcc, 4, v6
	v_exp_f32_e32 v16, v17
	v_addc_co_u32_e32 v7, vcc, 0, v7, vcc
	v_add_co_u32_e32 v8, vcc, 4, v8
	v_addc_co_u32_e32 v9, vcc, 0, v9, vcc
	v_ldexp_f32 v16, v16, v19
	v_cmp_ngt_f32_e32 vcc, s4, v15
	v_cndmask_b32_e32 v16, 0, v16, vcc
	v_cmp_nlt_f32_e32 vcc, s5, v15
	v_cndmask_b32_e32 v15, v13, v16, vcc
	s_add_i32 s2, s2, -1
	global_store_dword v[10:11], v15, off
	v_add_co_u32_e32 v10, vcc, 4, v10
	v_add_u32_e32 v12, s18, v12
	s_cmp_eq_u32 s2, 0
	v_add_f32_e32 v14, v14, v15
	v_addc_co_u32_e32 v11, vcc, 0, v11, vcc
	s_cbranch_scc0 .LBB123_7
.LBB123_8:
	v_pk_add_f32 v[2:3], v[2:3], v[4:5] op_sel_hi:[1,0] neg_lo:[0,1] neg_hi:[0,1]
	v_mul_f32_e32 v1, 0x3fb8aa3b, v3
	v_fma_f32 v4, v3, s20, -v1
	v_rndne_f32_e32 v6, v1
	v_fmac_f32_e32 v4, 0x32a5705f, v3
	v_sub_f32_e32 v1, v1, v6
	v_add_f32_e32 v1, v1, v4
	v_cvt_i32_f32_e32 v4, v6
	v_exp_f32_e32 v1, v1
	v_cmp_ngt_f32_e32 vcc, s19, v3
	v_ldexp_f32 v1, v1, v4
	v_mul_f32_e32 v4, 0x3fb8aa3b, v2
	v_fma_f32 v6, v2, s20, -v4
	v_rndne_f32_e32 v7, v4
	v_fmac_f32_e32 v6, 0x32a5705f, v2
	v_sub_f32_e32 v4, v4, v7
	v_add_f32_e32 v4, v4, v6
	v_exp_f32_e32 v4, v4
	v_cvt_i32_f32_e32 v6, v7
	v_cndmask_b32_e32 v1, 0, v1, vcc
	v_cmp_nlt_f32_e32 vcc, s21, v3
	v_cndmask_b32_e32 v1, v5, v1, vcc
	v_ldexp_f32 v3, v4, v6
	v_cmp_ngt_f32_e32 vcc, s19, v2
	v_cndmask_b32_e32 v3, 0, v3, vcc
	v_cmp_nlt_f32_e32 vcc, s21, v2
	v_cndmask_b32_e32 v2, v5, v3, vcc
	v_add_f32_e32 v1, v2, v1
	v_add_f32_e32 v1, v14, v1
	v_cmp_neq_f32_e32 vcc, 0, v1
	s_and_b64 exec, exec, vcc
	s_cbranch_execz .LBB123_19
; %bb.9:
	s_andn2_b64 vcc, exec, s[16:17]
	s_cbranch_vccnz .LBB123_19
; %bb.10:
	v_div_scale_f32 v2, s[0:1], v1, v1, 1.0
	v_rcp_f32_e32 v3, v2
	v_div_scale_f32 v4, vcc, 1.0, v1, 1.0
	s_cmp_gt_u32 s8, 3
	v_fma_f32 v5, -v2, v3, 1.0
	v_fmac_f32_e32 v3, v5, v3
	v_mul_f32_e32 v5, v4, v3
	v_fma_f32 v6, -v2, v5, v4
	v_fmac_f32_e32 v5, v6, v3
	v_fma_f32 v2, -v2, v5, v4
	v_div_fmas_f32 v2, v2, v3, v5
	v_div_fixup_f32 v2, v2, v1, 1.0
	v_ashrrev_i32_e32 v1, 31, v0
	s_cbranch_scc0 .LBB123_14
; %bb.11:
	v_lshlrev_b64 v[4:5], 2, v[0:1]
	v_mov_b32_e32 v6, s13
	v_add_co_u32_e32 v4, vcc, s12, v4
	v_addc_co_u32_e32 v5, vcc, v5, v6, vcc
	s_and_b32 s4, s8, 0x7ffffffc
	v_add_co_u32_e32 v4, vcc, 8, v4
	v_mov_b32_e32 v3, v2
	v_addc_co_u32_e32 v5, vcc, 0, v5, vcc
	s_mov_b32 s0, s4
.LBB123_12:                             ; =>This Inner Loop Header: Depth=1
	global_load_dwordx4 v[6:9], v[4:5], off offset:-8
	s_add_i32 s0, s0, -4
	s_cmp_lg_u32 s0, 0
	s_waitcnt vmcnt(0)
	v_pk_mul_f32 v[6:7], v[2:3], v[6:7]
	v_pk_mul_f32 v[8:9], v[2:3], v[8:9]
	global_store_dwordx4 v[4:5], v[6:9], off offset:-8
	v_add_co_u32_e32 v4, vcc, 16, v4
	v_addc_co_u32_e32 v5, vcc, 0, v5, vcc
	s_cbranch_scc1 .LBB123_12
; %bb.13:
	s_cmp_lg_u32 s4, s8
	s_cselect_b64 s[0:1], -1, 0
	s_branch .LBB123_16
.LBB123_14:
	s_mov_b64 s[0:1], 0
                                        ; implicit-def: $sgpr4
	s_cbranch_execz .LBB123_16
; %bb.15:
	s_mov_b64 s[0:1], -1
	s_mov_b32 s4, 0
.LBB123_16:
	s_andn2_b64 vcc, exec, s[0:1]
	s_cbranch_vccnz .LBB123_19
; %bb.17:
	v_add_co_u32_e32 v0, vcc, s4, v0
	v_addc_co_u32_e32 v1, vcc, 0, v1, vcc
	v_lshlrev_b64 v[0:1], 2, v[0:1]
	v_mov_b32_e32 v3, s13
	v_add_co_u32_e32 v0, vcc, s12, v0
	s_sub_i32 s0, s8, s4
	v_addc_co_u32_e32 v1, vcc, v3, v1, vcc
.LBB123_18:                             ; =>This Inner Loop Header: Depth=1
	global_load_dword v3, v[0:1], off
	s_add_i32 s0, s0, -1
	s_cmp_lg_u32 s0, 0
	s_waitcnt vmcnt(0)
	v_mul_f32_e32 v3, v2, v3
	global_store_dword v[0:1], v3, off
	v_add_co_u32_e32 v0, vcc, 4, v0
	v_addc_co_u32_e32 v1, vcc, 0, v1, vcc
	s_cbranch_scc1 .LBB123_18
.LBB123_19:
	s_endpgm
	.section	.rodata,"a",@progbits
	.p2align	6, 0x0
	.amdhsa_kernel _ZN4vllm3moe17topkGatingSoftmaxIDF16_Li2ELi2ELi8ELi4ELb0ELi4ELNS0_23SharedExpertScoringFuncE1EEEvPKT_PKbPfiPiS9_iiiiii
		.amdhsa_group_segment_fixed_size 0
		.amdhsa_private_segment_fixed_size 0
		.amdhsa_kernarg_size 72
		.amdhsa_user_sgpr_count 6
		.amdhsa_user_sgpr_private_segment_buffer 1
		.amdhsa_user_sgpr_dispatch_ptr 0
		.amdhsa_user_sgpr_queue_ptr 0
		.amdhsa_user_sgpr_kernarg_segment_ptr 1
		.amdhsa_user_sgpr_dispatch_id 0
		.amdhsa_user_sgpr_flat_scratch_init 0
		.amdhsa_user_sgpr_kernarg_preload_length 0
		.amdhsa_user_sgpr_kernarg_preload_offset 0
		.amdhsa_user_sgpr_private_segment_size 0
		.amdhsa_uses_dynamic_stack 0
		.amdhsa_system_sgpr_private_segment_wavefront_offset 0
		.amdhsa_system_sgpr_workgroup_id_x 1
		.amdhsa_system_sgpr_workgroup_id_y 0
		.amdhsa_system_sgpr_workgroup_id_z 0
		.amdhsa_system_sgpr_workgroup_info 0
		.amdhsa_system_vgpr_workitem_id 1
		.amdhsa_next_free_vgpr 29
		.amdhsa_next_free_sgpr 26
		.amdhsa_accum_offset 32
		.amdhsa_reserve_vcc 1
		.amdhsa_reserve_flat_scratch 0
		.amdhsa_float_round_mode_32 0
		.amdhsa_float_round_mode_16_64 0
		.amdhsa_float_denorm_mode_32 3
		.amdhsa_float_denorm_mode_16_64 3
		.amdhsa_dx10_clamp 1
		.amdhsa_ieee_mode 1
		.amdhsa_fp16_overflow 0
		.amdhsa_tg_split 0
		.amdhsa_exception_fp_ieee_invalid_op 0
		.amdhsa_exception_fp_denorm_src 0
		.amdhsa_exception_fp_ieee_div_zero 0
		.amdhsa_exception_fp_ieee_overflow 0
		.amdhsa_exception_fp_ieee_underflow 0
		.amdhsa_exception_fp_ieee_inexact 0
		.amdhsa_exception_int_div_zero 0
	.end_amdhsa_kernel
	.section	.text._ZN4vllm3moe17topkGatingSoftmaxIDF16_Li2ELi2ELi8ELi4ELb0ELi4ELNS0_23SharedExpertScoringFuncE1EEEvPKT_PKbPfiPiS9_iiiiii,"axG",@progbits,_ZN4vllm3moe17topkGatingSoftmaxIDF16_Li2ELi2ELi8ELi4ELb0ELi4ELNS0_23SharedExpertScoringFuncE1EEEvPKT_PKbPfiPiS9_iiiiii,comdat
.Lfunc_end123:
	.size	_ZN4vllm3moe17topkGatingSoftmaxIDF16_Li2ELi2ELi8ELi4ELb0ELi4ELNS0_23SharedExpertScoringFuncE1EEEvPKT_PKbPfiPiS9_iiiiii, .Lfunc_end123-_ZN4vllm3moe17topkGatingSoftmaxIDF16_Li2ELi2ELi8ELi4ELb0ELi4ELNS0_23SharedExpertScoringFuncE1EEEvPKT_PKbPfiPiS9_iiiiii
                                        ; -- End function
	.section	.AMDGPU.csdata,"",@progbits
; Kernel info:
; codeLenInByte = 2020
; NumSgprs: 30
; NumVgprs: 29
; NumAgprs: 0
; TotalNumVgprs: 29
; ScratchSize: 0
; MemoryBound: 0
; FloatMode: 240
; IeeeMode: 1
; LDSByteSize: 0 bytes/workgroup (compile time only)
; SGPRBlocks: 3
; VGPRBlocks: 3
; NumSGPRsForWavesPerEU: 30
; NumVGPRsForWavesPerEU: 29
; AccumOffset: 32
; Occupancy: 8
; WaveLimiterHint : 0
; COMPUTE_PGM_RSRC2:SCRATCH_EN: 0
; COMPUTE_PGM_RSRC2:USER_SGPR: 6
; COMPUTE_PGM_RSRC2:TRAP_HANDLER: 0
; COMPUTE_PGM_RSRC2:TGID_X_EN: 1
; COMPUTE_PGM_RSRC2:TGID_Y_EN: 0
; COMPUTE_PGM_RSRC2:TGID_Z_EN: 0
; COMPUTE_PGM_RSRC2:TIDIG_COMP_CNT: 1
; COMPUTE_PGM_RSRC3_GFX90A:ACCUM_OFFSET: 7
; COMPUTE_PGM_RSRC3_GFX90A:TG_SPLIT: 0
	.section	.text._ZN4vllm3moe17topkGatingSoftmaxIDF16_Li2ELi2ELi8ELi4ELb1ELi8ELNS0_23SharedExpertScoringFuncE1EEEvPKT_PKbPfiPiS9_iiiiii,"axG",@progbits,_ZN4vllm3moe17topkGatingSoftmaxIDF16_Li2ELi2ELi8ELi4ELb1ELi8ELNS0_23SharedExpertScoringFuncE1EEEvPKT_PKbPfiPiS9_iiiiii,comdat
	.protected	_ZN4vllm3moe17topkGatingSoftmaxIDF16_Li2ELi2ELi8ELi4ELb1ELi8ELNS0_23SharedExpertScoringFuncE1EEEvPKT_PKbPfiPiS9_iiiiii ; -- Begin function _ZN4vllm3moe17topkGatingSoftmaxIDF16_Li2ELi2ELi8ELi4ELb1ELi8ELNS0_23SharedExpertScoringFuncE1EEEvPKT_PKbPfiPiS9_iiiiii
	.globl	_ZN4vllm3moe17topkGatingSoftmaxIDF16_Li2ELi2ELi8ELi4ELb1ELi8ELNS0_23SharedExpertScoringFuncE1EEEvPKT_PKbPfiPiS9_iiiiii
	.p2align	8
	.type	_ZN4vllm3moe17topkGatingSoftmaxIDF16_Li2ELi2ELi8ELi4ELb1ELi8ELNS0_23SharedExpertScoringFuncE1EEEvPKT_PKbPfiPiS9_iiiiii,@function
_ZN4vllm3moe17topkGatingSoftmaxIDF16_Li2ELi2ELi8ELi4ELb1ELi8ELNS0_23SharedExpertScoringFuncE1EEEvPKT_PKbPfiPiS9_iiiiii: ; @_ZN4vllm3moe17topkGatingSoftmaxIDF16_Li2ELi2ELi8ELi4ELb1ELi8ELNS0_23SharedExpertScoringFuncE1EEEvPKT_PKbPfiPiS9_iiiiii
; %bb.0:
	s_load_dword s18, s[4:5], 0x18
	v_bfe_u32 v1, v0, 10, 10
	s_lshl_b32 s19, s6, 9
	v_lshlrev_b32_e32 v13, 6, v1
	v_and_b32_e32 v14, 0x3ff, v0
	v_add3_u32 v15, v13, v14, s19
	s_waitcnt lgkmcnt(0)
	v_cmp_gt_i32_e32 vcc, s18, v15
	s_and_saveexec_b64 s[0:1], vcc
	s_cbranch_execz .LBB124_19
; %bb.1:
	s_load_dwordx4 s[0:3], s[4:5], 0x0
	s_load_dwordx2 s[12:13], s[4:5], 0x10
	s_waitcnt lgkmcnt(0)
	s_cmp_eq_u64 s[2:3], 0
	s_cbranch_scc1 .LBB124_3
; %bb.2:
	v_ashrrev_i32_e32 v1, 31, v15
	v_mov_b32_e32 v2, s3
	v_add_co_u32_e32 v0, vcc, s2, v15
	v_addc_co_u32_e32 v1, vcc, v2, v1, vcc
	global_load_ubyte v0, v[0:1], off
	s_waitcnt vmcnt(0)
	v_and_b32_e32 v0, 1, v0
	v_cmp_eq_u32_e32 vcc, 1, v0
	s_xor_b64 s[2:3], vcc, -1
	s_orn2_b64 s[14:15], s[2:3], exec
	s_branch .LBB124_4
.LBB124_3:
	s_mov_b64 s[14:15], -1
.LBB124_4:
	s_load_dwordx2 s[2:3], s[4:5], 0x40
	s_load_dwordx4 s[8:11], s[4:5], 0x30
	v_mov_b32_e32 v2, s1
	v_mov_b32_e32 v10, s13
	s_mov_b32 s6, 0x32a5705f
	s_waitcnt lgkmcnt(0)
	v_mul_lo_u32 v0, v15, s3
	v_ashrrev_i32_e32 v1, 31, v0
	v_lshlrev_b64 v[0:1], 1, v[0:1]
	v_add_co_u32_e32 v8, vcc, s0, v0
	v_addc_co_u32_e32 v9, vcc, v2, v1, vcc
	global_load_dwordx4 v[0:3], v[8:9], off
	global_load_dword v16, v[8:9], off offset:16
	v_mul_lo_u32 v4, v15, s11
	v_add_u32_e32 v6, s8, v4
	v_ashrrev_i32_e32 v7, 31, v6
	v_lshlrev_b64 v[6:7], 2, v[6:7]
	v_add_co_u32_e32 v6, vcc, s12, v6
	v_addc_co_u32_e32 v7, vcc, v10, v7, vcc
	s_mov_b32 s3, 0x3fb8aa3b
	s_mov_b32 s20, 0xc2ce8ed0
	;; [unrolled: 1-line block ×3, first 2 shown]
	v_mov_b32_e32 v5, 0x7f800000
	s_cmp_gt_i32 s8, 0
	v_mov_b32_e32 v12, 0
	s_cselect_b64 s[16:17], -1, 0
	s_cmp_lt_i32 s8, 1
	s_waitcnt vmcnt(1)
	v_cvt_f32_f16_e64 v8, -v1
	v_cvt_f32_f16_sdwa v9, -v1 dst_sel:DWORD dst_unused:UNUSED_PAD src0_sel:WORD_1
	v_cvt_f32_f16_e64 v10, -v2
	v_cvt_f32_f16_sdwa v11, -v2 dst_sel:DWORD dst_unused:UNUSED_PAD src0_sel:WORD_1
	v_mul_f32_e32 v17, 0x3fb8aa3b, v8
	v_mul_f32_e32 v18, 0x3fb8aa3b, v9
	v_fma_mix_f32 v21, -v1, s3, -v17 op_sel_hi:[1,0,0]
	v_rndne_f32_e32 v22, v17
	v_mul_f32_e32 v19, 0x3fb8aa3b, v10
	v_fma_mix_f32 v23, -v1, s3, -v18 op_sel:[1,0,0] op_sel_hi:[1,0,0]
	v_rndne_f32_e32 v24, v18
	v_fma_mix_f32 v21, -v1, s6, v21 op_sel_hi:[1,0,0]
	v_sub_f32_e32 v17, v17, v22
	v_mul_f32_e32 v20, 0x3fb8aa3b, v11
	v_fma_mix_f32 v25, -v2, s3, -v19 op_sel_hi:[1,0,0]
	v_rndne_f32_e32 v26, v19
	v_fma_mix_f32 v1, -v1, s6, v23 op_sel:[1,0,0] op_sel_hi:[1,0,0]
	v_sub_f32_e32 v18, v18, v24
	v_add_f32_e32 v17, v17, v21
	v_fma_mix_f32 v27, -v2, s3, -v20 op_sel:[1,0,0] op_sel_hi:[1,0,0]
	v_rndne_f32_e32 v28, v20
	v_cvt_i32_f32_e32 v22, v22
	v_cvt_i32_f32_e32 v23, v24
	v_fma_mix_f32 v24, -v2, s6, v25 op_sel_hi:[1,0,0]
	v_sub_f32_e32 v19, v19, v26
	v_add_f32_e32 v1, v18, v1
	v_exp_f32_e32 v17, v17
	v_fma_mix_f32 v2, -v2, s6, v27 op_sel:[1,0,0] op_sel_hi:[1,0,0]
	v_sub_f32_e32 v20, v20, v28
	v_add_f32_e32 v18, v19, v24
	v_exp_f32_e32 v1, v1
	v_cvt_i32_f32_e32 v25, v26
	v_add_f32_e32 v2, v20, v2
	v_exp_f32_e32 v18, v18
	v_cvt_i32_f32_e32 v26, v28
	v_exp_f32_e32 v2, v2
	v_ldexp_f32 v17, v17, v22
	v_cmp_ngt_f32_e32 vcc, s20, v8
	v_ldexp_f32 v1, v1, v23
	v_cndmask_b32_e32 v17, 0, v17, vcc
	v_cmp_ngt_f32_e32 vcc, s20, v9
	v_ldexp_f32 v18, v18, v25
	v_cndmask_b32_e32 v1, 0, v1, vcc
	v_cmp_ngt_f32_e32 vcc, s20, v10
	v_ldexp_f32 v2, v2, v26
	v_cndmask_b32_e32 v18, 0, v18, vcc
	v_cmp_ngt_f32_e32 vcc, s20, v11
	v_cndmask_b32_e32 v2, 0, v2, vcc
	v_cmp_nlt_f32_e32 vcc, s21, v8
	v_cndmask_b32_e32 v8, v5, v17, vcc
	v_cmp_nlt_f32_e32 vcc, s21, v9
	;; [unrolled: 2-line block ×4, first 2 shown]
	v_pk_add_f32 v[8:9], v[8:9], 1.0 op_sel_hi:[1,0]
	v_cndmask_b32_e32 v11, v5, v2, vcc
	v_div_scale_f32 v1, s[0:1], v9, v9, 1.0
	v_pk_add_f32 v[10:11], v[10:11], 1.0 op_sel_hi:[1,0]
	v_div_scale_f32 v17, s[0:1], v8, v8, 1.0
	v_rcp_f32_e32 v19, v1
	v_div_scale_f32 v18, s[0:1], v11, v11, 1.0
	v_rcp_f32_e32 v20, v17
	v_rcp_f32_e32 v21, v18
	v_fma_f32 v23, -v1, v19, 1.0
	v_div_scale_f32 v2, vcc, 1.0, v9, 1.0
	v_fma_f32 v24, -v17, v20, 1.0
	v_fmac_f32_e32 v19, v23, v19
	v_div_scale_f32 v22, s[0:1], 1.0, v8, 1.0
	v_fma_f32 v25, -v18, v21, 1.0
	v_fmac_f32_e32 v20, v24, v20
	v_mul_f32_e32 v23, v2, v19
	v_fmac_f32_e32 v21, v25, v21
	v_mul_f32_e32 v24, v22, v20
	v_fma_f32 v25, -v1, v23, v2
	v_fma_f32 v26, -v17, v24, v22
	v_fmac_f32_e32 v23, v25, v19
	v_fmac_f32_e32 v24, v26, v20
	v_fma_f32 v1, -v1, v23, v2
	v_fma_f32 v2, -v17, v24, v22
	v_div_fmas_f32 v1, v1, v19, v23
	s_mov_b64 vcc, s[0:1]
	v_div_fixup_f32 v9, v1, v9, 1.0
	v_div_fmas_f32 v1, v2, v20, v24
	v_div_fixup_f32 v8, v1, v8, 1.0
	v_div_scale_f32 v1, vcc, 1.0, v11, 1.0
	v_mul_f32_e32 v2, v1, v21
	v_fma_f32 v17, -v18, v2, v1
	v_fmac_f32_e32 v2, v17, v21
	v_div_scale_f32 v17, s[0:1], v10, v10, 1.0
	v_fma_f32 v1, -v18, v2, v1
	v_rcp_f32_e32 v18, v17
	v_div_fmas_f32 v1, v1, v21, v2
	v_div_fixup_f32 v11, v1, v11, 1.0
	v_div_scale_f32 v2, vcc, 1.0, v10, 1.0
	v_fma_f32 v1, -v17, v18, 1.0
	v_fmac_f32_e32 v18, v1, v18
	v_cvt_f32_f16_e64 v1, -v3
	v_mul_f32_e32 v19, v2, v18
	v_fma_f32 v20, -v17, v19, v2
	v_fmac_f32_e32 v19, v20, v18
	v_mul_f32_e32 v21, 0x3fb8aa3b, v1
	v_fma_mix_f32 v22, -v3, s3, -v21 op_sel_hi:[1,0,0]
	v_rndne_f32_e32 v23, v21
	v_fma_mix_f32 v22, -v3, s6, v22 op_sel_hi:[1,0,0]
	v_sub_f32_e32 v21, v21, v23
	v_add_f32_e32 v21, v21, v22
	v_cvt_i32_f32_e32 v22, v23
	v_cvt_f32_f16_sdwa v23, -v3 dst_sel:DWORD dst_unused:UNUSED_PAD src0_sel:WORD_1
	v_exp_f32_e32 v21, v21
	v_fma_f32 v17, -v17, v19, v2
	v_cmp_ngt_f32_e64 s[0:1], s20, v1
	v_mul_f32_e32 v20, 0x3fb8aa3b, v23
	v_ldexp_f32 v2, v21, v22
	v_fma_mix_f32 v21, -v3, s3, -v20 op_sel:[1,0,0] op_sel_hi:[1,0,0]
	v_fma_mix_f32 v3, -v3, s6, v21 op_sel:[1,0,0] op_sel_hi:[1,0,0]
	v_rndne_f32_e32 v21, v20
	v_sub_f32_e32 v20, v20, v21
	v_add_f32_e32 v3, v20, v3
	v_exp_f32_e32 v3, v3
	v_cvt_i32_f32_e32 v20, v21
	v_cndmask_b32_e64 v2, 0, v2, s[0:1]
	v_cmp_nlt_f32_e64 s[0:1], s21, v1
	v_cndmask_b32_e64 v2, v5, v2, s[0:1]
	v_ldexp_f32 v1, v3, v20
	v_cmp_ngt_f32_e64 s[0:1], s20, v23
	v_cndmask_b32_e64 v1, 0, v1, s[0:1]
	v_cmp_nlt_f32_e64 s[0:1], s21, v23
	v_cndmask_b32_e64 v3, v5, v1, s[0:1]
	v_pk_add_f32 v[2:3], v[2:3], 1.0 op_sel_hi:[1,0]
	v_div_scale_f32 v1, s[0:1], v3, v3, 1.0
	v_rcp_f32_e32 v20, v1
	v_div_fmas_f32 v17, v17, v18, v19
	v_div_fixup_f32 v10, v17, v10, 1.0
	global_store_dwordx4 v[6:7], v[8:11], off
	s_nop 0
	v_fma_f32 v8, -v1, v20, 1.0
	v_fmac_f32_e32 v20, v8, v20
	v_div_scale_f32 v8, vcc, 1.0, v3, 1.0
	v_mul_f32_e32 v9, v8, v20
	v_fma_f32 v10, -v1, v9, v8
	v_fmac_f32_e32 v9, v10, v20
	v_fma_f32 v1, -v1, v9, v8
	v_div_scale_f32 v8, s[0:1], v2, v2, 1.0
	v_rcp_f32_e32 v17, v8
	v_div_fmas_f32 v1, v1, v20, v9
	v_div_fixup_f32 v9, v1, v3, 1.0
	v_div_scale_f32 v3, vcc, 1.0, v2, 1.0
	v_fma_f32 v1, -v8, v17, 1.0
	v_fmac_f32_e32 v17, v1, v17
	s_waitcnt vmcnt(1)
	v_cvt_f32_f16_e64 v1, -v16
	v_mul_f32_e32 v18, v3, v17
	v_fma_f32 v10, -v8, v18, v3
	v_fmac_f32_e32 v18, v10, v17
	v_mul_f32_e32 v11, 0x3fb8aa3b, v1
	v_fma_mix_f32 v19, -v16, s3, -v11 op_sel_hi:[1,0,0]
	v_rndne_f32_e32 v20, v11
	v_fma_mix_f32 v19, -v16, s6, v19 op_sel_hi:[1,0,0]
	v_sub_f32_e32 v11, v11, v20
	v_add_f32_e32 v11, v11, v19
	v_cvt_i32_f32_e32 v19, v20
	v_cvt_f32_f16_sdwa v20, -v16 dst_sel:DWORD dst_unused:UNUSED_PAD src0_sel:WORD_1
	v_exp_f32_e32 v11, v11
	v_fma_f32 v3, -v8, v18, v3
	v_cmp_ngt_f32_e64 s[0:1], s20, v1
	v_mul_f32_e32 v10, 0x3fb8aa3b, v20
	v_ldexp_f32 v8, v11, v19
	v_fma_mix_f32 v11, -v16, s3, -v10 op_sel:[1,0,0] op_sel_hi:[1,0,0]
	v_fma_mix_f32 v11, -v16, s6, v11 op_sel:[1,0,0] op_sel_hi:[1,0,0]
	v_rndne_f32_e32 v16, v10
	v_sub_f32_e32 v10, v10, v16
	v_add_f32_e32 v10, v10, v11
	v_exp_f32_e32 v11, v10
	v_cvt_i32_f32_e32 v16, v16
	v_cndmask_b32_e64 v8, 0, v8, s[0:1]
	v_cmp_nlt_f32_e64 s[0:1], s21, v1
	v_cndmask_b32_e64 v10, v5, v8, s[0:1]
	v_ldexp_f32 v1, v11, v16
	v_cmp_ngt_f32_e64 s[0:1], s20, v20
	v_cndmask_b32_e64 v1, 0, v1, s[0:1]
	v_cmp_nlt_f32_e64 s[0:1], s21, v20
	v_cndmask_b32_e64 v11, v5, v1, s[0:1]
	v_pk_add_f32 v[10:11], v[10:11], 1.0 op_sel_hi:[1,0]
	v_div_scale_f32 v1, s[0:1], v11, v11, 1.0
	v_rcp_f32_e32 v16, v1
	v_div_fmas_f32 v3, v3, v17, v18
	v_div_fixup_f32 v8, v3, v2, 1.0
	v_fma_f32 v2, -v1, v16, 1.0
	v_fmac_f32_e32 v16, v2, v16
	v_div_scale_f32 v2, vcc, 1.0, v11, 1.0
	v_mul_f32_e32 v3, v2, v16
	v_fma_f32 v17, -v1, v3, v2
	v_fmac_f32_e32 v3, v17, v16
	v_fma_f32 v1, -v1, v3, v2
	v_div_scale_f32 v2, s[0:1], v10, v10, 1.0
	v_rcp_f32_e32 v17, v2
	v_div_fmas_f32 v1, v1, v16, v3
	v_div_fixup_f32 v11, v1, v11, 1.0
	v_fma_f32 v1, -v2, v17, 1.0
	v_fmac_f32_e32 v17, v1, v17
	v_div_scale_f32 v1, vcc, 1.0, v10, 1.0
	v_mul_f32_e32 v3, v1, v17
	v_fma_f32 v16, -v2, v3, v1
	v_fmac_f32_e32 v3, v16, v17
	v_fma_f32 v1, -v2, v3, v1
	v_div_fmas_f32 v1, v1, v17, v3
	v_div_fixup_f32 v10, v1, v10, 1.0
	global_store_dwordx4 v[6:7], v[8:11], off offset:16
	s_cbranch_scc1 .LBB124_8
; %bb.5:
	v_cvt_f32_f16_e32 v17, v0
	v_cvt_f32_f16_sdwa v1, v0 dst_sel:DWORD dst_unused:UNUSED_PAD src0_sel:WORD_1
	v_cmp_lt_f16_sdwa vcc, v0, v0 src0_sel:DWORD src1_sel:WORD_1
	v_cndmask_b32_e64 v18, 0, 1, vcc
	v_mul_lo_u32 v2, v15, s2
	v_cndmask_b32_e32 v16, v17, v1, vcc
	v_sub_f32_e32 v0, v16, v16
	v_mul_f32_e32 v3, 0x3fb8aa3b, v0
	v_fma_f32 v6, v0, s3, -v3
	v_rndne_f32_e32 v7, v3
	v_fmac_f32_e32 v6, 0x32a5705f, v0
	v_sub_f32_e32 v3, v3, v7
	v_add_f32_e32 v3, v3, v6
	v_exp_f32_e32 v3, v3
	v_cvt_i32_f32_e32 v6, v7
	v_cmp_le_i32_e64 s[0:1], s9, v18
	v_cmp_gt_i32_e64 s[2:3], s10, v18
	s_and_b64 s[22:23], s[0:1], s[2:3]
	v_ldexp_f32 v3, v3, v6
	v_cmp_ngt_f32_e64 s[0:1], s20, v0
	v_cndmask_b32_e64 v3, 0, v3, s[0:1]
	v_cmp_nlt_f32_e64 s[0:1], s21, v0
	s_load_dwordx4 s[4:7], s[4:5], 0x20
	v_cndmask_b32_e64 v12, v5, v3, s[0:1]
	v_ashrrev_i32_e32 v5, 31, v4
	v_lshlrev_b64 v[8:9], 2, v[4:5]
	v_mov_b32_e32 v0, s13
	v_add_co_u32_e64 v10, s[0:1], s12, v8
	v_addc_co_u32_e64 v11, s[2:3], v0, v9, s[0:1]
	v_ashrrev_i32_e32 v3, 31, v2
	v_subrev_u32_e32 v0, s9, v18
	s_and_b64 s[2:3], s[14:15], s[22:23]
	v_lshlrev_b64 v[6:7], 2, v[2:3]
	v_mul_lo_u32 v20, v15, s8
	v_cndmask_b32_e64 v0, 2, v0, s[2:3]
	s_waitcnt lgkmcnt(0)
	v_mov_b32_e32 v3, s5
	v_add_co_u32_e64 v2, s[2:3], s4, v6
	v_addc_co_u32_e64 v3, s[2:3], v3, v7, s[2:3]
	v_ashrrev_i32_e32 v21, 31, v20
	global_store_dword v[2:3], v0, off
	v_lshlrev_b64 v[2:3], 2, v[20:21]
	v_mov_b32_e32 v0, s7
	v_add_co_u32_e64 v20, s[2:3], s6, v2
	v_addc_co_u32_e64 v21, s[2:3], v0, v3, s[2:3]
	s_cmp_eq_u32 s8, 1
	global_store_dword v[10:11], v12, off
	global_store_dword v[20:21], v15, off
	s_cbranch_scc1 .LBB124_8
; %bb.6:
	v_mov_b32_e32 v5, 0xff800000
	v_cndmask_b32_e32 v0, v5, v17, vcc
	v_cmp_ne_u32_e32 vcc, 1, v18
	v_cndmask_b32_e32 v1, v5, v1, vcc
	v_mov_b32_e32 v8, s7
	v_add_co_u32_e32 v2, vcc, s6, v2
	v_addc_co_u32_e32 v3, vcc, v3, v8, vcc
	v_add_co_u32_e32 v2, vcc, 4, v2
	v_addc_co_u32_e32 v3, vcc, 0, v3, vcc
	v_mov_b32_e32 v8, s5
	v_add_co_u32_e32 v6, vcc, s4, v6
	v_addc_co_u32_e32 v7, vcc, v7, v8, vcc
	v_add_co_u32_e32 v6, vcc, 4, v6
	v_mov_b32_e32 v8, s13
	v_addc_co_u32_e32 v7, vcc, 0, v7, vcc
	v_addc_co_u32_e64 v9, vcc, v9, v8, s[0:1]
	v_add_co_u32_e32 v8, vcc, 4, v10
	s_add_i32 s19, s19, s18
	v_addc_co_u32_e32 v9, vcc, 0, v9, vcc
	s_add_i32 s2, s8, -1
	v_add3_u32 v10, s19, v14, v13
	s_mov_b32 s3, 0x3fb8aa3b
	s_mov_b32 s4, 0xc2ce8ed0
	;; [unrolled: 1-line block ×3, first 2 shown]
	v_mov_b32_e32 v11, 0x7f800000
.LBB124_7:                              ; =>This Inner Loop Header: Depth=1
	v_cmp_gt_f32_e32 vcc, v1, v0
	v_cndmask_b32_e32 v13, v0, v1, vcc
	v_cndmask_b32_e64 v14, 0, 1, vcc
	v_sub_f32_e32 v13, v13, v16
	v_cndmask_b32_e32 v1, v1, v5, vcc
	v_cndmask_b32_e32 v0, v5, v0, vcc
	v_cmp_le_i32_e32 vcc, s9, v14
	v_cmp_gt_i32_e64 s[0:1], s10, v14
	v_mul_f32_e32 v15, 0x3fb8aa3b, v13
	s_and_b64 s[0:1], vcc, s[0:1]
	v_fma_f32 v17, v13, s3, -v15
	v_rndne_f32_e32 v18, v15
	v_subrev_u32_e32 v14, s9, v14
	v_fmac_f32_e32 v17, 0x32a5705f, v13
	v_sub_f32_e32 v15, v15, v18
	s_and_b64 vcc, s[14:15], s[0:1]
	v_cndmask_b32_e32 v14, 2, v14, vcc
	v_add_f32_e32 v15, v15, v17
	v_cvt_i32_f32_e32 v18, v18
	global_store_dword v[6:7], v14, off
	global_store_dword v[2:3], v10, off
	v_add_co_u32_e32 v2, vcc, 4, v2
	v_exp_f32_e32 v14, v15
	v_addc_co_u32_e32 v3, vcc, 0, v3, vcc
	v_add_co_u32_e32 v6, vcc, 4, v6
	v_addc_co_u32_e32 v7, vcc, 0, v7, vcc
	v_ldexp_f32 v14, v14, v18
	v_cmp_ngt_f32_e32 vcc, s4, v13
	v_cndmask_b32_e32 v14, 0, v14, vcc
	v_cmp_nlt_f32_e32 vcc, s5, v13
	v_cndmask_b32_e32 v13, v11, v14, vcc
	s_add_i32 s2, s2, -1
	global_store_dword v[8:9], v13, off
	v_add_co_u32_e32 v8, vcc, 4, v8
	v_add_u32_e32 v10, s18, v10
	s_cmp_eq_u32 s2, 0
	v_add_f32_e32 v12, v12, v13
	v_addc_co_u32_e32 v9, vcc, 0, v9, vcc
	s_cbranch_scc0 .LBB124_7
.LBB124_8:
	v_cmp_neq_f32_e32 vcc, 0, v12
	s_and_b64 exec, exec, vcc
	s_cbranch_execz .LBB124_19
; %bb.9:
	s_andn2_b64 vcc, exec, s[16:17]
	s_cbranch_vccnz .LBB124_19
; %bb.10:
	v_div_scale_f32 v0, s[0:1], v12, v12, 1.0
	v_rcp_f32_e32 v1, v0
	v_div_scale_f32 v2, vcc, 1.0, v12, 1.0
	s_cmp_gt_u32 s8, 3
	v_fma_f32 v3, -v0, v1, 1.0
	v_fmac_f32_e32 v1, v3, v1
	v_mul_f32_e32 v3, v2, v1
	v_fma_f32 v5, -v0, v3, v2
	v_fmac_f32_e32 v3, v5, v1
	v_fma_f32 v0, -v0, v3, v2
	v_div_fmas_f32 v0, v0, v1, v3
	v_div_fixup_f32 v0, v0, v12, 1.0
	v_ashrrev_i32_e32 v5, 31, v4
	s_cbranch_scc0 .LBB124_14
; %bb.11:
	v_lshlrev_b64 v[2:3], 2, v[4:5]
	v_mov_b32_e32 v6, s13
	v_add_co_u32_e32 v2, vcc, s12, v2
	v_addc_co_u32_e32 v3, vcc, v3, v6, vcc
	s_and_b32 s4, s8, 0x7ffffffc
	v_add_co_u32_e32 v2, vcc, 8, v2
	v_mov_b32_e32 v1, v0
	v_addc_co_u32_e32 v3, vcc, 0, v3, vcc
	s_mov_b32 s0, s4
.LBB124_12:                             ; =>This Inner Loop Header: Depth=1
	global_load_dwordx4 v[6:9], v[2:3], off offset:-8
	s_add_i32 s0, s0, -4
	s_cmp_lg_u32 s0, 0
	s_waitcnt vmcnt(0)
	v_pk_mul_f32 v[6:7], v[0:1], v[6:7]
	v_pk_mul_f32 v[8:9], v[0:1], v[8:9]
	global_store_dwordx4 v[2:3], v[6:9], off offset:-8
	v_add_co_u32_e32 v2, vcc, 16, v2
	v_addc_co_u32_e32 v3, vcc, 0, v3, vcc
	s_cbranch_scc1 .LBB124_12
; %bb.13:
	s_cmp_lg_u32 s4, s8
	s_cselect_b64 s[0:1], -1, 0
	s_branch .LBB124_16
.LBB124_14:
	s_mov_b64 s[0:1], 0
                                        ; implicit-def: $sgpr4
	s_cbranch_execz .LBB124_16
; %bb.15:
	s_mov_b64 s[0:1], -1
	s_mov_b32 s4, 0
.LBB124_16:
	s_andn2_b64 vcc, exec, s[0:1]
	s_cbranch_vccnz .LBB124_19
; %bb.17:
	v_add_co_u32_e32 v2, vcc, s4, v4
	v_addc_co_u32_e32 v3, vcc, 0, v5, vcc
	v_lshlrev_b64 v[2:3], 2, v[2:3]
	v_mov_b32_e32 v1, s13
	v_add_co_u32_e32 v2, vcc, s12, v2
	s_sub_i32 s0, s8, s4
	v_addc_co_u32_e32 v3, vcc, v1, v3, vcc
.LBB124_18:                             ; =>This Inner Loop Header: Depth=1
	global_load_dword v1, v[2:3], off
	s_add_i32 s0, s0, -1
	s_cmp_lg_u32 s0, 0
	s_waitcnt vmcnt(0)
	v_mul_f32_e32 v1, v0, v1
	global_store_dword v[2:3], v1, off
	v_add_co_u32_e32 v2, vcc, 4, v2
	v_addc_co_u32_e32 v3, vcc, 0, v3, vcc
	s_cbranch_scc1 .LBB124_18
.LBB124_19:
	s_endpgm
	.section	.rodata,"a",@progbits
	.p2align	6, 0x0
	.amdhsa_kernel _ZN4vllm3moe17topkGatingSoftmaxIDF16_Li2ELi2ELi8ELi4ELb1ELi8ELNS0_23SharedExpertScoringFuncE1EEEvPKT_PKbPfiPiS9_iiiiii
		.amdhsa_group_segment_fixed_size 0
		.amdhsa_private_segment_fixed_size 0
		.amdhsa_kernarg_size 72
		.amdhsa_user_sgpr_count 6
		.amdhsa_user_sgpr_private_segment_buffer 1
		.amdhsa_user_sgpr_dispatch_ptr 0
		.amdhsa_user_sgpr_queue_ptr 0
		.amdhsa_user_sgpr_kernarg_segment_ptr 1
		.amdhsa_user_sgpr_dispatch_id 0
		.amdhsa_user_sgpr_flat_scratch_init 0
		.amdhsa_user_sgpr_kernarg_preload_length 0
		.amdhsa_user_sgpr_kernarg_preload_offset 0
		.amdhsa_user_sgpr_private_segment_size 0
		.amdhsa_uses_dynamic_stack 0
		.amdhsa_system_sgpr_private_segment_wavefront_offset 0
		.amdhsa_system_sgpr_workgroup_id_x 1
		.amdhsa_system_sgpr_workgroup_id_y 0
		.amdhsa_system_sgpr_workgroup_id_z 0
		.amdhsa_system_sgpr_workgroup_info 0
		.amdhsa_system_vgpr_workitem_id 1
		.amdhsa_next_free_vgpr 29
		.amdhsa_next_free_sgpr 24
		.amdhsa_accum_offset 32
		.amdhsa_reserve_vcc 1
		.amdhsa_reserve_flat_scratch 0
		.amdhsa_float_round_mode_32 0
		.amdhsa_float_round_mode_16_64 0
		.amdhsa_float_denorm_mode_32 3
		.amdhsa_float_denorm_mode_16_64 3
		.amdhsa_dx10_clamp 1
		.amdhsa_ieee_mode 1
		.amdhsa_fp16_overflow 0
		.amdhsa_tg_split 0
		.amdhsa_exception_fp_ieee_invalid_op 0
		.amdhsa_exception_fp_denorm_src 0
		.amdhsa_exception_fp_ieee_div_zero 0
		.amdhsa_exception_fp_ieee_overflow 0
		.amdhsa_exception_fp_ieee_underflow 0
		.amdhsa_exception_fp_ieee_inexact 0
		.amdhsa_exception_int_div_zero 0
	.end_amdhsa_kernel
	.section	.text._ZN4vllm3moe17topkGatingSoftmaxIDF16_Li2ELi2ELi8ELi4ELb1ELi8ELNS0_23SharedExpertScoringFuncE1EEEvPKT_PKbPfiPiS9_iiiiii,"axG",@progbits,_ZN4vllm3moe17topkGatingSoftmaxIDF16_Li2ELi2ELi8ELi4ELb1ELi8ELNS0_23SharedExpertScoringFuncE1EEEvPKT_PKbPfiPiS9_iiiiii,comdat
.Lfunc_end124:
	.size	_ZN4vllm3moe17topkGatingSoftmaxIDF16_Li2ELi2ELi8ELi4ELb1ELi8ELNS0_23SharedExpertScoringFuncE1EEEvPKT_PKbPfiPiS9_iiiiii, .Lfunc_end124-_ZN4vllm3moe17topkGatingSoftmaxIDF16_Li2ELi2ELi8ELi4ELb1ELi8ELNS0_23SharedExpertScoringFuncE1EEEvPKT_PKbPfiPiS9_iiiiii
                                        ; -- End function
	.section	.AMDGPU.csdata,"",@progbits
; Kernel info:
; codeLenInByte = 2564
; NumSgprs: 28
; NumVgprs: 29
; NumAgprs: 0
; TotalNumVgprs: 29
; ScratchSize: 0
; MemoryBound: 0
; FloatMode: 240
; IeeeMode: 1
; LDSByteSize: 0 bytes/workgroup (compile time only)
; SGPRBlocks: 3
; VGPRBlocks: 3
; NumSGPRsForWavesPerEU: 28
; NumVGPRsForWavesPerEU: 29
; AccumOffset: 32
; Occupancy: 8
; WaveLimiterHint : 0
; COMPUTE_PGM_RSRC2:SCRATCH_EN: 0
; COMPUTE_PGM_RSRC2:USER_SGPR: 6
; COMPUTE_PGM_RSRC2:TRAP_HANDLER: 0
; COMPUTE_PGM_RSRC2:TGID_X_EN: 1
; COMPUTE_PGM_RSRC2:TGID_Y_EN: 0
; COMPUTE_PGM_RSRC2:TGID_Z_EN: 0
; COMPUTE_PGM_RSRC2:TIDIG_COMP_CNT: 1
; COMPUTE_PGM_RSRC3_GFX90A:ACCUM_OFFSET: 7
; COMPUTE_PGM_RSRC3_GFX90A:TG_SPLIT: 0
	.section	.text._ZN4vllm3moe17topkGatingSoftmaxIDF16_Li2ELi2ELi8ELi4ELb0ELi8ELNS0_23SharedExpertScoringFuncE1EEEvPKT_PKbPfiPiS9_iiiiii,"axG",@progbits,_ZN4vllm3moe17topkGatingSoftmaxIDF16_Li2ELi2ELi8ELi4ELb0ELi8ELNS0_23SharedExpertScoringFuncE1EEEvPKT_PKbPfiPiS9_iiiiii,comdat
	.protected	_ZN4vllm3moe17topkGatingSoftmaxIDF16_Li2ELi2ELi8ELi4ELb0ELi8ELNS0_23SharedExpertScoringFuncE1EEEvPKT_PKbPfiPiS9_iiiiii ; -- Begin function _ZN4vllm3moe17topkGatingSoftmaxIDF16_Li2ELi2ELi8ELi4ELb0ELi8ELNS0_23SharedExpertScoringFuncE1EEEvPKT_PKbPfiPiS9_iiiiii
	.globl	_ZN4vllm3moe17topkGatingSoftmaxIDF16_Li2ELi2ELi8ELi4ELb0ELi8ELNS0_23SharedExpertScoringFuncE1EEEvPKT_PKbPfiPiS9_iiiiii
	.p2align	8
	.type	_ZN4vllm3moe17topkGatingSoftmaxIDF16_Li2ELi2ELi8ELi4ELb0ELi8ELNS0_23SharedExpertScoringFuncE1EEEvPKT_PKbPfiPiS9_iiiiii,@function
_ZN4vllm3moe17topkGatingSoftmaxIDF16_Li2ELi2ELi8ELi4ELb0ELi8ELNS0_23SharedExpertScoringFuncE1EEEvPKT_PKbPfiPiS9_iiiiii: ; @_ZN4vllm3moe17topkGatingSoftmaxIDF16_Li2ELi2ELi8ELi4ELb0ELi8ELNS0_23SharedExpertScoringFuncE1EEEvPKT_PKbPfiPiS9_iiiiii
; %bb.0:
	s_load_dword s18, s[4:5], 0x18
	v_bfe_u32 v1, v0, 10, 10
	s_lshl_b32 s22, s6, 9
	v_lshlrev_b32_e32 v16, 6, v1
	v_and_b32_e32 v17, 0x3ff, v0
	v_add3_u32 v18, v16, v17, s22
	s_waitcnt lgkmcnt(0)
	v_cmp_gt_i32_e32 vcc, s18, v18
	s_and_saveexec_b64 s[0:1], vcc
	s_cbranch_execz .LBB125_19
; %bb.1:
	s_load_dwordx4 s[0:3], s[4:5], 0x0
	s_load_dwordx2 s[12:13], s[4:5], 0x10
	s_waitcnt lgkmcnt(0)
	s_cmp_eq_u64 s[2:3], 0
	s_cbranch_scc1 .LBB125_3
; %bb.2:
	v_ashrrev_i32_e32 v1, 31, v18
	v_mov_b32_e32 v2, s3
	v_add_co_u32_e32 v0, vcc, s2, v18
	v_addc_co_u32_e32 v1, vcc, v2, v1, vcc
	global_load_ubyte v0, v[0:1], off
	s_waitcnt vmcnt(0)
	v_and_b32_e32 v0, 1, v0
	v_cmp_eq_u32_e32 vcc, 1, v0
	s_xor_b64 s[2:3], vcc, -1
	s_orn2_b64 s[14:15], s[2:3], exec
	s_branch .LBB125_4
.LBB125_3:
	s_mov_b64 s[14:15], -1
.LBB125_4:
	s_load_dwordx2 s[2:3], s[4:5], 0x40
	s_load_dwordx4 s[8:11], s[4:5], 0x30
	v_mov_b32_e32 v2, s1
	v_mov_b32_e32 v5, s13
	s_mov_b32 s20, 0x3fb8aa3b
	s_waitcnt lgkmcnt(0)
	v_mul_lo_u32 v0, v18, s3
	v_ashrrev_i32_e32 v1, 31, v0
	v_lshlrev_b64 v[0:1], 1, v[0:1]
	v_add_co_u32_e32 v6, vcc, s0, v0
	v_addc_co_u32_e32 v7, vcc, v2, v1, vcc
	global_load_dwordx4 v[0:3], v[6:7], off
	v_mul_lo_u32 v4, v18, s11
	v_add_u32_e32 v8, s8, v4
	v_ashrrev_i32_e32 v9, 31, v8
	v_lshlrev_b64 v[8:9], 2, v[8:9]
	v_add_co_u32_e32 v8, vcc, s12, v8
	v_addc_co_u32_e32 v9, vcc, v5, v9, vcc
	global_load_dword v5, v[6:7], off offset:16
	s_mov_b32 s3, 0x32a5705f
	s_mov_b32 s19, 0xc2ce8ed0
	;; [unrolled: 1-line block ×3, first 2 shown]
	v_mov_b32_e32 v14, 0x7f800000
	s_cmp_gt_i32 s8, 0
	v_mov_b32_e32 v15, 0
	s_cselect_b64 s[16:17], -1, 0
	s_cmp_lt_i32 s8, 1
	s_waitcnt vmcnt(1)
	v_cvt_f32_f16_e64 v10, -v1
	v_cvt_f32_f16_sdwa v11, -v1 dst_sel:DWORD dst_unused:UNUSED_PAD src0_sel:WORD_1
	v_cvt_f32_f16_e64 v12, -v2
	v_cvt_f32_f16_sdwa v13, -v2 dst_sel:DWORD dst_unused:UNUSED_PAD src0_sel:WORD_1
	v_mul_f32_e32 v19, 0x3fb8aa3b, v10
	v_mul_f32_e32 v20, 0x3fb8aa3b, v11
	v_fma_mix_f32 v23, -v1, s20, -v19 op_sel_hi:[1,0,0]
	v_rndne_f32_e32 v24, v19
	v_mul_f32_e32 v21, 0x3fb8aa3b, v12
	v_fma_mix_f32 v25, -v1, s20, -v20 op_sel:[1,0,0] op_sel_hi:[1,0,0]
	v_rndne_f32_e32 v26, v20
	v_fma_mix_f32 v23, -v1, s3, v23 op_sel_hi:[1,0,0]
	v_sub_f32_e32 v19, v19, v24
	v_mul_f32_e32 v22, 0x3fb8aa3b, v13
	v_fma_mix_f32 v27, -v2, s20, -v21 op_sel_hi:[1,0,0]
	v_rndne_f32_e32 v28, v21
	v_fma_mix_f32 v1, -v1, s3, v25 op_sel:[1,0,0] op_sel_hi:[1,0,0]
	v_sub_f32_e32 v20, v20, v26
	v_add_f32_e32 v19, v19, v23
	v_fma_mix_f32 v29, -v2, s20, -v22 op_sel:[1,0,0] op_sel_hi:[1,0,0]
	v_rndne_f32_e32 v30, v22
	v_cvt_i32_f32_e32 v24, v24
	v_cvt_i32_f32_e32 v25, v26
	v_fma_mix_f32 v26, -v2, s3, v27 op_sel_hi:[1,0,0]
	v_sub_f32_e32 v21, v21, v28
	v_add_f32_e32 v1, v20, v1
	v_exp_f32_e32 v19, v19
	v_fma_mix_f32 v2, -v2, s3, v29 op_sel:[1,0,0] op_sel_hi:[1,0,0]
	v_sub_f32_e32 v22, v22, v30
	v_add_f32_e32 v20, v21, v26
	v_exp_f32_e32 v1, v1
	v_cvt_i32_f32_e32 v27, v28
	v_add_f32_e32 v2, v22, v2
	v_exp_f32_e32 v20, v20
	v_cvt_i32_f32_e32 v28, v30
	v_exp_f32_e32 v2, v2
	v_ldexp_f32 v19, v19, v24
	v_cmp_ngt_f32_e32 vcc, s19, v10
	v_ldexp_f32 v1, v1, v25
	v_cndmask_b32_e32 v19, 0, v19, vcc
	v_cmp_ngt_f32_e32 vcc, s19, v11
	v_ldexp_f32 v20, v20, v27
	v_cndmask_b32_e32 v1, 0, v1, vcc
	;; [unrolled: 3-line block ×3, first 2 shown]
	v_cmp_ngt_f32_e32 vcc, s19, v13
	v_cndmask_b32_e32 v2, 0, v2, vcc
	v_cmp_nlt_f32_e32 vcc, s21, v10
	v_cndmask_b32_e32 v10, v14, v19, vcc
	v_cmp_nlt_f32_e32 vcc, s21, v11
	v_cndmask_b32_e32 v11, v14, v1, vcc
	v_pk_add_f32 v[10:11], v[10:11], 1.0 op_sel_hi:[1,0]
	v_div_scale_f32 v1, s[0:1], v11, v11, 1.0
	v_div_scale_f32 v19, s[0:1], v10, v10, 1.0
	v_rcp_f32_e32 v21, v1
	v_cmp_nlt_f32_e32 vcc, s21, v12
	v_rcp_f32_e32 v22, v19
	v_cndmask_b32_e32 v12, v14, v20, vcc
	v_cmp_nlt_f32_e32 vcc, s21, v13
	v_cndmask_b32_e32 v13, v14, v2, vcc
	v_pk_add_f32 v[12:13], v[12:13], 1.0 op_sel_hi:[1,0]
	v_fma_f32 v25, -v1, v21, 1.0
	v_div_scale_f32 v2, vcc, 1.0, v11, 1.0
	v_div_scale_f32 v20, s[0:1], v13, v13, 1.0
	v_fma_f32 v26, -v19, v22, 1.0
	v_fmac_f32_e32 v21, v25, v21
	v_div_scale_f32 v24, s[0:1], 1.0, v10, 1.0
	v_fmac_f32_e32 v22, v26, v22
	v_mul_f32_e32 v25, v2, v21
	v_rcp_f32_e32 v23, v20
	v_mul_f32_e32 v26, v24, v22
	v_fma_f32 v28, -v1, v25, v2
	v_fma_f32 v29, -v19, v26, v24
	v_fmac_f32_e32 v25, v28, v21
	v_fmac_f32_e32 v26, v29, v22
	v_fma_f32 v1, -v1, v25, v2
	v_fma_f32 v2, -v19, v26, v24
	v_div_fmas_f32 v1, v1, v21, v25
	s_mov_b64 vcc, s[0:1]
	v_fma_f32 v27, -v20, v23, 1.0
	v_div_fixup_f32 v11, v1, v11, 1.0
	v_div_fmas_f32 v1, v2, v22, v26
	v_div_fixup_f32 v10, v1, v10, 1.0
	v_fmac_f32_e32 v23, v27, v23
	v_div_scale_f32 v1, vcc, 1.0, v13, 1.0
	v_mul_f32_e32 v2, v1, v23
	v_fma_f32 v19, -v20, v2, v1
	v_fmac_f32_e32 v2, v19, v23
	v_div_scale_f32 v19, s[0:1], v12, v12, 1.0
	v_fma_f32 v1, -v20, v2, v1
	v_rcp_f32_e32 v20, v19
	v_div_fmas_f32 v1, v1, v23, v2
	v_div_fixup_f32 v13, v1, v13, 1.0
	v_div_scale_f32 v2, vcc, 1.0, v12, 1.0
	v_fma_f32 v1, -v19, v20, 1.0
	v_fmac_f32_e32 v20, v1, v20
	v_cvt_f32_f16_e64 v1, -v3
	v_mul_f32_e32 v21, v2, v20
	v_fma_f32 v22, -v19, v21, v2
	v_fmac_f32_e32 v21, v22, v20
	v_mul_f32_e32 v23, 0x3fb8aa3b, v1
	v_fma_mix_f32 v24, -v3, s20, -v23 op_sel_hi:[1,0,0]
	v_rndne_f32_e32 v25, v23
	v_fma_mix_f32 v24, -v3, s3, v24 op_sel_hi:[1,0,0]
	v_sub_f32_e32 v23, v23, v25
	v_add_f32_e32 v23, v23, v24
	v_cvt_i32_f32_e32 v24, v25
	v_cvt_f32_f16_sdwa v25, -v3 dst_sel:DWORD dst_unused:UNUSED_PAD src0_sel:WORD_1
	v_exp_f32_e32 v23, v23
	v_fma_f32 v19, -v19, v21, v2
	v_cmp_ngt_f32_e64 s[0:1], s19, v1
	v_mul_f32_e32 v22, 0x3fb8aa3b, v25
	v_ldexp_f32 v2, v23, v24
	v_fma_mix_f32 v23, -v3, s20, -v22 op_sel:[1,0,0] op_sel_hi:[1,0,0]
	v_fma_mix_f32 v3, -v3, s3, v23 op_sel:[1,0,0] op_sel_hi:[1,0,0]
	v_rndne_f32_e32 v23, v22
	v_sub_f32_e32 v22, v22, v23
	v_add_f32_e32 v3, v22, v3
	v_exp_f32_e32 v3, v3
	v_cvt_i32_f32_e32 v22, v23
	v_cndmask_b32_e64 v2, 0, v2, s[0:1]
	v_cmp_nlt_f32_e64 s[0:1], s21, v1
	v_cndmask_b32_e64 v2, v14, v2, s[0:1]
	v_ldexp_f32 v1, v3, v22
	v_cmp_ngt_f32_e64 s[0:1], s19, v25
	v_cndmask_b32_e64 v1, 0, v1, s[0:1]
	v_cmp_nlt_f32_e64 s[0:1], s21, v25
	v_cndmask_b32_e64 v3, v14, v1, s[0:1]
	v_pk_add_f32 v[2:3], v[2:3], 1.0 op_sel_hi:[1,0]
	v_div_scale_f32 v1, s[0:1], v3, v3, 1.0
	v_rcp_f32_e32 v22, v1
	v_div_fmas_f32 v19, v19, v20, v21
	v_div_fixup_f32 v12, v19, v12, 1.0
	global_store_dwordx4 v[8:9], v[10:13], off
	v_cvt_f32_f16_e32 v6, v0
	v_fma_f32 v10, -v1, v22, 1.0
	v_fmac_f32_e32 v22, v10, v22
	v_div_scale_f32 v10, vcc, 1.0, v3, 1.0
	v_mul_f32_e32 v11, v10, v22
	v_fma_f32 v12, -v1, v11, v10
	v_fmac_f32_e32 v11, v12, v22
	v_fma_f32 v1, -v1, v11, v10
	v_div_scale_f32 v10, s[0:1], v2, v2, 1.0
	v_rcp_f32_e32 v19, v10
	v_div_fmas_f32 v1, v1, v22, v11
	v_div_fixup_f32 v11, v1, v3, 1.0
	v_div_scale_f32 v3, vcc, 1.0, v2, 1.0
	v_fma_f32 v1, -v10, v19, 1.0
	v_fmac_f32_e32 v19, v1, v19
	s_waitcnt vmcnt(1)
	v_cvt_f32_f16_e64 v1, -v5
	v_mul_f32_e32 v20, v3, v19
	v_fma_f32 v12, -v10, v20, v3
	v_fmac_f32_e32 v20, v12, v19
	v_mul_f32_e32 v13, 0x3fb8aa3b, v1
	v_fma_mix_f32 v21, -v5, s20, -v13 op_sel_hi:[1,0,0]
	v_rndne_f32_e32 v22, v13
	v_fma_mix_f32 v21, -v5, s3, v21 op_sel_hi:[1,0,0]
	v_sub_f32_e32 v13, v13, v22
	v_add_f32_e32 v13, v13, v21
	v_cvt_i32_f32_e32 v21, v22
	v_cvt_f32_f16_sdwa v22, -v5 dst_sel:DWORD dst_unused:UNUSED_PAD src0_sel:WORD_1
	v_exp_f32_e32 v13, v13
	v_fma_f32 v3, -v10, v20, v3
	v_cmp_ngt_f32_e64 s[0:1], s19, v1
	v_mul_f32_e32 v12, 0x3fb8aa3b, v22
	v_ldexp_f32 v10, v13, v21
	v_fma_mix_f32 v13, -v5, s20, -v12 op_sel:[1,0,0] op_sel_hi:[1,0,0]
	v_fma_mix_f32 v5, -v5, s3, v13 op_sel:[1,0,0] op_sel_hi:[1,0,0]
	v_rndne_f32_e32 v13, v12
	v_sub_f32_e32 v12, v12, v13
	v_add_f32_e32 v5, v12, v5
	v_exp_f32_e32 v5, v5
	v_cvt_i32_f32_e32 v13, v13
	v_cndmask_b32_e64 v10, 0, v10, s[0:1]
	v_cmp_nlt_f32_e64 s[0:1], s21, v1
	v_cndmask_b32_e64 v12, v14, v10, s[0:1]
	v_ldexp_f32 v1, v5, v13
	v_cmp_ngt_f32_e64 s[0:1], s19, v22
	v_cndmask_b32_e64 v1, 0, v1, s[0:1]
	v_cmp_nlt_f32_e64 s[0:1], s21, v22
	v_cndmask_b32_e64 v13, v14, v1, s[0:1]
	v_pk_add_f32 v[12:13], v[12:13], 1.0 op_sel_hi:[1,0]
	v_div_scale_f32 v1, s[0:1], v13, v13, 1.0
	v_rcp_f32_e32 v5, v1
	v_div_fmas_f32 v3, v3, v19, v20
	v_div_fixup_f32 v10, v3, v2, 1.0
	v_cvt_f32_f16_sdwa v7, v0 dst_sel:DWORD dst_unused:UNUSED_PAD src0_sel:WORD_1
	v_fma_f32 v2, -v1, v5, 1.0
	v_fmac_f32_e32 v5, v2, v5
	v_div_scale_f32 v2, vcc, 1.0, v13, 1.0
	v_mul_f32_e32 v3, v2, v5
	v_fma_f32 v19, -v1, v3, v2
	v_fmac_f32_e32 v3, v19, v5
	v_fma_f32 v1, -v1, v3, v2
	v_div_scale_f32 v2, s[0:1], v12, v12, 1.0
	v_rcp_f32_e32 v19, v2
	v_div_fmas_f32 v1, v1, v5, v3
	v_div_fixup_f32 v13, v1, v13, 1.0
	v_fma_f32 v1, -v2, v19, 1.0
	v_fmac_f32_e32 v19, v1, v19
	v_div_scale_f32 v1, vcc, 1.0, v12, 1.0
	v_mul_f32_e32 v3, v1, v19
	v_fma_f32 v5, -v2, v3, v1
	v_fmac_f32_e32 v3, v5, v19
	v_fma_f32 v1, -v2, v3, v1
	v_div_fmas_f32 v1, v1, v19, v3
	v_cmp_lt_f16_sdwa vcc, v0, v0 src0_sel:DWORD src1_sel:WORD_1
	v_div_fixup_f32 v12, v1, v12, 1.0
	v_cndmask_b32_e32 v0, v6, v7, vcc
	global_store_dwordx4 v[8:9], v[10:13], off offset:16
	s_cbranch_scc1 .LBB125_8
; %bb.5:
	v_sub_f32_e32 v1, v0, v0
	v_mul_f32_e32 v3, 0x3fb8aa3b, v1
	v_rndne_f32_e32 v5, v3
	v_sub_f32_e32 v8, v3, v5
	v_fma_f32 v3, v1, s20, -v3
	v_fmac_f32_e32 v3, 0x32a5705f, v1
	v_add_f32_e32 v3, v8, v3
	v_exp_f32_e32 v3, v3
	v_cvt_i32_f32_e32 v5, v5
	v_cndmask_b32_e64 v19, 0, 1, vcc
	v_mul_lo_u32 v2, v18, s2
	v_cmp_le_i32_e64 s[0:1], s9, v19
	v_cmp_gt_i32_e64 s[2:3], s10, v19
	s_load_dwordx4 s[4:7], s[4:5], 0x20
	s_and_b64 s[24:25], s[0:1], s[2:3]
	v_ldexp_f32 v3, v3, v5
	v_cmp_ngt_f32_e64 s[0:1], s19, v1
	v_ashrrev_i32_e32 v5, 31, v4
	v_cndmask_b32_e64 v3, 0, v3, s[0:1]
	v_cmp_nlt_f32_e64 s[0:1], s21, v1
	v_lshlrev_b64 v[10:11], 2, v[4:5]
	v_cndmask_b32_e64 v15, v14, v3, s[0:1]
	v_mov_b32_e32 v1, s13
	v_add_co_u32_e64 v12, s[0:1], s12, v10
	v_addc_co_u32_e64 v13, s[2:3], v1, v11, s[0:1]
	v_ashrrev_i32_e32 v3, 31, v2
	v_subrev_u32_e32 v1, s9, v19
	s_and_b64 s[2:3], s[14:15], s[24:25]
	v_lshlrev_b64 v[8:9], 2, v[2:3]
	v_mul_lo_u32 v20, v18, s8
	v_cndmask_b32_e64 v1, 2, v1, s[2:3]
	s_waitcnt lgkmcnt(0)
	v_mov_b32_e32 v3, s5
	v_add_co_u32_e64 v2, s[2:3], s4, v8
	v_addc_co_u32_e64 v3, s[2:3], v3, v9, s[2:3]
	v_ashrrev_i32_e32 v21, 31, v20
	global_store_dword v[2:3], v1, off
	v_lshlrev_b64 v[2:3], 2, v[20:21]
	v_mov_b32_e32 v1, s7
	v_add_co_u32_e64 v20, s[2:3], s6, v2
	v_addc_co_u32_e64 v21, s[2:3], v1, v3, s[2:3]
	v_mov_b32_e32 v1, 0xff800000
	v_cndmask_b32_e32 v6, v1, v6, vcc
	v_cmp_ne_u32_e32 vcc, 1, v19
	s_cmp_eq_u32 s8, 1
	v_cndmask_b32_e32 v7, v1, v7, vcc
	global_store_dword v[12:13], v15, off
	global_store_dword v[20:21], v18, off
	s_cbranch_scc1 .LBB125_8
; %bb.6:
	v_mov_b32_e32 v5, s7
	v_add_co_u32_e32 v2, vcc, s6, v2
	v_addc_co_u32_e32 v3, vcc, v3, v5, vcc
	v_add_co_u32_e32 v2, vcc, 4, v2
	v_addc_co_u32_e32 v3, vcc, 0, v3, vcc
	v_mov_b32_e32 v5, s5
	v_add_co_u32_e32 v8, vcc, s4, v8
	v_addc_co_u32_e32 v5, vcc, v9, v5, vcc
	v_add_co_u32_e32 v8, vcc, 4, v8
	v_addc_co_u32_e32 v9, vcc, 0, v5, vcc
	v_mov_b32_e32 v5, s13
	v_addc_co_u32_e64 v5, vcc, v11, v5, s[0:1]
	v_add_co_u32_e32 v10, vcc, 4, v12
	s_add_i32 s22, s22, s18
	v_addc_co_u32_e32 v11, vcc, 0, v5, vcc
	s_add_i32 s2, s8, -1
	v_add3_u32 v5, s22, v17, v16
	s_mov_b32 s3, 0x3fb8aa3b
	s_mov_b32 s4, 0xc2ce8ed0
	;; [unrolled: 1-line block ×3, first 2 shown]
	v_mov_b32_e32 v12, 0x7f800000
.LBB125_7:                              ; =>This Inner Loop Header: Depth=1
	v_cmp_gt_f32_e32 vcc, v7, v6
	v_cndmask_b32_e32 v13, v6, v7, vcc
	v_cndmask_b32_e64 v16, 0, 1, vcc
	v_sub_f32_e32 v13, v13, v0
	v_cndmask_b32_e32 v7, v7, v1, vcc
	v_cndmask_b32_e32 v6, v1, v6, vcc
	v_cmp_le_i32_e32 vcc, s9, v16
	v_cmp_gt_i32_e64 s[0:1], s10, v16
	v_mul_f32_e32 v17, 0x3fb8aa3b, v13
	s_and_b64 s[0:1], vcc, s[0:1]
	v_fma_f32 v18, v13, s3, -v17
	v_rndne_f32_e32 v19, v17
	v_subrev_u32_e32 v16, s9, v16
	v_fmac_f32_e32 v18, 0x32a5705f, v13
	v_sub_f32_e32 v17, v17, v19
	s_and_b64 vcc, s[14:15], s[0:1]
	v_cndmask_b32_e32 v16, 2, v16, vcc
	v_add_f32_e32 v17, v17, v18
	v_cvt_i32_f32_e32 v19, v19
	global_store_dword v[8:9], v16, off
	global_store_dword v[2:3], v5, off
	v_add_co_u32_e32 v2, vcc, 4, v2
	v_exp_f32_e32 v16, v17
	v_addc_co_u32_e32 v3, vcc, 0, v3, vcc
	v_add_co_u32_e32 v8, vcc, 4, v8
	v_addc_co_u32_e32 v9, vcc, 0, v9, vcc
	v_ldexp_f32 v16, v16, v19
	v_cmp_ngt_f32_e32 vcc, s4, v13
	v_cndmask_b32_e32 v16, 0, v16, vcc
	v_cmp_nlt_f32_e32 vcc, s5, v13
	v_cndmask_b32_e32 v13, v12, v16, vcc
	s_add_i32 s2, s2, -1
	global_store_dword v[10:11], v13, off
	v_add_co_u32_e32 v10, vcc, 4, v10
	v_add_u32_e32 v5, s18, v5
	s_cmp_eq_u32 s2, 0
	v_add_f32_e32 v15, v15, v13
	v_addc_co_u32_e32 v11, vcc, 0, v11, vcc
	s_cbranch_scc0 .LBB125_7
.LBB125_8:
	v_pk_add_f32 v[0:1], v[6:7], v[0:1] op_sel_hi:[1,0] neg_lo:[0,1] neg_hi:[0,1]
	v_mul_f32_e32 v2, 0x3fb8aa3b, v1
	v_fma_f32 v3, v1, s20, -v2
	v_rndne_f32_e32 v5, v2
	v_fmac_f32_e32 v3, 0x32a5705f, v1
	v_sub_f32_e32 v2, v2, v5
	v_add_f32_e32 v2, v2, v3
	v_cvt_i32_f32_e32 v3, v5
	v_exp_f32_e32 v2, v2
	v_cmp_ngt_f32_e32 vcc, s19, v1
	v_ldexp_f32 v2, v2, v3
	v_mul_f32_e32 v3, 0x3fb8aa3b, v0
	v_fma_f32 v5, v0, s20, -v3
	v_rndne_f32_e32 v6, v3
	v_fmac_f32_e32 v5, 0x32a5705f, v0
	v_sub_f32_e32 v3, v3, v6
	v_add_f32_e32 v3, v3, v5
	v_exp_f32_e32 v3, v3
	v_cvt_i32_f32_e32 v5, v6
	v_cndmask_b32_e32 v2, 0, v2, vcc
	v_cmp_nlt_f32_e32 vcc, s21, v1
	v_cndmask_b32_e32 v1, v14, v2, vcc
	v_ldexp_f32 v2, v3, v5
	v_cmp_ngt_f32_e32 vcc, s19, v0
	v_cndmask_b32_e32 v2, 0, v2, vcc
	v_cmp_nlt_f32_e32 vcc, s21, v0
	v_cndmask_b32_e32 v0, v14, v2, vcc
	v_add_f32_e32 v0, v0, v1
	v_add_f32_e32 v0, v15, v0
	v_cmp_neq_f32_e32 vcc, 0, v0
	s_and_b64 exec, exec, vcc
	s_cbranch_execz .LBB125_19
; %bb.9:
	s_andn2_b64 vcc, exec, s[16:17]
	s_cbranch_vccnz .LBB125_19
; %bb.10:
	v_div_scale_f32 v1, s[0:1], v0, v0, 1.0
	v_rcp_f32_e32 v2, v1
	v_div_scale_f32 v3, vcc, 1.0, v0, 1.0
	s_cmp_gt_u32 s8, 3
	v_fma_f32 v5, -v1, v2, 1.0
	v_fmac_f32_e32 v2, v5, v2
	v_mul_f32_e32 v5, v3, v2
	v_fma_f32 v6, -v1, v5, v3
	v_fmac_f32_e32 v5, v6, v2
	v_fma_f32 v1, -v1, v5, v3
	v_div_fmas_f32 v1, v1, v2, v5
	v_div_fixup_f32 v0, v1, v0, 1.0
	v_ashrrev_i32_e32 v5, 31, v4
	s_cbranch_scc0 .LBB125_14
; %bb.11:
	v_lshlrev_b64 v[2:3], 2, v[4:5]
	v_mov_b32_e32 v6, s13
	v_add_co_u32_e32 v2, vcc, s12, v2
	v_addc_co_u32_e32 v3, vcc, v3, v6, vcc
	s_and_b32 s4, s8, 0x7ffffffc
	v_add_co_u32_e32 v2, vcc, 8, v2
	v_mov_b32_e32 v1, v0
	v_addc_co_u32_e32 v3, vcc, 0, v3, vcc
	s_mov_b32 s0, s4
.LBB125_12:                             ; =>This Inner Loop Header: Depth=1
	global_load_dwordx4 v[6:9], v[2:3], off offset:-8
	s_add_i32 s0, s0, -4
	s_cmp_lg_u32 s0, 0
	s_waitcnt vmcnt(0)
	v_pk_mul_f32 v[6:7], v[0:1], v[6:7]
	v_pk_mul_f32 v[8:9], v[0:1], v[8:9]
	global_store_dwordx4 v[2:3], v[6:9], off offset:-8
	v_add_co_u32_e32 v2, vcc, 16, v2
	v_addc_co_u32_e32 v3, vcc, 0, v3, vcc
	s_cbranch_scc1 .LBB125_12
; %bb.13:
	s_cmp_lg_u32 s4, s8
	s_cselect_b64 s[0:1], -1, 0
	s_branch .LBB125_16
.LBB125_14:
	s_mov_b64 s[0:1], 0
                                        ; implicit-def: $sgpr4
	s_cbranch_execz .LBB125_16
; %bb.15:
	s_mov_b64 s[0:1], -1
	s_mov_b32 s4, 0
.LBB125_16:
	s_andn2_b64 vcc, exec, s[0:1]
	s_cbranch_vccnz .LBB125_19
; %bb.17:
	v_add_co_u32_e32 v2, vcc, s4, v4
	v_addc_co_u32_e32 v3, vcc, 0, v5, vcc
	v_lshlrev_b64 v[2:3], 2, v[2:3]
	v_mov_b32_e32 v1, s13
	v_add_co_u32_e32 v2, vcc, s12, v2
	s_sub_i32 s0, s8, s4
	v_addc_co_u32_e32 v3, vcc, v1, v3, vcc
.LBB125_18:                             ; =>This Inner Loop Header: Depth=1
	global_load_dword v1, v[2:3], off
	s_add_i32 s0, s0, -1
	s_cmp_lg_u32 s0, 0
	s_waitcnt vmcnt(0)
	v_mul_f32_e32 v1, v0, v1
	global_store_dword v[2:3], v1, off
	v_add_co_u32_e32 v2, vcc, 4, v2
	v_addc_co_u32_e32 v3, vcc, 0, v3, vcc
	s_cbranch_scc1 .LBB125_18
.LBB125_19:
	s_endpgm
	.section	.rodata,"a",@progbits
	.p2align	6, 0x0
	.amdhsa_kernel _ZN4vllm3moe17topkGatingSoftmaxIDF16_Li2ELi2ELi8ELi4ELb0ELi8ELNS0_23SharedExpertScoringFuncE1EEEvPKT_PKbPfiPiS9_iiiiii
		.amdhsa_group_segment_fixed_size 0
		.amdhsa_private_segment_fixed_size 0
		.amdhsa_kernarg_size 72
		.amdhsa_user_sgpr_count 6
		.amdhsa_user_sgpr_private_segment_buffer 1
		.amdhsa_user_sgpr_dispatch_ptr 0
		.amdhsa_user_sgpr_queue_ptr 0
		.amdhsa_user_sgpr_kernarg_segment_ptr 1
		.amdhsa_user_sgpr_dispatch_id 0
		.amdhsa_user_sgpr_flat_scratch_init 0
		.amdhsa_user_sgpr_kernarg_preload_length 0
		.amdhsa_user_sgpr_kernarg_preload_offset 0
		.amdhsa_user_sgpr_private_segment_size 0
		.amdhsa_uses_dynamic_stack 0
		.amdhsa_system_sgpr_private_segment_wavefront_offset 0
		.amdhsa_system_sgpr_workgroup_id_x 1
		.amdhsa_system_sgpr_workgroup_id_y 0
		.amdhsa_system_sgpr_workgroup_id_z 0
		.amdhsa_system_sgpr_workgroup_info 0
		.amdhsa_system_vgpr_workitem_id 1
		.amdhsa_next_free_vgpr 31
		.amdhsa_next_free_sgpr 26
		.amdhsa_accum_offset 32
		.amdhsa_reserve_vcc 1
		.amdhsa_reserve_flat_scratch 0
		.amdhsa_float_round_mode_32 0
		.amdhsa_float_round_mode_16_64 0
		.amdhsa_float_denorm_mode_32 3
		.amdhsa_float_denorm_mode_16_64 3
		.amdhsa_dx10_clamp 1
		.amdhsa_ieee_mode 1
		.amdhsa_fp16_overflow 0
		.amdhsa_tg_split 0
		.amdhsa_exception_fp_ieee_invalid_op 0
		.amdhsa_exception_fp_denorm_src 0
		.amdhsa_exception_fp_ieee_div_zero 0
		.amdhsa_exception_fp_ieee_overflow 0
		.amdhsa_exception_fp_ieee_underflow 0
		.amdhsa_exception_fp_ieee_inexact 0
		.amdhsa_exception_int_div_zero 0
	.end_amdhsa_kernel
	.section	.text._ZN4vllm3moe17topkGatingSoftmaxIDF16_Li2ELi2ELi8ELi4ELb0ELi8ELNS0_23SharedExpertScoringFuncE1EEEvPKT_PKbPfiPiS9_iiiiii,"axG",@progbits,_ZN4vllm3moe17topkGatingSoftmaxIDF16_Li2ELi2ELi8ELi4ELb0ELi8ELNS0_23SharedExpertScoringFuncE1EEEvPKT_PKbPfiPiS9_iiiiii,comdat
.Lfunc_end125:
	.size	_ZN4vllm3moe17topkGatingSoftmaxIDF16_Li2ELi2ELi8ELi4ELb0ELi8ELNS0_23SharedExpertScoringFuncE1EEEvPKT_PKbPfiPiS9_iiiiii, .Lfunc_end125-_ZN4vllm3moe17topkGatingSoftmaxIDF16_Li2ELi2ELi8ELi4ELb0ELi8ELNS0_23SharedExpertScoringFuncE1EEEvPKT_PKbPfiPiS9_iiiiii
                                        ; -- End function
	.section	.AMDGPU.csdata,"",@progbits
; Kernel info:
; codeLenInByte = 2712
; NumSgprs: 30
; NumVgprs: 31
; NumAgprs: 0
; TotalNumVgprs: 31
; ScratchSize: 0
; MemoryBound: 0
; FloatMode: 240
; IeeeMode: 1
; LDSByteSize: 0 bytes/workgroup (compile time only)
; SGPRBlocks: 3
; VGPRBlocks: 3
; NumSGPRsForWavesPerEU: 30
; NumVGPRsForWavesPerEU: 31
; AccumOffset: 32
; Occupancy: 8
; WaveLimiterHint : 0
; COMPUTE_PGM_RSRC2:SCRATCH_EN: 0
; COMPUTE_PGM_RSRC2:USER_SGPR: 6
; COMPUTE_PGM_RSRC2:TRAP_HANDLER: 0
; COMPUTE_PGM_RSRC2:TGID_X_EN: 1
; COMPUTE_PGM_RSRC2:TGID_Y_EN: 0
; COMPUTE_PGM_RSRC2:TGID_Z_EN: 0
; COMPUTE_PGM_RSRC2:TIDIG_COMP_CNT: 1
; COMPUTE_PGM_RSRC3_GFX90A:ACCUM_OFFSET: 7
; COMPUTE_PGM_RSRC3_GFX90A:TG_SPLIT: 0
	.section	.text._ZN4vllm3moe17topkGatingSoftmaxIDF16_Li4ELi4ELi8ELi8ELb1ELi0ELNS0_23SharedExpertScoringFuncE0EEEvPKT_PKbPfiPiS9_iiiiii,"axG",@progbits,_ZN4vllm3moe17topkGatingSoftmaxIDF16_Li4ELi4ELi8ELi8ELb1ELi0ELNS0_23SharedExpertScoringFuncE0EEEvPKT_PKbPfiPiS9_iiiiii,comdat
	.protected	_ZN4vllm3moe17topkGatingSoftmaxIDF16_Li4ELi4ELi8ELi8ELb1ELi0ELNS0_23SharedExpertScoringFuncE0EEEvPKT_PKbPfiPiS9_iiiiii ; -- Begin function _ZN4vllm3moe17topkGatingSoftmaxIDF16_Li4ELi4ELi8ELi8ELb1ELi0ELNS0_23SharedExpertScoringFuncE0EEEvPKT_PKbPfiPiS9_iiiiii
	.globl	_ZN4vllm3moe17topkGatingSoftmaxIDF16_Li4ELi4ELi8ELi8ELb1ELi0ELNS0_23SharedExpertScoringFuncE0EEEvPKT_PKbPfiPiS9_iiiiii
	.p2align	8
	.type	_ZN4vllm3moe17topkGatingSoftmaxIDF16_Li4ELi4ELi8ELi8ELb1ELi0ELNS0_23SharedExpertScoringFuncE0EEEvPKT_PKbPfiPiS9_iiiiii,@function
_ZN4vllm3moe17topkGatingSoftmaxIDF16_Li4ELi4ELi8ELi8ELb1ELi0ELNS0_23SharedExpertScoringFuncE0EEEvPKT_PKbPfiPiS9_iiiiii: ; @_ZN4vllm3moe17topkGatingSoftmaxIDF16_Li4ELi4ELi8ELi8ELb1ELi0ELNS0_23SharedExpertScoringFuncE0EEEvPKT_PKbPfiPiS9_iiiiii
; %bb.0:
	s_load_dword s18, s[4:5], 0x18
	v_bfe_u32 v1, v0, 10, 10
	s_lshl_b32 s22, s6, 9
	v_lshlrev_b32_e32 v14, 6, v1
	v_and_b32_e32 v15, 0x3ff, v0
	v_add3_u32 v12, v14, v15, s22
	s_waitcnt lgkmcnt(0)
	v_cmp_gt_i32_e32 vcc, s18, v12
	s_and_saveexec_b64 s[0:1], vcc
	s_cbranch_execz .LBB126_20
; %bb.1:
	s_load_dwordx4 s[0:3], s[4:5], 0x0
	s_load_dwordx2 s[12:13], s[4:5], 0x10
	s_waitcnt lgkmcnt(0)
	s_cmp_eq_u64 s[2:3], 0
	s_cbranch_scc1 .LBB126_3
; %bb.2:
	v_ashrrev_i32_e32 v1, 31, v12
	v_mov_b32_e32 v2, s3
	v_add_co_u32_e32 v0, vcc, s2, v12
	v_addc_co_u32_e32 v1, vcc, v2, v1, vcc
	global_load_ubyte v0, v[0:1], off
	s_waitcnt vmcnt(0)
	v_and_b32_e32 v0, 1, v0
	v_cmp_eq_u32_e32 vcc, 1, v0
	s_xor_b64 s[2:3], vcc, -1
	s_orn2_b64 s[16:17], s[2:3], exec
	s_branch .LBB126_4
.LBB126_3:
	s_mov_b64 s[16:17], -1
.LBB126_4:
	s_load_dwordx4 s[8:11], s[4:5], 0x30
	s_waitcnt lgkmcnt(0)
	s_cmp_gt_i32 s8, 0
	s_cselect_b64 s[14:15], -1, 0
	s_cmp_lt_i32 s8, 1
	s_cbranch_scc1 .LBB126_9
; %bb.5:
	s_load_dwordx2 s[2:3], s[4:5], 0x40
	v_mov_b32_e32 v2, s1
	s_load_dwordx4 s[4:7], s[4:5], 0x20
	v_mov_b32_e32 v6, s13
	s_mov_b32 s19, 0x3fb8aa3b
	s_waitcnt lgkmcnt(0)
	v_mul_lo_u32 v0, v12, s3
	v_ashrrev_i32_e32 v1, 31, v0
	v_lshlrev_b64 v[0:1], 1, v[0:1]
	v_add_co_u32_e32 v0, vcc, s0, v0
	v_addc_co_u32_e32 v1, vcc, v2, v1, vcc
	global_load_dwordx2 v[16:17], v[0:1], off
	v_mul_lo_u32 v0, v12, s11
	v_ashrrev_i32_e32 v1, 31, v0
	v_mul_lo_u32 v2, v12, s8
	v_lshlrev_b64 v[8:9], 2, v[0:1]
	v_ashrrev_i32_e32 v3, 31, v2
	v_add_co_u32_e32 v10, vcc, s12, v8
	v_lshlrev_b64 v[4:5], 2, v[2:3]
	v_addc_co_u32_e64 v11, s[0:1], v6, v9, vcc
	v_mul_lo_u32 v0, v12, s2
	v_mov_b32_e32 v3, s7
	v_ashrrev_i32_e32 v1, 31, v0
	v_add_co_u32_e64 v18, s[0:1], s6, v4
	v_addc_co_u32_e64 v19, s[0:1], v3, v5, s[0:1]
	v_lshlrev_b64 v[6:7], 2, v[0:1]
	v_mov_b32_e32 v2, s5
	v_add_co_u32_e64 v20, s[0:1], s4, v6
	v_addc_co_u32_e64 v21, s[0:1], v2, v7, s[0:1]
	s_mov_b32 s20, 0xc2ce8ed0
	s_mov_b32 s21, 0x42b17218
	v_mov_b32_e32 v13, 0x7f800000
	s_waitcnt vmcnt(0)
	v_cvt_f32_f16_e32 v0, v16
	v_cvt_f32_f16_sdwa v1, v16 dst_sel:DWORD dst_unused:UNUSED_PAD src0_sel:WORD_1
	v_cvt_f32_f16_e32 v2, v17
	v_cvt_f32_f16_sdwa v3, v17 dst_sel:DWORD dst_unused:UNUSED_PAD src0_sel:WORD_1
	v_cmp_lt_f16_sdwa s[0:1], v16, v16 src0_sel:DWORD src1_sel:WORD_1
	v_cndmask_b32_e64 v16, v0, v1, s[0:1]
	v_cndmask_b32_e64 v8, 0, 1, s[0:1]
	v_cmp_lt_f32_e64 s[0:1], v16, v2
	v_cndmask_b32_e64 v16, v16, v2, s[0:1]
	v_cndmask_b32_e64 v8, v8, 2, s[0:1]
	v_cmp_lt_f32_e64 s[0:1], v16, v3
	v_cndmask_b32_e64 v17, v16, v3, s[0:1]
	v_sub_f32_e32 v22, v17, v17
	v_mul_f32_e32 v23, 0x3fb8aa3b, v22
	v_fma_f32 v24, v22, s19, -v23
	v_rndne_f32_e32 v25, v23
	v_fmac_f32_e32 v24, 0x32a5705f, v22
	v_sub_f32_e32 v23, v23, v25
	v_cndmask_b32_e64 v8, v8, 3, s[0:1]
	v_add_f32_e32 v23, v23, v24
	v_cmp_le_i32_e64 s[0:1], s9, v8
	v_cmp_gt_i32_e64 s[2:3], s10, v8
	v_cvt_i32_f32_e32 v25, v25
	v_exp_f32_e32 v23, v23
	s_and_b64 s[0:1], s[0:1], s[2:3]
	v_subrev_u32_e32 v16, s9, v8
	s_and_b64 s[0:1], s[16:17], s[0:1]
	v_cndmask_b32_e64 v16, 4, v16, s[0:1]
	global_store_dword v[20:21], v16, off
	v_ldexp_f32 v16, v23, v25
	v_cmp_ngt_f32_e64 s[0:1], s20, v22
	v_cndmask_b32_e64 v16, 0, v16, s[0:1]
	v_cmp_nlt_f32_e64 s[0:1], s21, v22
	s_cmp_eq_u32 s8, 1
	v_cndmask_b32_e64 v16, v13, v16, s[0:1]
	global_store_dword v[10:11], v16, off
	global_store_dword v[18:19], v12, off
	s_cbranch_scc1 .LBB126_8
; %bb.6:
	v_mov_b32_e32 v11, 0xff800000
	v_cmp_ne_u32_e64 s[0:1], 3, v8
	v_cndmask_b32_e64 v3, v11, v3, s[0:1]
	v_cmp_ne_u32_e64 s[0:1], 2, v8
	v_cndmask_b32_e64 v2, v11, v2, s[0:1]
	v_cmp_ne_u32_e64 s[0:1], 1, v8
	v_cndmask_b32_e64 v1, v11, v1, s[0:1]
	v_cmp_ne_u32_e64 s[0:1], 0, v8
	v_cndmask_b32_e64 v0, v11, v0, s[0:1]
	v_mov_b32_e32 v8, s7
	v_add_co_u32_e64 v4, s[0:1], s6, v4
	v_addc_co_u32_e64 v5, s[0:1], v5, v8, s[0:1]
	v_add_co_u32_e64 v4, s[0:1], 4, v4
	v_addc_co_u32_e64 v5, s[0:1], 0, v5, s[0:1]
	v_mov_b32_e32 v8, s5
	v_add_co_u32_e64 v6, s[0:1], s4, v6
	v_addc_co_u32_e64 v7, s[0:1], v7, v8, s[0:1]
	v_mov_b32_e32 v8, s13
	v_addc_co_u32_e32 v9, vcc, v9, v8, vcc
	v_add_co_u32_e64 v6, s[0:1], 4, v6
	v_add_co_u32_e32 v8, vcc, 4, v10
	s_add_i32 s22, s22, s18
	v_addc_co_u32_e64 v7, s[0:1], 0, v7, s[0:1]
	v_addc_co_u32_e32 v9, vcc, 0, v9, vcc
	s_add_i32 s4, s8, -1
	v_add3_u32 v10, s22, v15, v14
.LBB126_7:                              ; =>This Inner Loop Header: Depth=1
	v_cmp_gt_f32_e32 vcc, v1, v0
	v_cndmask_b32_e32 v14, v0, v1, vcc
	v_cmp_gt_f32_e64 s[0:1], v2, v14
	v_cndmask_b32_e64 v14, v14, v2, s[0:1]
	v_cndmask_b32_e64 v15, 0, 1, vcc
	v_cmp_gt_f32_e32 vcc, v3, v14
	v_cndmask_b32_e64 v15, v15, 2, s[0:1]
	v_cndmask_b32_e64 v15, v15, 3, vcc
	v_cndmask_b32_e32 v14, v14, v3, vcc
	v_cmp_ne_u32_e64 s[2:3], 3, v15
	v_sub_f32_e32 v14, v14, v17
	v_cndmask_b32_e64 v3, v11, v3, s[2:3]
	v_cmp_ne_u32_e64 s[2:3], 2, v15
	v_cmp_le_i32_e32 vcc, s9, v15
	v_cmp_gt_i32_e64 s[0:1], s10, v15
	v_mul_f32_e32 v18, 0x3fb8aa3b, v14
	v_cndmask_b32_e64 v2, v11, v2, s[2:3]
	v_cmp_ne_u32_e64 s[2:3], 1, v15
	v_subrev_u32_e32 v19, s9, v15
	v_cndmask_b32_e64 v1, v11, v1, s[2:3]
	v_cmp_ne_u32_e64 s[2:3], 0, v15
	s_and_b64 s[0:1], vcc, s[0:1]
	v_fma_f32 v15, v14, s19, -v18
	v_rndne_f32_e32 v20, v18
	v_fmac_f32_e32 v15, 0x32a5705f, v14
	v_sub_f32_e32 v18, v18, v20
	s_and_b64 vcc, s[16:17], s[0:1]
	v_cndmask_b32_e32 v19, 4, v19, vcc
	v_add_f32_e32 v15, v18, v15
	v_cvt_i32_f32_e32 v20, v20
	global_store_dword v[6:7], v19, off
	global_store_dword v[4:5], v10, off
	v_add_co_u32_e32 v4, vcc, 4, v4
	v_exp_f32_e32 v15, v15
	v_addc_co_u32_e32 v5, vcc, 0, v5, vcc
	v_add_co_u32_e32 v6, vcc, 4, v6
	v_addc_co_u32_e32 v7, vcc, 0, v7, vcc
	v_ldexp_f32 v15, v15, v20
	v_cmp_ngt_f32_e32 vcc, s20, v14
	v_cndmask_b32_e32 v15, 0, v15, vcc
	v_cmp_nlt_f32_e32 vcc, s21, v14
	v_cndmask_b32_e32 v14, v13, v15, vcc
	s_add_i32 s4, s4, -1
	global_store_dword v[8:9], v14, off
	v_add_co_u32_e32 v8, vcc, 4, v8
	v_cndmask_b32_e64 v0, v11, v0, s[2:3]
	v_add_u32_e32 v10, s18, v10
	s_cmp_eq_u32 s4, 0
	v_add_f32_e32 v16, v16, v14
	v_addc_co_u32_e32 v9, vcc, 0, v9, vcc
	s_cbranch_scc0 .LBB126_7
.LBB126_8:
	v_cmp_neq_f32_e32 vcc, 0, v16
	s_and_b64 exec, exec, vcc
	s_cbranch_execnz .LBB126_10
	s_branch .LBB126_20
.LBB126_9:
	v_mov_b32_e32 v16, 0
	v_cmp_neq_f32_e32 vcc, 0, v16
	s_and_b64 exec, exec, vcc
	s_cbranch_execz .LBB126_20
.LBB126_10:
	s_andn2_b64 vcc, exec, s[14:15]
	s_cbranch_vccnz .LBB126_20
; %bb.11:
	v_div_scale_f32 v0, s[0:1], v16, v16, 1.0
	v_rcp_f32_e32 v1, v0
	v_div_scale_f32 v2, vcc, 1.0, v16, 1.0
	s_cmp_gt_u32 s8, 3
	v_fma_f32 v3, -v0, v1, 1.0
	v_fmac_f32_e32 v1, v3, v1
	v_mul_f32_e32 v3, v2, v1
	v_fma_f32 v4, -v0, v3, v2
	v_fmac_f32_e32 v3, v4, v1
	v_fma_f32 v0, -v0, v3, v2
	v_div_fmas_f32 v0, v0, v1, v3
	v_mul_lo_u32 v2, v12, s11
	v_div_fixup_f32 v0, v0, v16, 1.0
	v_ashrrev_i32_e32 v3, 31, v2
	s_cbranch_scc0 .LBB126_15
; %bb.12:
	v_lshlrev_b64 v[4:5], 2, v[2:3]
	v_mov_b32_e32 v6, s13
	v_add_co_u32_e32 v4, vcc, s12, v4
	v_addc_co_u32_e32 v5, vcc, v5, v6, vcc
	s_and_b32 s4, s8, 0x7ffffffc
	v_add_co_u32_e32 v4, vcc, 8, v4
	v_mov_b32_e32 v1, v0
	v_addc_co_u32_e32 v5, vcc, 0, v5, vcc
	s_mov_b32 s0, s4
.LBB126_13:                             ; =>This Inner Loop Header: Depth=1
	global_load_dwordx4 v[6:9], v[4:5], off offset:-8
	s_add_i32 s0, s0, -4
	s_cmp_lg_u32 s0, 0
	s_waitcnt vmcnt(0)
	v_pk_mul_f32 v[6:7], v[0:1], v[6:7]
	v_pk_mul_f32 v[8:9], v[0:1], v[8:9]
	global_store_dwordx4 v[4:5], v[6:9], off offset:-8
	v_add_co_u32_e32 v4, vcc, 16, v4
	v_addc_co_u32_e32 v5, vcc, 0, v5, vcc
	s_cbranch_scc1 .LBB126_13
; %bb.14:
	s_cmp_lg_u32 s4, s8
	s_cselect_b64 s[0:1], -1, 0
	s_branch .LBB126_17
.LBB126_15:
	s_mov_b64 s[0:1], 0
                                        ; implicit-def: $sgpr4
	s_cbranch_execz .LBB126_17
; %bb.16:
	s_mov_b64 s[0:1], -1
	s_mov_b32 s4, 0
.LBB126_17:
	s_andn2_b64 vcc, exec, s[0:1]
	s_cbranch_vccnz .LBB126_20
; %bb.18:
	v_add_co_u32_e32 v2, vcc, s4, v2
	v_addc_co_u32_e32 v3, vcc, 0, v3, vcc
	v_lshlrev_b64 v[2:3], 2, v[2:3]
	v_mov_b32_e32 v1, s13
	v_add_co_u32_e32 v2, vcc, s12, v2
	s_sub_i32 s0, s8, s4
	v_addc_co_u32_e32 v3, vcc, v1, v3, vcc
.LBB126_19:                             ; =>This Inner Loop Header: Depth=1
	global_load_dword v1, v[2:3], off
	s_add_i32 s0, s0, -1
	s_cmp_lg_u32 s0, 0
	s_waitcnt vmcnt(0)
	v_mul_f32_e32 v1, v0, v1
	global_store_dword v[2:3], v1, off
	v_add_co_u32_e32 v2, vcc, 4, v2
	v_addc_co_u32_e32 v3, vcc, 0, v3, vcc
	s_cbranch_scc1 .LBB126_19
.LBB126_20:
	s_endpgm
	.section	.rodata,"a",@progbits
	.p2align	6, 0x0
	.amdhsa_kernel _ZN4vllm3moe17topkGatingSoftmaxIDF16_Li4ELi4ELi8ELi8ELb1ELi0ELNS0_23SharedExpertScoringFuncE0EEEvPKT_PKbPfiPiS9_iiiiii
		.amdhsa_group_segment_fixed_size 0
		.amdhsa_private_segment_fixed_size 0
		.amdhsa_kernarg_size 72
		.amdhsa_user_sgpr_count 6
		.amdhsa_user_sgpr_private_segment_buffer 1
		.amdhsa_user_sgpr_dispatch_ptr 0
		.amdhsa_user_sgpr_queue_ptr 0
		.amdhsa_user_sgpr_kernarg_segment_ptr 1
		.amdhsa_user_sgpr_dispatch_id 0
		.amdhsa_user_sgpr_flat_scratch_init 0
		.amdhsa_user_sgpr_kernarg_preload_length 0
		.amdhsa_user_sgpr_kernarg_preload_offset 0
		.amdhsa_user_sgpr_private_segment_size 0
		.amdhsa_uses_dynamic_stack 0
		.amdhsa_system_sgpr_private_segment_wavefront_offset 0
		.amdhsa_system_sgpr_workgroup_id_x 1
		.amdhsa_system_sgpr_workgroup_id_y 0
		.amdhsa_system_sgpr_workgroup_id_z 0
		.amdhsa_system_sgpr_workgroup_info 0
		.amdhsa_system_vgpr_workitem_id 1
		.amdhsa_next_free_vgpr 26
		.amdhsa_next_free_sgpr 23
		.amdhsa_accum_offset 28
		.amdhsa_reserve_vcc 1
		.amdhsa_reserve_flat_scratch 0
		.amdhsa_float_round_mode_32 0
		.amdhsa_float_round_mode_16_64 0
		.amdhsa_float_denorm_mode_32 3
		.amdhsa_float_denorm_mode_16_64 3
		.amdhsa_dx10_clamp 1
		.amdhsa_ieee_mode 1
		.amdhsa_fp16_overflow 0
		.amdhsa_tg_split 0
		.amdhsa_exception_fp_ieee_invalid_op 0
		.amdhsa_exception_fp_denorm_src 0
		.amdhsa_exception_fp_ieee_div_zero 0
		.amdhsa_exception_fp_ieee_overflow 0
		.amdhsa_exception_fp_ieee_underflow 0
		.amdhsa_exception_fp_ieee_inexact 0
		.amdhsa_exception_int_div_zero 0
	.end_amdhsa_kernel
	.section	.text._ZN4vllm3moe17topkGatingSoftmaxIDF16_Li4ELi4ELi8ELi8ELb1ELi0ELNS0_23SharedExpertScoringFuncE0EEEvPKT_PKbPfiPiS9_iiiiii,"axG",@progbits,_ZN4vllm3moe17topkGatingSoftmaxIDF16_Li4ELi4ELi8ELi8ELb1ELi0ELNS0_23SharedExpertScoringFuncE0EEEvPKT_PKbPfiPiS9_iiiiii,comdat
.Lfunc_end126:
	.size	_ZN4vllm3moe17topkGatingSoftmaxIDF16_Li4ELi4ELi8ELi8ELb1ELi0ELNS0_23SharedExpertScoringFuncE0EEEvPKT_PKbPfiPiS9_iiiiii, .Lfunc_end126-_ZN4vllm3moe17topkGatingSoftmaxIDF16_Li4ELi4ELi8ELi8ELb1ELi0ELNS0_23SharedExpertScoringFuncE0EEEvPKT_PKbPfiPiS9_iiiiii
                                        ; -- End function
	.section	.AMDGPU.csdata,"",@progbits
; Kernel info:
; codeLenInByte = 1440
; NumSgprs: 27
; NumVgprs: 26
; NumAgprs: 0
; TotalNumVgprs: 26
; ScratchSize: 0
; MemoryBound: 0
; FloatMode: 240
; IeeeMode: 1
; LDSByteSize: 0 bytes/workgroup (compile time only)
; SGPRBlocks: 3
; VGPRBlocks: 3
; NumSGPRsForWavesPerEU: 27
; NumVGPRsForWavesPerEU: 26
; AccumOffset: 28
; Occupancy: 8
; WaveLimiterHint : 0
; COMPUTE_PGM_RSRC2:SCRATCH_EN: 0
; COMPUTE_PGM_RSRC2:USER_SGPR: 6
; COMPUTE_PGM_RSRC2:TRAP_HANDLER: 0
; COMPUTE_PGM_RSRC2:TGID_X_EN: 1
; COMPUTE_PGM_RSRC2:TGID_Y_EN: 0
; COMPUTE_PGM_RSRC2:TGID_Z_EN: 0
; COMPUTE_PGM_RSRC2:TIDIG_COMP_CNT: 1
; COMPUTE_PGM_RSRC3_GFX90A:ACCUM_OFFSET: 6
; COMPUTE_PGM_RSRC3_GFX90A:TG_SPLIT: 0
	.section	.text._ZN4vllm3moe17topkGatingSoftmaxIDF16_Li4ELi4ELi8ELi8ELb0ELi0ELNS0_23SharedExpertScoringFuncE0EEEvPKT_PKbPfiPiS9_iiiiii,"axG",@progbits,_ZN4vllm3moe17topkGatingSoftmaxIDF16_Li4ELi4ELi8ELi8ELb0ELi0ELNS0_23SharedExpertScoringFuncE0EEEvPKT_PKbPfiPiS9_iiiiii,comdat
	.protected	_ZN4vllm3moe17topkGatingSoftmaxIDF16_Li4ELi4ELi8ELi8ELb0ELi0ELNS0_23SharedExpertScoringFuncE0EEEvPKT_PKbPfiPiS9_iiiiii ; -- Begin function _ZN4vllm3moe17topkGatingSoftmaxIDF16_Li4ELi4ELi8ELi8ELb0ELi0ELNS0_23SharedExpertScoringFuncE0EEEvPKT_PKbPfiPiS9_iiiiii
	.globl	_ZN4vllm3moe17topkGatingSoftmaxIDF16_Li4ELi4ELi8ELi8ELb0ELi0ELNS0_23SharedExpertScoringFuncE0EEEvPKT_PKbPfiPiS9_iiiiii
	.p2align	8
	.type	_ZN4vllm3moe17topkGatingSoftmaxIDF16_Li4ELi4ELi8ELi8ELb0ELi0ELNS0_23SharedExpertScoringFuncE0EEEvPKT_PKbPfiPiS9_iiiiii,@function
_ZN4vllm3moe17topkGatingSoftmaxIDF16_Li4ELi4ELi8ELi8ELb0ELi0ELNS0_23SharedExpertScoringFuncE0EEEvPKT_PKbPfiPiS9_iiiiii: ; @_ZN4vllm3moe17topkGatingSoftmaxIDF16_Li4ELi4ELi8ELi8ELb0ELi0ELNS0_23SharedExpertScoringFuncE0EEEvPKT_PKbPfiPiS9_iiiiii
; %bb.0:
	s_load_dword s20, s[4:5], 0x18
	v_bfe_u32 v1, v0, 10, 10
	s_lshl_b32 s22, s6, 9
	v_lshlrev_b32_e32 v16, 6, v1
	v_and_b32_e32 v17, 0x3ff, v0
	v_add3_u32 v1, v16, v17, s22
	s_waitcnt lgkmcnt(0)
	v_cmp_gt_i32_e32 vcc, s20, v1
	s_and_saveexec_b64 s[0:1], vcc
	s_cbranch_execz .LBB127_20
; %bb.1:
	s_load_dwordx4 s[0:3], s[4:5], 0x0
	s_load_dwordx2 s[12:13], s[4:5], 0x10
	s_waitcnt lgkmcnt(0)
	s_cmp_eq_u64 s[2:3], 0
	s_cbranch_scc1 .LBB127_3
; %bb.2:
	v_ashrrev_i32_e32 v0, 31, v1
	v_mov_b32_e32 v3, s3
	v_add_co_u32_e32 v2, vcc, s2, v1
	v_addc_co_u32_e32 v3, vcc, v3, v0, vcc
	global_load_ubyte v0, v[2:3], off
	s_waitcnt vmcnt(0)
	v_and_b32_e32 v0, 1, v0
	v_cmp_eq_u32_e32 vcc, 1, v0
	s_xor_b64 s[2:3], vcc, -1
	s_orn2_b64 s[16:17], s[2:3], exec
	s_branch .LBB127_4
.LBB127_3:
	s_mov_b64 s[16:17], -1
.LBB127_4:
	s_load_dwordx2 s[18:19], s[4:5], 0x40
	s_load_dwordx4 s[8:11], s[4:5], 0x30
	v_mov_b32_e32 v0, s1
	s_waitcnt lgkmcnt(0)
	v_mul_lo_u32 v2, v1, s19
	v_ashrrev_i32_e32 v3, 31, v2
	v_lshlrev_b64 v[2:3], 1, v[2:3]
	v_add_co_u32_e32 v2, vcc, s0, v2
	v_addc_co_u32_e32 v3, vcc, v0, v3, vcc
	global_load_dwordx2 v[6:7], v[2:3], off
	s_cmp_gt_i32 s8, 0
	s_cselect_b64 s[14:15], -1, 0
	s_cmp_lt_i32 s8, 1
	s_waitcnt vmcnt(0)
	v_cvt_f32_f16_e32 v4, v6
	v_cvt_f32_f16_sdwa v5, v6 dst_sel:DWORD dst_unused:UNUSED_PAD src0_sel:WORD_1
	v_cvt_f32_f16_e32 v2, v7
	v_cvt_f32_f16_sdwa v3, v7 dst_sel:DWORD dst_unused:UNUSED_PAD src0_sel:WORD_1
	v_cmp_lt_f16_sdwa vcc, v6, v6 src0_sel:DWORD src1_sel:WORD_1
	v_cndmask_b32_e32 v0, v4, v5, vcc
	v_cmp_lt_f32_e64 s[0:1], v0, v2
	v_cndmask_b32_e64 v0, v0, v2, s[0:1]
	v_cmp_lt_f32_e64 s[2:3], v0, v3
	v_cndmask_b32_e64 v0, v0, v3, s[2:3]
	s_cbranch_scc1 .LBB127_8
; %bb.5:
	v_sub_f32_e32 v7, v0, v0
	v_mul_f32_e32 v9, 0x3fb8aa3b, v7
	v_mul_lo_u32 v8, v1, s18
	s_mov_b32 s18, 0x3fb8aa3b
	v_rndne_f32_e32 v10, v9
	v_sub_f32_e32 v11, v9, v10
	v_fma_f32 v9, v7, s18, -v9
	v_fmac_f32_e32 v9, 0x32a5705f, v7
	v_add_f32_e32 v9, v11, v9
	v_cndmask_b32_e64 v6, 0, 1, vcc
	v_exp_f32_e32 v9, v9
	v_cvt_i32_f32_e32 v10, v10
	v_cndmask_b32_e64 v6, v6, 2, s[0:1]
	v_cndmask_b32_e64 v20, v6, 3, s[2:3]
	v_cmp_le_i32_e32 vcc, s9, v20
	v_cmp_gt_i32_e64 s[0:1], s10, v20
	s_mov_b32 s19, 0xc2ce8ed0
	v_mul_lo_u32 v6, v1, s11
	s_and_b64 s[2:3], vcc, s[0:1]
	v_ldexp_f32 v9, v9, v10
	v_cmp_ngt_f32_e32 vcc, s19, v7
	s_mov_b32 s21, 0x42b17218
	s_load_dwordx4 s[4:7], s[4:5], 0x20
	v_cndmask_b32_e32 v9, 0, v9, vcc
	v_cmp_nlt_f32_e32 vcc, s21, v7
	v_ashrrev_i32_e32 v7, 31, v6
	v_mov_b32_e32 v15, 0x7f800000
	v_lshlrev_b64 v[10:11], 2, v[6:7]
	v_cndmask_b32_e32 v14, v15, v9, vcc
	v_mov_b32_e32 v6, s13
	v_add_co_u32_e32 v12, vcc, s12, v10
	v_addc_co_u32_e64 v13, s[0:1], v6, v11, vcc
	v_ashrrev_i32_e32 v9, 31, v8
	v_subrev_u32_e32 v6, s9, v20
	s_and_b64 s[0:1], s[16:17], s[2:3]
	v_lshlrev_b64 v[8:9], 2, v[8:9]
	v_mul_lo_u32 v18, v1, s8
	v_cndmask_b32_e64 v10, 4, v6, s[0:1]
	s_waitcnt lgkmcnt(0)
	v_mov_b32_e32 v7, s5
	v_add_co_u32_e64 v6, s[0:1], s4, v8
	v_addc_co_u32_e64 v7, s[0:1], v7, v9, s[0:1]
	v_ashrrev_i32_e32 v19, 31, v18
	global_store_dword v[6:7], v10, off
	v_lshlrev_b64 v[6:7], 2, v[18:19]
	v_mov_b32_e32 v10, s7
	v_add_co_u32_e64 v18, s[0:1], s6, v6
	v_addc_co_u32_e64 v19, s[0:1], v10, v7, s[0:1]
	global_store_dword v[12:13], v14, off
	v_mov_b32_e32 v13, 0xff800000
	v_cmp_ne_u32_e64 s[0:1], 3, v20
	v_cndmask_b32_e64 v3, v13, v3, s[0:1]
	v_cmp_ne_u32_e64 s[0:1], 2, v20
	v_cndmask_b32_e64 v2, v13, v2, s[0:1]
	;; [unrolled: 2-line block ×3, first 2 shown]
	v_cmp_ne_u32_e64 s[0:1], 0, v20
	s_cmp_eq_u32 s8, 1
	v_cndmask_b32_e64 v4, v13, v4, s[0:1]
	global_store_dword v[18:19], v1, off
	s_cbranch_scc1 .LBB127_9
; %bb.6:
	v_mov_b32_e32 v10, s7
	v_add_co_u32_e64 v6, s[0:1], s6, v6
	v_addc_co_u32_e64 v7, s[0:1], v7, v10, s[0:1]
	v_add_co_u32_e64 v6, s[0:1], 4, v6
	v_addc_co_u32_e64 v7, s[0:1], 0, v7, s[0:1]
	v_mov_b32_e32 v10, s5
	v_add_co_u32_e64 v8, s[0:1], s4, v8
	v_addc_co_u32_e64 v9, s[0:1], v9, v10, s[0:1]
	v_mov_b32_e32 v10, s13
	v_addc_co_u32_e32 v11, vcc, v11, v10, vcc
	v_add_co_u32_e64 v8, s[0:1], 4, v8
	v_add_co_u32_e32 v10, vcc, 4, v12
	s_add_i32 s22, s22, s20
	v_addc_co_u32_e64 v9, s[0:1], 0, v9, s[0:1]
	v_addc_co_u32_e32 v11, vcc, 0, v11, vcc
	s_add_i32 s4, s8, -1
	v_add3_u32 v12, s22, v17, v16
.LBB127_7:                              ; =>This Inner Loop Header: Depth=1
	v_cmp_gt_f32_e32 vcc, v5, v4
	v_cndmask_b32_e32 v16, v4, v5, vcc
	v_cmp_gt_f32_e64 s[0:1], v2, v16
	v_cndmask_b32_e64 v16, v16, v2, s[0:1]
	v_cndmask_b32_e64 v17, 0, 1, vcc
	v_cmp_gt_f32_e32 vcc, v3, v16
	v_cndmask_b32_e64 v17, v17, 2, s[0:1]
	v_cndmask_b32_e64 v17, v17, 3, vcc
	v_cndmask_b32_e32 v16, v16, v3, vcc
	v_cmp_ne_u32_e64 s[2:3], 3, v17
	v_sub_f32_e32 v16, v16, v0
	v_cndmask_b32_e64 v3, v13, v3, s[2:3]
	v_cmp_ne_u32_e64 s[2:3], 2, v17
	v_cmp_le_i32_e32 vcc, s9, v17
	v_cmp_gt_i32_e64 s[0:1], s10, v17
	v_mul_f32_e32 v18, 0x3fb8aa3b, v16
	v_cndmask_b32_e64 v2, v13, v2, s[2:3]
	v_cmp_ne_u32_e64 s[2:3], 1, v17
	v_subrev_u32_e32 v19, s9, v17
	v_cndmask_b32_e64 v5, v13, v5, s[2:3]
	v_cmp_ne_u32_e64 s[2:3], 0, v17
	s_and_b64 s[0:1], vcc, s[0:1]
	v_fma_f32 v17, v16, s18, -v18
	v_rndne_f32_e32 v20, v18
	v_fmac_f32_e32 v17, 0x32a5705f, v16
	v_sub_f32_e32 v18, v18, v20
	s_and_b64 vcc, s[16:17], s[0:1]
	v_cndmask_b32_e32 v19, 4, v19, vcc
	v_add_f32_e32 v17, v18, v17
	v_cvt_i32_f32_e32 v20, v20
	global_store_dword v[8:9], v19, off
	global_store_dword v[6:7], v12, off
	v_add_co_u32_e32 v6, vcc, 4, v6
	v_exp_f32_e32 v17, v17
	v_addc_co_u32_e32 v7, vcc, 0, v7, vcc
	v_add_co_u32_e32 v8, vcc, 4, v8
	v_addc_co_u32_e32 v9, vcc, 0, v9, vcc
	v_ldexp_f32 v17, v17, v20
	v_cmp_ngt_f32_e32 vcc, s19, v16
	v_cndmask_b32_e32 v17, 0, v17, vcc
	v_cmp_nlt_f32_e32 vcc, s21, v16
	v_cndmask_b32_e32 v16, v15, v17, vcc
	s_add_i32 s4, s4, -1
	global_store_dword v[10:11], v16, off
	v_add_co_u32_e32 v10, vcc, 4, v10
	v_cndmask_b32_e64 v4, v13, v4, s[2:3]
	v_add_u32_e32 v12, s20, v12
	s_cmp_eq_u32 s4, 0
	v_add_f32_e32 v14, v14, v16
	v_addc_co_u32_e32 v11, vcc, 0, v11, vcc
	s_cbranch_scc0 .LBB127_7
	s_branch .LBB127_9
.LBB127_8:
	v_mov_b32_e32 v14, 0
.LBB127_9:
	v_pk_add_f32 v[4:5], v[4:5], v[0:1] op_sel_hi:[1,0] neg_lo:[0,1] neg_hi:[0,1]
	s_mov_b32 s0, 0x3fb8aa3b
	v_mul_f32_e32 v6, 0x3fb8aa3b, v5
	v_fma_f32 v7, v5, s0, -v6
	v_rndne_f32_e32 v8, v6
	v_fmac_f32_e32 v7, 0x32a5705f, v5
	v_sub_f32_e32 v6, v6, v8
	v_add_f32_e32 v6, v6, v7
	v_exp_f32_e32 v6, v6
	v_cvt_i32_f32_e32 v7, v8
	s_mov_b32 s1, 0xc2ce8ed0
	v_cmp_ngt_f32_e32 vcc, s1, v5
	s_mov_b32 s2, 0x42b17218
	v_ldexp_f32 v6, v6, v7
	v_mul_f32_e32 v7, 0x3fb8aa3b, v4
	v_fma_f32 v8, v4, s0, -v7
	v_rndne_f32_e32 v9, v7
	v_fmac_f32_e32 v8, 0x32a5705f, v4
	v_sub_f32_e32 v7, v7, v9
	v_add_f32_e32 v7, v7, v8
	v_exp_f32_e32 v7, v7
	v_cvt_i32_f32_e32 v8, v9
	v_cndmask_b32_e32 v6, 0, v6, vcc
	v_mov_b32_e32 v9, 0x7f800000
	v_cmp_nlt_f32_e32 vcc, s2, v5
	v_sub_f32_e32 v2, v2, v0
	v_cndmask_b32_e32 v5, v9, v6, vcc
	v_ldexp_f32 v6, v7, v8
	v_mul_f32_e32 v7, 0x3fb8aa3b, v2
	v_fma_f32 v8, v2, s0, -v7
	v_rndne_f32_e32 v10, v7
	v_fmac_f32_e32 v8, 0x32a5705f, v2
	v_sub_f32_e32 v7, v7, v10
	v_add_f32_e32 v7, v7, v8
	v_exp_f32_e32 v7, v7
	v_cvt_i32_f32_e32 v8, v10
	v_cmp_ngt_f32_e32 vcc, s1, v4
	v_cndmask_b32_e32 v6, 0, v6, vcc
	v_cmp_nlt_f32_e32 vcc, s2, v4
	v_sub_f32_e32 v0, v3, v0
	v_cndmask_b32_e32 v4, v9, v6, vcc
	v_mul_f32_e32 v3, 0x3fb8aa3b, v0
	v_add_f32_e32 v4, v4, v5
	v_ldexp_f32 v5, v7, v8
	v_fma_f32 v6, v0, s0, -v3
	v_rndne_f32_e32 v7, v3
	v_fmac_f32_e32 v6, 0x32a5705f, v0
	v_sub_f32_e32 v3, v3, v7
	v_add_f32_e32 v3, v3, v6
	v_exp_f32_e32 v3, v3
	v_cvt_i32_f32_e32 v6, v7
	v_cmp_ngt_f32_e32 vcc, s1, v2
	v_cndmask_b32_e32 v5, 0, v5, vcc
	v_cmp_nlt_f32_e32 vcc, s2, v2
	v_cndmask_b32_e32 v2, v9, v5, vcc
	v_ldexp_f32 v3, v3, v6
	v_cmp_ngt_f32_e32 vcc, s1, v0
	v_cndmask_b32_e32 v3, 0, v3, vcc
	v_cmp_nlt_f32_e32 vcc, s2, v0
	v_add_f32_e32 v2, v4, v2
	v_cndmask_b32_e32 v0, v9, v3, vcc
	v_add_f32_e32 v0, v2, v0
	v_add_f32_e32 v0, v14, v0
	v_cmp_neq_f32_e32 vcc, 0, v0
	s_and_b64 exec, exec, vcc
	s_cbranch_execz .LBB127_20
; %bb.10:
	s_andn2_b64 vcc, exec, s[14:15]
	s_cbranch_vccnz .LBB127_20
; %bb.11:
	v_div_scale_f32 v2, s[0:1], v0, v0, 1.0
	v_rcp_f32_e32 v3, v2
	v_div_scale_f32 v4, vcc, 1.0, v0, 1.0
	s_cmp_gt_u32 s8, 3
	v_fma_f32 v5, -v2, v3, 1.0
	v_fmac_f32_e32 v3, v5, v3
	v_mul_f32_e32 v5, v4, v3
	v_fma_f32 v6, -v2, v5, v4
	v_fmac_f32_e32 v5, v6, v3
	v_fma_f32 v2, -v2, v5, v4
	v_div_fmas_f32 v2, v2, v3, v5
	v_div_fixup_f32 v0, v2, v0, 1.0
	v_mul_lo_u32 v2, v1, s11
	v_ashrrev_i32_e32 v3, 31, v2
	s_cbranch_scc0 .LBB127_15
; %bb.12:
	v_lshlrev_b64 v[4:5], 2, v[2:3]
	v_mov_b32_e32 v6, s13
	v_add_co_u32_e32 v4, vcc, s12, v4
	v_addc_co_u32_e32 v5, vcc, v5, v6, vcc
	s_and_b32 s4, s8, 0x7ffffffc
	v_add_co_u32_e32 v4, vcc, 8, v4
	v_mov_b32_e32 v1, v0
	v_addc_co_u32_e32 v5, vcc, 0, v5, vcc
	s_mov_b32 s0, s4
.LBB127_13:                             ; =>This Inner Loop Header: Depth=1
	global_load_dwordx4 v[6:9], v[4:5], off offset:-8
	s_add_i32 s0, s0, -4
	s_cmp_lg_u32 s0, 0
	s_waitcnt vmcnt(0)
	v_pk_mul_f32 v[6:7], v[0:1], v[6:7]
	v_pk_mul_f32 v[8:9], v[0:1], v[8:9]
	global_store_dwordx4 v[4:5], v[6:9], off offset:-8
	v_add_co_u32_e32 v4, vcc, 16, v4
	v_addc_co_u32_e32 v5, vcc, 0, v5, vcc
	s_cbranch_scc1 .LBB127_13
; %bb.14:
	s_cmp_lg_u32 s4, s8
	s_cselect_b64 s[0:1], -1, 0
	s_branch .LBB127_17
.LBB127_15:
	s_mov_b64 s[0:1], 0
                                        ; implicit-def: $sgpr4
	s_cbranch_execz .LBB127_17
; %bb.16:
	s_mov_b64 s[0:1], -1
	s_mov_b32 s4, 0
.LBB127_17:
	s_andn2_b64 vcc, exec, s[0:1]
	s_cbranch_vccnz .LBB127_20
; %bb.18:
	v_add_co_u32_e32 v2, vcc, s4, v2
	v_addc_co_u32_e32 v3, vcc, 0, v3, vcc
	v_lshlrev_b64 v[2:3], 2, v[2:3]
	v_mov_b32_e32 v1, s13
	v_add_co_u32_e32 v2, vcc, s12, v2
	s_sub_i32 s0, s8, s4
	v_addc_co_u32_e32 v3, vcc, v1, v3, vcc
.LBB127_19:                             ; =>This Inner Loop Header: Depth=1
	global_load_dword v1, v[2:3], off
	s_add_i32 s0, s0, -1
	s_cmp_lg_u32 s0, 0
	s_waitcnt vmcnt(0)
	v_mul_f32_e32 v1, v0, v1
	global_store_dword v[2:3], v1, off
	v_add_co_u32_e32 v2, vcc, 4, v2
	v_addc_co_u32_e32 v3, vcc, 0, v3, vcc
	s_cbranch_scc1 .LBB127_19
.LBB127_20:
	s_endpgm
	.section	.rodata,"a",@progbits
	.p2align	6, 0x0
	.amdhsa_kernel _ZN4vllm3moe17topkGatingSoftmaxIDF16_Li4ELi4ELi8ELi8ELb0ELi0ELNS0_23SharedExpertScoringFuncE0EEEvPKT_PKbPfiPiS9_iiiiii
		.amdhsa_group_segment_fixed_size 0
		.amdhsa_private_segment_fixed_size 0
		.amdhsa_kernarg_size 72
		.amdhsa_user_sgpr_count 6
		.amdhsa_user_sgpr_private_segment_buffer 1
		.amdhsa_user_sgpr_dispatch_ptr 0
		.amdhsa_user_sgpr_queue_ptr 0
		.amdhsa_user_sgpr_kernarg_segment_ptr 1
		.amdhsa_user_sgpr_dispatch_id 0
		.amdhsa_user_sgpr_flat_scratch_init 0
		.amdhsa_user_sgpr_kernarg_preload_length 0
		.amdhsa_user_sgpr_kernarg_preload_offset 0
		.amdhsa_user_sgpr_private_segment_size 0
		.amdhsa_uses_dynamic_stack 0
		.amdhsa_system_sgpr_private_segment_wavefront_offset 0
		.amdhsa_system_sgpr_workgroup_id_x 1
		.amdhsa_system_sgpr_workgroup_id_y 0
		.amdhsa_system_sgpr_workgroup_id_z 0
		.amdhsa_system_sgpr_workgroup_info 0
		.amdhsa_system_vgpr_workitem_id 1
		.amdhsa_next_free_vgpr 21
		.amdhsa_next_free_sgpr 23
		.amdhsa_accum_offset 24
		.amdhsa_reserve_vcc 1
		.amdhsa_reserve_flat_scratch 0
		.amdhsa_float_round_mode_32 0
		.amdhsa_float_round_mode_16_64 0
		.amdhsa_float_denorm_mode_32 3
		.amdhsa_float_denorm_mode_16_64 3
		.amdhsa_dx10_clamp 1
		.amdhsa_ieee_mode 1
		.amdhsa_fp16_overflow 0
		.amdhsa_tg_split 0
		.amdhsa_exception_fp_ieee_invalid_op 0
		.amdhsa_exception_fp_denorm_src 0
		.amdhsa_exception_fp_ieee_div_zero 0
		.amdhsa_exception_fp_ieee_overflow 0
		.amdhsa_exception_fp_ieee_underflow 0
		.amdhsa_exception_fp_ieee_inexact 0
		.amdhsa_exception_int_div_zero 0
	.end_amdhsa_kernel
	.section	.text._ZN4vllm3moe17topkGatingSoftmaxIDF16_Li4ELi4ELi8ELi8ELb0ELi0ELNS0_23SharedExpertScoringFuncE0EEEvPKT_PKbPfiPiS9_iiiiii,"axG",@progbits,_ZN4vllm3moe17topkGatingSoftmaxIDF16_Li4ELi4ELi8ELi8ELb0ELi0ELNS0_23SharedExpertScoringFuncE0EEEvPKT_PKbPfiPiS9_iiiiii,comdat
.Lfunc_end127:
	.size	_ZN4vllm3moe17topkGatingSoftmaxIDF16_Li4ELi4ELi8ELi8ELb0ELi0ELNS0_23SharedExpertScoringFuncE0EEEvPKT_PKbPfiPiS9_iiiiii, .Lfunc_end127-_ZN4vllm3moe17topkGatingSoftmaxIDF16_Li4ELi4ELi8ELi8ELb0ELi0ELNS0_23SharedExpertScoringFuncE0EEEvPKT_PKbPfiPiS9_iiiiii
                                        ; -- End function
	.section	.AMDGPU.csdata,"",@progbits
; Kernel info:
; codeLenInByte = 1740
; NumSgprs: 27
; NumVgprs: 21
; NumAgprs: 0
; TotalNumVgprs: 21
; ScratchSize: 0
; MemoryBound: 0
; FloatMode: 240
; IeeeMode: 1
; LDSByteSize: 0 bytes/workgroup (compile time only)
; SGPRBlocks: 3
; VGPRBlocks: 2
; NumSGPRsForWavesPerEU: 27
; NumVGPRsForWavesPerEU: 21
; AccumOffset: 24
; Occupancy: 8
; WaveLimiterHint : 0
; COMPUTE_PGM_RSRC2:SCRATCH_EN: 0
; COMPUTE_PGM_RSRC2:USER_SGPR: 6
; COMPUTE_PGM_RSRC2:TRAP_HANDLER: 0
; COMPUTE_PGM_RSRC2:TGID_X_EN: 1
; COMPUTE_PGM_RSRC2:TGID_Y_EN: 0
; COMPUTE_PGM_RSRC2:TGID_Z_EN: 0
; COMPUTE_PGM_RSRC2:TIDIG_COMP_CNT: 1
; COMPUTE_PGM_RSRC3_GFX90A:ACCUM_OFFSET: 5
; COMPUTE_PGM_RSRC3_GFX90A:TG_SPLIT: 0
	.section	.text._ZN4vllm3moe17topkGatingSoftmaxIDF16_Li4ELi4ELi8ELi8ELb1ELi1ELNS0_23SharedExpertScoringFuncE1EEEvPKT_PKbPfiPiS9_iiiiii,"axG",@progbits,_ZN4vllm3moe17topkGatingSoftmaxIDF16_Li4ELi4ELi8ELi8ELb1ELi1ELNS0_23SharedExpertScoringFuncE1EEEvPKT_PKbPfiPiS9_iiiiii,comdat
	.protected	_ZN4vllm3moe17topkGatingSoftmaxIDF16_Li4ELi4ELi8ELi8ELb1ELi1ELNS0_23SharedExpertScoringFuncE1EEEvPKT_PKbPfiPiS9_iiiiii ; -- Begin function _ZN4vllm3moe17topkGatingSoftmaxIDF16_Li4ELi4ELi8ELi8ELb1ELi1ELNS0_23SharedExpertScoringFuncE1EEEvPKT_PKbPfiPiS9_iiiiii
	.globl	_ZN4vllm3moe17topkGatingSoftmaxIDF16_Li4ELi4ELi8ELi8ELb1ELi1ELNS0_23SharedExpertScoringFuncE1EEEvPKT_PKbPfiPiS9_iiiiii
	.p2align	8
	.type	_ZN4vllm3moe17topkGatingSoftmaxIDF16_Li4ELi4ELi8ELi8ELb1ELi1ELNS0_23SharedExpertScoringFuncE1EEEvPKT_PKbPfiPiS9_iiiiii,@function
_ZN4vllm3moe17topkGatingSoftmaxIDF16_Li4ELi4ELi8ELi8ELb1ELi1ELNS0_23SharedExpertScoringFuncE1EEEvPKT_PKbPfiPiS9_iiiiii: ; @_ZN4vllm3moe17topkGatingSoftmaxIDF16_Li4ELi4ELi8ELi8ELb1ELi1ELNS0_23SharedExpertScoringFuncE1EEEvPKT_PKbPfiPiS9_iiiiii
; %bb.0:
	s_load_dword s18, s[4:5], 0x18
	v_bfe_u32 v1, v0, 10, 10
	s_lshl_b32 s19, s6, 9
	v_lshlrev_b32_e32 v15, 6, v1
	v_and_b32_e32 v16, 0x3ff, v0
	v_add3_u32 v2, v15, v16, s19
	s_waitcnt lgkmcnt(0)
	v_cmp_gt_i32_e32 vcc, s18, v2
	s_and_saveexec_b64 s[0:1], vcc
	s_cbranch_execz .LBB128_19
; %bb.1:
	s_load_dwordx4 s[0:3], s[4:5], 0x0
	s_load_dwordx2 s[12:13], s[4:5], 0x10
	s_waitcnt lgkmcnt(0)
	s_cmp_eq_u64 s[2:3], 0
	s_cbranch_scc1 .LBB128_3
; %bb.2:
	v_ashrrev_i32_e32 v1, 31, v2
	v_mov_b32_e32 v3, s3
	v_add_co_u32_e32 v0, vcc, s2, v2
	v_addc_co_u32_e32 v1, vcc, v3, v1, vcc
	global_load_ubyte v0, v[0:1], off
	s_waitcnt vmcnt(0)
	v_and_b32_e32 v0, 1, v0
	v_cmp_eq_u32_e32 vcc, 1, v0
	s_xor_b64 s[2:3], vcc, -1
	s_orn2_b64 s[14:15], s[2:3], exec
	s_branch .LBB128_4
.LBB128_3:
	s_mov_b64 s[14:15], -1
.LBB128_4:
	s_load_dwordx2 s[2:3], s[4:5], 0x40
	s_load_dwordx4 s[8:11], s[4:5], 0x30
	v_mov_b32_e32 v3, s1
	s_mov_b32 s1, 0x32a5705f
	s_mov_b32 s20, 0x42b17218
	s_waitcnt lgkmcnt(0)
	v_mul_lo_u32 v0, v2, s3
	v_ashrrev_i32_e32 v1, 31, v0
	v_lshlrev_b64 v[0:1], 1, v[0:1]
	v_add_co_u32_e32 v4, vcc, s0, v0
	v_addc_co_u32_e32 v5, vcc, v3, v1, vcc
	global_load_ushort v7, v[4:5], off offset:8
	global_load_dwordx2 v[0:1], v[4:5], off
	s_mov_b32 s0, 0x3fb8aa3b
	s_mov_b32 s3, 0xc2ce8ed0
	v_mov_b32_e32 v3, 0x7f800000
	v_mul_lo_u32 v4, v2, s11
	v_add_u32_e32 v6, s8, v4
	v_mov_b32_e32 v5, s13
	s_cmp_gt_i32 s8, 0
	v_mov_b32_e32 v14, 0
	s_cselect_b64 s[16:17], -1, 0
	s_cmp_lt_i32 s8, 1
	s_waitcnt vmcnt(1)
	v_cvt_f32_f16_e64 v8, -v7
	v_mul_f32_e32 v9, 0x3fb8aa3b, v8
	v_fma_mix_f32 v10, -v7, s0, -v9 op_sel_hi:[1,0,0]
	v_rndne_f32_e32 v11, v9
	v_fma_mix_f32 v7, -v7, s1, v10 op_sel_hi:[1,0,0]
	v_sub_f32_e32 v9, v9, v11
	v_add_f32_e32 v7, v9, v7
	v_cvt_i32_f32_e32 v10, v11
	v_exp_f32_e32 v9, v7
	v_cmp_ngt_f32_e32 vcc, s3, v8
	v_ashrrev_i32_e32 v7, 31, v6
	v_lshlrev_b64 v[6:7], 2, v[6:7]
	v_ldexp_f32 v9, v9, v10
	v_cndmask_b32_e32 v9, 0, v9, vcc
	v_cmp_nlt_f32_e32 vcc, s20, v8
	v_cndmask_b32_e32 v8, v3, v9, vcc
	v_add_f32_e32 v8, 1.0, v8
	v_div_scale_f32 v9, s[6:7], v8, v8, 1.0
	v_rcp_f32_e32 v10, v9
	v_add_co_u32_e32 v6, vcc, s12, v6
	v_addc_co_u32_e32 v7, vcc, v5, v7, vcc
	v_fma_f32 v11, -v9, v10, 1.0
	v_div_scale_f32 v5, vcc, 1.0, v8, 1.0
	v_fmac_f32_e32 v10, v11, v10
	v_mul_f32_e32 v11, v5, v10
	v_fma_f32 v12, -v9, v11, v5
	v_fmac_f32_e32 v11, v12, v10
	v_fma_f32 v5, -v9, v11, v5
	v_div_fmas_f32 v5, v5, v10, v11
	v_div_fixup_f32 v5, v5, v8, 1.0
	global_store_dword v[6:7], v5, off
	s_cbranch_scc1 .LBB128_8
; %bb.5:
	s_mov_b32 s1, 0xffff
	s_waitcnt vmcnt(1)
	v_bfi_b32 v5, s1, v0, v0
	v_bfi_b32 v6, s1, v1, v1
	v_cvt_f32_f16_e32 v0, v5
	v_cvt_f32_f16_sdwa v1, v5 dst_sel:DWORD dst_unused:UNUSED_PAD src0_sel:WORD_1
	v_cvt_f32_f16_e32 v18, v6
	v_cvt_f32_f16_sdwa v19, v6 dst_sel:DWORD dst_unused:UNUSED_PAD src0_sel:WORD_1
	v_cmp_lt_f16_sdwa vcc, v5, v5 src0_sel:DWORD src1_sel:WORD_1
	v_cndmask_b32_e32 v6, v0, v1, vcc
	v_cndmask_b32_e64 v5, 0, 1, vcc
	v_cmp_lt_f32_e32 vcc, v6, v18
	v_cndmask_b32_e32 v6, v6, v18, vcc
	v_cndmask_b32_e64 v5, v5, 2, vcc
	v_cmp_lt_f32_e32 vcc, v6, v19
	v_cndmask_b32_e32 v17, v6, v19, vcc
	v_cndmask_b32_e64 v20, v5, 3, vcc
	v_sub_f32_e32 v5, v17, v17
	v_mul_f32_e32 v7, 0x3fb8aa3b, v5
	v_fma_f32 v8, v5, s0, -v7
	v_rndne_f32_e32 v9, v7
	v_fmac_f32_e32 v8, 0x32a5705f, v5
	v_sub_f32_e32 v7, v7, v9
	v_add_f32_e32 v7, v7, v8
	v_exp_f32_e32 v7, v7
	v_cvt_i32_f32_e32 v8, v9
	v_cmp_le_i32_e32 vcc, s9, v20
	v_cmp_gt_i32_e64 s[0:1], s10, v20
	s_and_b64 s[22:23], vcc, s[0:1]
	v_ldexp_f32 v7, v7, v8
	v_cmp_ngt_f32_e32 vcc, s3, v5
	s_load_dwordx4 s[4:7], s[4:5], 0x20
	v_cndmask_b32_e32 v7, 0, v7, vcc
	v_cmp_nlt_f32_e32 vcc, s20, v5
	v_ashrrev_i32_e32 v5, 31, v4
	v_lshlrev_b64 v[10:11], 2, v[4:5]
	v_mul_lo_u32 v6, v2, s2
	v_cndmask_b32_e32 v14, v3, v7, vcc
	v_mov_b32_e32 v3, s13
	v_add_co_u32_e32 v12, vcc, s12, v10
	v_addc_co_u32_e64 v13, s[0:1], v3, v11, vcc
	v_ashrrev_i32_e32 v7, 31, v6
	v_subrev_u32_e32 v3, s9, v20
	s_and_b64 s[0:1], s[14:15], s[22:23]
	v_lshlrev_b64 v[8:9], 2, v[6:7]
	v_mul_lo_u32 v22, v2, s8
	v_cndmask_b32_e64 v3, 4, v3, s[0:1]
	s_waitcnt lgkmcnt(0)
	v_mov_b32_e32 v5, s5
	v_add_co_u32_e64 v6, s[0:1], s4, v8
	v_addc_co_u32_e64 v7, s[0:1], v5, v9, s[0:1]
	v_ashrrev_i32_e32 v23, 31, v22
	global_store_dword v[6:7], v3, off
	v_lshlrev_b64 v[6:7], 2, v[22:23]
	v_mov_b32_e32 v3, s7
	v_add_co_u32_e64 v22, s[0:1], s6, v6
	v_addc_co_u32_e64 v23, s[0:1], v3, v7, s[0:1]
	s_cmp_eq_u32 s8, 1
	global_store_dword v[12:13], v14, off
	global_store_dword v[22:23], v2, off
	s_cbranch_scc1 .LBB128_8
; %bb.6:
	v_mov_b32_e32 v5, 0xff800000
	v_cmp_ne_u32_e64 s[0:1], 3, v20
	v_cndmask_b32_e64 v3, v5, v19, s[0:1]
	v_cmp_ne_u32_e64 s[0:1], 2, v20
	v_cndmask_b32_e64 v2, v5, v18, s[0:1]
	;; [unrolled: 2-line block ×4, first 2 shown]
	v_mov_b32_e32 v10, s7
	v_add_co_u32_e64 v6, s[0:1], s6, v6
	v_addc_co_u32_e64 v7, s[0:1], v7, v10, s[0:1]
	v_add_co_u32_e64 v6, s[0:1], 4, v6
	v_addc_co_u32_e64 v7, s[0:1], 0, v7, s[0:1]
	v_mov_b32_e32 v10, s5
	v_add_co_u32_e64 v8, s[0:1], s4, v8
	v_addc_co_u32_e64 v9, s[0:1], v9, v10, s[0:1]
	v_mov_b32_e32 v10, s13
	v_addc_co_u32_e32 v11, vcc, v11, v10, vcc
	v_add_co_u32_e64 v8, s[0:1], 4, v8
	v_add_co_u32_e32 v10, vcc, 4, v12
	s_add_i32 s19, s19, s18
	v_addc_co_u32_e64 v9, s[0:1], 0, v9, s[0:1]
	v_addc_co_u32_e32 v11, vcc, 0, v11, vcc
	s_add_i32 s4, s8, -1
	v_add3_u32 v12, s19, v16, v15
	s_mov_b32 s5, 0x3fb8aa3b
	s_mov_b32 s6, 0xc2ce8ed0
	;; [unrolled: 1-line block ×3, first 2 shown]
	v_mov_b32_e32 v13, 0x7f800000
.LBB128_7:                              ; =>This Inner Loop Header: Depth=1
	v_cmp_gt_f32_e32 vcc, v1, v0
	v_cndmask_b32_e32 v15, v0, v1, vcc
	v_cmp_gt_f32_e64 s[0:1], v2, v15
	v_cndmask_b32_e64 v15, v15, v2, s[0:1]
	v_cndmask_b32_e64 v16, 0, 1, vcc
	v_cmp_gt_f32_e32 vcc, v3, v15
	v_cndmask_b32_e64 v16, v16, 2, s[0:1]
	v_cndmask_b32_e64 v16, v16, 3, vcc
	v_cndmask_b32_e32 v15, v15, v3, vcc
	v_cmp_ne_u32_e64 s[2:3], 3, v16
	v_sub_f32_e32 v15, v15, v17
	v_cndmask_b32_e64 v3, v5, v3, s[2:3]
	v_cmp_ne_u32_e64 s[2:3], 2, v16
	v_cmp_le_i32_e32 vcc, s9, v16
	v_cmp_gt_i32_e64 s[0:1], s10, v16
	v_mul_f32_e32 v18, 0x3fb8aa3b, v15
	v_cndmask_b32_e64 v2, v5, v2, s[2:3]
	v_cmp_ne_u32_e64 s[2:3], 1, v16
	v_subrev_u32_e32 v19, s9, v16
	v_cndmask_b32_e64 v1, v5, v1, s[2:3]
	v_cmp_ne_u32_e64 s[2:3], 0, v16
	s_and_b64 s[0:1], vcc, s[0:1]
	v_fma_f32 v16, v15, s5, -v18
	v_rndne_f32_e32 v20, v18
	v_fmac_f32_e32 v16, 0x32a5705f, v15
	v_sub_f32_e32 v18, v18, v20
	s_and_b64 vcc, s[14:15], s[0:1]
	v_cndmask_b32_e32 v19, 4, v19, vcc
	v_add_f32_e32 v16, v18, v16
	v_cvt_i32_f32_e32 v20, v20
	global_store_dword v[8:9], v19, off
	global_store_dword v[6:7], v12, off
	v_add_co_u32_e32 v6, vcc, 4, v6
	v_exp_f32_e32 v16, v16
	v_addc_co_u32_e32 v7, vcc, 0, v7, vcc
	v_add_co_u32_e32 v8, vcc, 4, v8
	v_addc_co_u32_e32 v9, vcc, 0, v9, vcc
	v_ldexp_f32 v16, v16, v20
	v_cmp_ngt_f32_e32 vcc, s6, v15
	v_cndmask_b32_e32 v16, 0, v16, vcc
	v_cmp_nlt_f32_e32 vcc, s7, v15
	v_cndmask_b32_e32 v15, v13, v16, vcc
	s_add_i32 s4, s4, -1
	global_store_dword v[10:11], v15, off
	v_add_co_u32_e32 v10, vcc, 4, v10
	v_cndmask_b32_e64 v0, v5, v0, s[2:3]
	v_add_u32_e32 v12, s18, v12
	s_cmp_eq_u32 s4, 0
	v_add_f32_e32 v14, v14, v15
	v_addc_co_u32_e32 v11, vcc, 0, v11, vcc
	s_cbranch_scc0 .LBB128_7
.LBB128_8:
	v_cmp_neq_f32_e32 vcc, 0, v14
	s_and_b64 exec, exec, vcc
	s_cbranch_execz .LBB128_19
; %bb.9:
	s_andn2_b64 vcc, exec, s[16:17]
	s_cbranch_vccnz .LBB128_19
; %bb.10:
	s_waitcnt vmcnt(1)
	v_div_scale_f32 v0, s[0:1], v14, v14, 1.0
	v_rcp_f32_e32 v1, v0
	v_div_scale_f32 v2, vcc, 1.0, v14, 1.0
	s_cmp_gt_u32 s8, 3
	v_fma_f32 v3, -v0, v1, 1.0
	v_fmac_f32_e32 v1, v3, v1
	v_mul_f32_e32 v3, v2, v1
	v_fma_f32 v5, -v0, v3, v2
	v_fmac_f32_e32 v3, v5, v1
	v_fma_f32 v0, -v0, v3, v2
	v_div_fmas_f32 v0, v0, v1, v3
	v_div_fixup_f32 v0, v0, v14, 1.0
	v_ashrrev_i32_e32 v5, 31, v4
	s_cbranch_scc0 .LBB128_14
; %bb.11:
	v_lshlrev_b64 v[2:3], 2, v[4:5]
	v_mov_b32_e32 v6, s13
	v_add_co_u32_e32 v2, vcc, s12, v2
	v_addc_co_u32_e32 v3, vcc, v3, v6, vcc
	s_and_b32 s4, s8, 0x7ffffffc
	v_add_co_u32_e32 v2, vcc, 8, v2
	v_mov_b32_e32 v1, v0
	v_addc_co_u32_e32 v3, vcc, 0, v3, vcc
	s_mov_b32 s0, s4
.LBB128_12:                             ; =>This Inner Loop Header: Depth=1
	global_load_dwordx4 v[6:9], v[2:3], off offset:-8
	s_add_i32 s0, s0, -4
	s_cmp_lg_u32 s0, 0
	s_waitcnt vmcnt(0)
	v_pk_mul_f32 v[6:7], v[0:1], v[6:7]
	v_pk_mul_f32 v[8:9], v[0:1], v[8:9]
	global_store_dwordx4 v[2:3], v[6:9], off offset:-8
	v_add_co_u32_e32 v2, vcc, 16, v2
	v_addc_co_u32_e32 v3, vcc, 0, v3, vcc
	s_cbranch_scc1 .LBB128_12
; %bb.13:
	s_cmp_lg_u32 s4, s8
	s_cselect_b64 s[0:1], -1, 0
	s_branch .LBB128_16
.LBB128_14:
	s_mov_b64 s[0:1], 0
                                        ; implicit-def: $sgpr4
	s_cbranch_execz .LBB128_16
; %bb.15:
	s_mov_b64 s[0:1], -1
	s_mov_b32 s4, 0
.LBB128_16:
	s_andn2_b64 vcc, exec, s[0:1]
	s_cbranch_vccnz .LBB128_19
; %bb.17:
	v_add_co_u32_e32 v2, vcc, s4, v4
	v_addc_co_u32_e32 v3, vcc, 0, v5, vcc
	v_lshlrev_b64 v[2:3], 2, v[2:3]
	v_mov_b32_e32 v1, s13
	v_add_co_u32_e32 v2, vcc, s12, v2
	s_sub_i32 s0, s8, s4
	v_addc_co_u32_e32 v3, vcc, v1, v3, vcc
.LBB128_18:                             ; =>This Inner Loop Header: Depth=1
	global_load_dword v1, v[2:3], off
	s_add_i32 s0, s0, -1
	s_cmp_lg_u32 s0, 0
	s_waitcnt vmcnt(0)
	v_mul_f32_e32 v1, v0, v1
	global_store_dword v[2:3], v1, off
	v_add_co_u32_e32 v2, vcc, 4, v2
	v_addc_co_u32_e32 v3, vcc, 0, v3, vcc
	s_cbranch_scc1 .LBB128_18
.LBB128_19:
	s_endpgm
	.section	.rodata,"a",@progbits
	.p2align	6, 0x0
	.amdhsa_kernel _ZN4vllm3moe17topkGatingSoftmaxIDF16_Li4ELi4ELi8ELi8ELb1ELi1ELNS0_23SharedExpertScoringFuncE1EEEvPKT_PKbPfiPiS9_iiiiii
		.amdhsa_group_segment_fixed_size 0
		.amdhsa_private_segment_fixed_size 0
		.amdhsa_kernarg_size 72
		.amdhsa_user_sgpr_count 6
		.amdhsa_user_sgpr_private_segment_buffer 1
		.amdhsa_user_sgpr_dispatch_ptr 0
		.amdhsa_user_sgpr_queue_ptr 0
		.amdhsa_user_sgpr_kernarg_segment_ptr 1
		.amdhsa_user_sgpr_dispatch_id 0
		.amdhsa_user_sgpr_flat_scratch_init 0
		.amdhsa_user_sgpr_kernarg_preload_length 0
		.amdhsa_user_sgpr_kernarg_preload_offset 0
		.amdhsa_user_sgpr_private_segment_size 0
		.amdhsa_uses_dynamic_stack 0
		.amdhsa_system_sgpr_private_segment_wavefront_offset 0
		.amdhsa_system_sgpr_workgroup_id_x 1
		.amdhsa_system_sgpr_workgroup_id_y 0
		.amdhsa_system_sgpr_workgroup_id_z 0
		.amdhsa_system_sgpr_workgroup_info 0
		.amdhsa_system_vgpr_workitem_id 1
		.amdhsa_next_free_vgpr 24
		.amdhsa_next_free_sgpr 24
		.amdhsa_accum_offset 24
		.amdhsa_reserve_vcc 1
		.amdhsa_reserve_flat_scratch 0
		.amdhsa_float_round_mode_32 0
		.amdhsa_float_round_mode_16_64 0
		.amdhsa_float_denorm_mode_32 3
		.amdhsa_float_denorm_mode_16_64 3
		.amdhsa_dx10_clamp 1
		.amdhsa_ieee_mode 1
		.amdhsa_fp16_overflow 0
		.amdhsa_tg_split 0
		.amdhsa_exception_fp_ieee_invalid_op 0
		.amdhsa_exception_fp_denorm_src 0
		.amdhsa_exception_fp_ieee_div_zero 0
		.amdhsa_exception_fp_ieee_overflow 0
		.amdhsa_exception_fp_ieee_underflow 0
		.amdhsa_exception_fp_ieee_inexact 0
		.amdhsa_exception_int_div_zero 0
	.end_amdhsa_kernel
	.section	.text._ZN4vllm3moe17topkGatingSoftmaxIDF16_Li4ELi4ELi8ELi8ELb1ELi1ELNS0_23SharedExpertScoringFuncE1EEEvPKT_PKbPfiPiS9_iiiiii,"axG",@progbits,_ZN4vllm3moe17topkGatingSoftmaxIDF16_Li4ELi4ELi8ELi8ELb1ELi1ELNS0_23SharedExpertScoringFuncE1EEEvPKT_PKbPfiPiS9_iiiiii,comdat
.Lfunc_end128:
	.size	_ZN4vllm3moe17topkGatingSoftmaxIDF16_Li4ELi4ELi8ELi8ELb1ELi1ELNS0_23SharedExpertScoringFuncE1EEEvPKT_PKbPfiPiS9_iiiiii, .Lfunc_end128-_ZN4vllm3moe17topkGatingSoftmaxIDF16_Li4ELi4ELi8ELi8ELb1ELi1ELNS0_23SharedExpertScoringFuncE1EEEvPKT_PKbPfiPiS9_iiiiii
                                        ; -- End function
	.section	.AMDGPU.csdata,"",@progbits
; Kernel info:
; codeLenInByte = 1644
; NumSgprs: 28
; NumVgprs: 24
; NumAgprs: 0
; TotalNumVgprs: 24
; ScratchSize: 0
; MemoryBound: 0
; FloatMode: 240
; IeeeMode: 1
; LDSByteSize: 0 bytes/workgroup (compile time only)
; SGPRBlocks: 3
; VGPRBlocks: 2
; NumSGPRsForWavesPerEU: 28
; NumVGPRsForWavesPerEU: 24
; AccumOffset: 24
; Occupancy: 8
; WaveLimiterHint : 0
; COMPUTE_PGM_RSRC2:SCRATCH_EN: 0
; COMPUTE_PGM_RSRC2:USER_SGPR: 6
; COMPUTE_PGM_RSRC2:TRAP_HANDLER: 0
; COMPUTE_PGM_RSRC2:TGID_X_EN: 1
; COMPUTE_PGM_RSRC2:TGID_Y_EN: 0
; COMPUTE_PGM_RSRC2:TGID_Z_EN: 0
; COMPUTE_PGM_RSRC2:TIDIG_COMP_CNT: 1
; COMPUTE_PGM_RSRC3_GFX90A:ACCUM_OFFSET: 5
; COMPUTE_PGM_RSRC3_GFX90A:TG_SPLIT: 0
	.section	.text._ZN4vllm3moe17topkGatingSoftmaxIDF16_Li4ELi4ELi8ELi8ELb0ELi1ELNS0_23SharedExpertScoringFuncE1EEEvPKT_PKbPfiPiS9_iiiiii,"axG",@progbits,_ZN4vllm3moe17topkGatingSoftmaxIDF16_Li4ELi4ELi8ELi8ELb0ELi1ELNS0_23SharedExpertScoringFuncE1EEEvPKT_PKbPfiPiS9_iiiiii,comdat
	.protected	_ZN4vllm3moe17topkGatingSoftmaxIDF16_Li4ELi4ELi8ELi8ELb0ELi1ELNS0_23SharedExpertScoringFuncE1EEEvPKT_PKbPfiPiS9_iiiiii ; -- Begin function _ZN4vllm3moe17topkGatingSoftmaxIDF16_Li4ELi4ELi8ELi8ELb0ELi1ELNS0_23SharedExpertScoringFuncE1EEEvPKT_PKbPfiPiS9_iiiiii
	.globl	_ZN4vllm3moe17topkGatingSoftmaxIDF16_Li4ELi4ELi8ELi8ELb0ELi1ELNS0_23SharedExpertScoringFuncE1EEEvPKT_PKbPfiPiS9_iiiiii
	.p2align	8
	.type	_ZN4vllm3moe17topkGatingSoftmaxIDF16_Li4ELi4ELi8ELi8ELb0ELi1ELNS0_23SharedExpertScoringFuncE1EEEvPKT_PKbPfiPiS9_iiiiii,@function
_ZN4vllm3moe17topkGatingSoftmaxIDF16_Li4ELi4ELi8ELi8ELb0ELi1ELNS0_23SharedExpertScoringFuncE1EEEvPKT_PKbPfiPiS9_iiiiii: ; @_ZN4vllm3moe17topkGatingSoftmaxIDF16_Li4ELi4ELi8ELi8ELb0ELi1ELNS0_23SharedExpertScoringFuncE1EEEvPKT_PKbPfiPiS9_iiiiii
; %bb.0:
	s_load_dword s22, s[4:5], 0x18
	v_bfe_u32 v1, v0, 10, 10
	s_lshl_b32 s23, s6, 9
	v_lshlrev_b32_e32 v17, 6, v1
	v_and_b32_e32 v18, 0x3ff, v0
	v_add3_u32 v19, v17, v18, s23
	s_waitcnt lgkmcnt(0)
	v_cmp_gt_i32_e32 vcc, s22, v19
	s_and_saveexec_b64 s[0:1], vcc
	s_cbranch_execz .LBB129_19
; %bb.1:
	s_load_dwordx4 s[0:3], s[4:5], 0x0
	s_load_dwordx2 s[12:13], s[4:5], 0x10
	s_waitcnt lgkmcnt(0)
	s_cmp_eq_u64 s[2:3], 0
	s_cbranch_scc1 .LBB129_3
; %bb.2:
	v_ashrrev_i32_e32 v1, 31, v19
	v_mov_b32_e32 v2, s3
	v_add_co_u32_e32 v0, vcc, s2, v19
	v_addc_co_u32_e32 v1, vcc, v2, v1, vcc
	global_load_ubyte v0, v[0:1], off
	s_waitcnt vmcnt(0)
	v_and_b32_e32 v0, 1, v0
	v_cmp_eq_u32_e32 vcc, 1, v0
	s_xor_b64 s[2:3], vcc, -1
	s_orn2_b64 s[16:17], s[2:3], exec
	s_branch .LBB129_4
.LBB129_3:
	s_mov_b64 s[16:17], -1
.LBB129_4:
	s_load_dwordx2 s[18:19], s[4:5], 0x40
	s_load_dwordx4 s[8:11], s[4:5], 0x30
	v_mov_b32_e32 v2, s1
	s_mov_b32 s20, 0x3fb8aa3b
	s_mov_b32 s21, 0x42b17218
	s_waitcnt lgkmcnt(0)
	v_mul_lo_u32 v0, v19, s19
	v_ashrrev_i32_e32 v1, 31, v0
	v_lshlrev_b64 v[0:1], 1, v[0:1]
	v_add_co_u32_e32 v0, vcc, s0, v0
	v_addc_co_u32_e32 v1, vcc, v2, v1, vcc
	global_load_ushort v4, v[0:1], off offset:8
	global_load_dwordx2 v[8:9], v[0:1], off
	v_mul_lo_u32 v0, v19, s11
	v_add_u32_e32 v2, s8, v0
	v_ashrrev_i32_e32 v3, 31, v2
	v_lshlrev_b64 v[2:3], 2, v[2:3]
	v_mov_b32_e32 v1, s13
	v_add_co_u32_e32 v10, vcc, s12, v2
	v_addc_co_u32_e32 v11, vcc, v1, v3, vcc
	s_mov_b32 s0, 0x32a5705f
	s_mov_b32 s19, 0xc2ce8ed0
	v_mov_b32_e32 v5, 0x7f800000
	s_cmp_gt_i32 s8, 0
	v_mov_b32_e32 v16, 0
	s_cselect_b64 s[14:15], -1, 0
	s_cmp_lt_i32 s8, 1
	s_waitcnt vmcnt(1)
	v_cvt_f32_f16_e64 v1, -v4
	s_waitcnt vmcnt(0)
	v_cvt_f32_f16_e32 v2, v9
	v_cvt_f32_f16_e32 v6, v8
	v_cvt_f32_f16_sdwa v7, v8 dst_sel:DWORD dst_unused:UNUSED_PAD src0_sel:WORD_1
	v_mul_f32_e32 v3, 0x3fb8aa3b, v1
	v_fma_mix_f32 v12, -v4, s20, -v3 op_sel_hi:[1,0,0]
	v_rndne_f32_e32 v13, v3
	v_fma_mix_f32 v4, -v4, s0, v12 op_sel_hi:[1,0,0]
	v_sub_f32_e32 v3, v3, v13
	v_add_f32_e32 v3, v3, v4
	v_cvt_i32_f32_e32 v12, v13
	v_exp_f32_e32 v4, v3
	v_cmp_ngt_f32_e32 vcc, s19, v1
	v_cvt_f32_f16_sdwa v3, v9 dst_sel:DWORD dst_unused:UNUSED_PAD src0_sel:WORD_1
	v_cmp_lt_f16_sdwa s[0:1], v8, v8 src0_sel:DWORD src1_sel:WORD_1
	v_ldexp_f32 v4, v4, v12
	v_cndmask_b32_e32 v4, 0, v4, vcc
	v_cmp_nlt_f32_e32 vcc, s21, v1
	v_cndmask_b32_e32 v1, v5, v4, vcc
	v_add_f32_e32 v1, 1.0, v1
	v_div_scale_f32 v4, s[2:3], v1, v1, 1.0
	v_rcp_f32_e32 v9, v4
	v_div_scale_f32 v12, vcc, 1.0, v1, 1.0
	v_cndmask_b32_e64 v8, v6, v7, s[0:1]
	v_fma_f32 v13, -v4, v9, 1.0
	v_fmac_f32_e32 v9, v13, v9
	v_mul_f32_e32 v13, v12, v9
	v_fma_f32 v14, -v4, v13, v12
	v_cmp_lt_f32_e64 s[2:3], v8, v2
	v_fmac_f32_e32 v13, v14, v9
	v_cndmask_b32_e64 v8, v8, v2, s[2:3]
	v_fma_f32 v4, -v4, v13, v12
	v_div_fmas_f32 v4, v4, v9, v13
	v_cmp_lt_f32_e32 vcc, v8, v3
	v_div_fixup_f32 v1, v4, v1, 1.0
	v_cndmask_b32_e32 v4, v8, v3, vcc
	global_store_dword v[10:11], v1, off
	s_cbranch_scc1 .LBB129_8
; %bb.5:
	v_cndmask_b32_e64 v1, 0, 1, s[0:1]
	v_cndmask_b32_e64 v1, v1, 2, s[2:3]
	v_cndmask_b32_e64 v22, v1, 3, vcc
	v_sub_f32_e32 v1, v4, v4
	v_mul_f32_e32 v9, 0x3fb8aa3b, v1
	v_rndne_f32_e32 v10, v9
	v_sub_f32_e32 v11, v9, v10
	v_fma_f32 v9, v1, s20, -v9
	v_fmac_f32_e32 v9, 0x32a5705f, v1
	v_add_f32_e32 v9, v11, v9
	v_exp_f32_e32 v9, v9
	v_cvt_i32_f32_e32 v10, v10
	v_cmp_le_i32_e32 vcc, s9, v22
	v_cmp_gt_i32_e64 s[0:1], s10, v22
	s_and_b64 s[2:3], vcc, s[0:1]
	v_ldexp_f32 v9, v9, v10
	v_cmp_ngt_f32_e32 vcc, s19, v1
	s_load_dwordx4 s[4:7], s[4:5], 0x20
	v_cndmask_b32_e32 v9, 0, v9, vcc
	v_cmp_nlt_f32_e32 vcc, s21, v1
	v_ashrrev_i32_e32 v1, 31, v0
	v_lshlrev_b64 v[12:13], 2, v[0:1]
	v_mul_lo_u32 v8, v19, s18
	v_cndmask_b32_e32 v16, v5, v9, vcc
	v_mov_b32_e32 v1, s13
	v_add_co_u32_e32 v14, vcc, s12, v12
	v_addc_co_u32_e64 v15, s[0:1], v1, v13, vcc
	v_ashrrev_i32_e32 v9, 31, v8
	v_subrev_u32_e32 v1, s9, v22
	s_and_b64 s[0:1], s[16:17], s[2:3]
	v_lshlrev_b64 v[10:11], 2, v[8:9]
	v_mul_lo_u32 v20, v19, s8
	v_cndmask_b32_e64 v1, 4, v1, s[0:1]
	s_waitcnt lgkmcnt(0)
	v_mov_b32_e32 v9, s5
	v_add_co_u32_e64 v8, s[0:1], s4, v10
	v_addc_co_u32_e64 v9, s[0:1], v9, v11, s[0:1]
	v_ashrrev_i32_e32 v21, 31, v20
	global_store_dword v[8:9], v1, off
	v_lshlrev_b64 v[8:9], 2, v[20:21]
	v_mov_b32_e32 v1, s7
	v_add_co_u32_e64 v20, s[0:1], s6, v8
	v_addc_co_u32_e64 v21, s[0:1], v1, v9, s[0:1]
	v_mov_b32_e32 v1, 0xff800000
	v_cmp_ne_u32_e64 s[0:1], 3, v22
	v_cndmask_b32_e64 v3, v1, v3, s[0:1]
	v_cmp_ne_u32_e64 s[0:1], 2, v22
	v_cndmask_b32_e64 v2, v1, v2, s[0:1]
	v_cmp_ne_u32_e64 s[0:1], 1, v22
	v_cndmask_b32_e64 v7, v1, v7, s[0:1]
	v_cmp_ne_u32_e64 s[0:1], 0, v22
	s_cmp_eq_u32 s8, 1
	v_cndmask_b32_e64 v6, v1, v6, s[0:1]
	global_store_dword v[14:15], v16, off
	global_store_dword v[20:21], v19, off
	s_cbranch_scc1 .LBB129_8
; %bb.6:
	v_mov_b32_e32 v12, s7
	v_add_co_u32_e64 v8, s[0:1], s6, v8
	v_addc_co_u32_e64 v9, s[0:1], v9, v12, s[0:1]
	v_add_co_u32_e64 v8, s[0:1], 4, v8
	v_addc_co_u32_e64 v9, s[0:1], 0, v9, s[0:1]
	v_mov_b32_e32 v12, s5
	v_add_co_u32_e64 v10, s[0:1], s4, v10
	v_addc_co_u32_e64 v11, s[0:1], v11, v12, s[0:1]
	v_mov_b32_e32 v12, s13
	v_addc_co_u32_e32 v13, vcc, v13, v12, vcc
	v_add_co_u32_e64 v10, s[0:1], 4, v10
	v_add_co_u32_e32 v12, vcc, 4, v14
	s_add_i32 s23, s23, s22
	v_addc_co_u32_e64 v11, s[0:1], 0, v11, s[0:1]
	v_addc_co_u32_e32 v13, vcc, 0, v13, vcc
	s_add_i32 s4, s8, -1
	v_add3_u32 v14, s23, v18, v17
	s_mov_b32 s5, 0x3fb8aa3b
	s_mov_b32 s6, 0xc2ce8ed0
	;; [unrolled: 1-line block ×3, first 2 shown]
	v_mov_b32_e32 v15, 0x7f800000
.LBB129_7:                              ; =>This Inner Loop Header: Depth=1
	v_cmp_gt_f32_e32 vcc, v7, v6
	v_cndmask_b32_e32 v17, v6, v7, vcc
	v_cmp_gt_f32_e64 s[0:1], v2, v17
	v_cndmask_b32_e64 v17, v17, v2, s[0:1]
	v_cndmask_b32_e64 v18, 0, 1, vcc
	v_cmp_gt_f32_e32 vcc, v3, v17
	v_cndmask_b32_e64 v18, v18, 2, s[0:1]
	v_cndmask_b32_e64 v18, v18, 3, vcc
	v_cndmask_b32_e32 v17, v17, v3, vcc
	v_cmp_ne_u32_e64 s[2:3], 3, v18
	v_sub_f32_e32 v17, v17, v4
	v_cndmask_b32_e64 v3, v1, v3, s[2:3]
	v_cmp_ne_u32_e64 s[2:3], 2, v18
	v_cmp_le_i32_e32 vcc, s9, v18
	v_cmp_gt_i32_e64 s[0:1], s10, v18
	v_mul_f32_e32 v19, 0x3fb8aa3b, v17
	v_cndmask_b32_e64 v2, v1, v2, s[2:3]
	v_cmp_ne_u32_e64 s[2:3], 1, v18
	v_subrev_u32_e32 v20, s9, v18
	v_cndmask_b32_e64 v7, v1, v7, s[2:3]
	v_cmp_ne_u32_e64 s[2:3], 0, v18
	s_and_b64 s[0:1], vcc, s[0:1]
	v_fma_f32 v18, v17, s5, -v19
	v_rndne_f32_e32 v21, v19
	v_fmac_f32_e32 v18, 0x32a5705f, v17
	v_sub_f32_e32 v19, v19, v21
	s_and_b64 vcc, s[16:17], s[0:1]
	v_cndmask_b32_e32 v20, 4, v20, vcc
	v_add_f32_e32 v18, v19, v18
	v_cvt_i32_f32_e32 v21, v21
	global_store_dword v[10:11], v20, off
	global_store_dword v[8:9], v14, off
	v_add_co_u32_e32 v8, vcc, 4, v8
	v_exp_f32_e32 v18, v18
	v_addc_co_u32_e32 v9, vcc, 0, v9, vcc
	v_add_co_u32_e32 v10, vcc, 4, v10
	v_addc_co_u32_e32 v11, vcc, 0, v11, vcc
	v_ldexp_f32 v18, v18, v21
	v_cmp_ngt_f32_e32 vcc, s6, v17
	v_cndmask_b32_e32 v18, 0, v18, vcc
	v_cmp_nlt_f32_e32 vcc, s7, v17
	v_cndmask_b32_e32 v17, v15, v18, vcc
	s_add_i32 s4, s4, -1
	global_store_dword v[12:13], v17, off
	v_add_co_u32_e32 v12, vcc, 4, v12
	v_cndmask_b32_e64 v6, v1, v6, s[2:3]
	v_add_u32_e32 v14, s22, v14
	s_cmp_eq_u32 s4, 0
	v_add_f32_e32 v16, v16, v17
	v_addc_co_u32_e32 v13, vcc, 0, v13, vcc
	s_cbranch_scc0 .LBB129_7
.LBB129_8:
	v_pk_add_f32 v[6:7], v[6:7], v[4:5] op_sel_hi:[1,0] neg_lo:[0,1] neg_hi:[0,1]
	v_mul_f32_e32 v1, 0x3fb8aa3b, v7
	v_fma_f32 v8, v7, s20, -v1
	v_rndne_f32_e32 v9, v1
	v_fmac_f32_e32 v8, 0x32a5705f, v7
	v_sub_f32_e32 v1, v1, v9
	v_add_f32_e32 v1, v1, v8
	v_cvt_i32_f32_e32 v8, v9
	v_exp_f32_e32 v1, v1
	v_cmp_ngt_f32_e32 vcc, s19, v7
	v_sub_f32_e32 v2, v2, v4
	v_sub_f32_e32 v3, v3, v4
	v_ldexp_f32 v1, v1, v8
	v_mul_f32_e32 v8, 0x3fb8aa3b, v6
	v_fma_f32 v9, v6, s20, -v8
	v_rndne_f32_e32 v10, v8
	v_fmac_f32_e32 v9, 0x32a5705f, v6
	v_sub_f32_e32 v8, v8, v10
	v_add_f32_e32 v8, v8, v9
	v_exp_f32_e32 v8, v8
	v_cvt_i32_f32_e32 v9, v10
	v_cndmask_b32_e32 v1, 0, v1, vcc
	v_cmp_nlt_f32_e32 vcc, s21, v7
	v_cndmask_b32_e32 v1, v5, v1, vcc
	v_ldexp_f32 v7, v8, v9
	v_mul_f32_e32 v8, 0x3fb8aa3b, v2
	v_fma_f32 v9, v2, s20, -v8
	v_rndne_f32_e32 v10, v8
	v_fmac_f32_e32 v9, 0x32a5705f, v2
	v_sub_f32_e32 v8, v8, v10
	v_add_f32_e32 v8, v8, v9
	v_exp_f32_e32 v8, v8
	v_cvt_i32_f32_e32 v9, v10
	v_cmp_ngt_f32_e32 vcc, s19, v6
	v_cndmask_b32_e32 v7, 0, v7, vcc
	v_cmp_nlt_f32_e32 vcc, s21, v6
	v_cndmask_b32_e32 v6, v5, v7, vcc
	v_mul_f32_e32 v4, 0x3fb8aa3b, v3
	v_add_f32_e32 v1, v6, v1
	v_ldexp_f32 v6, v8, v9
	v_fma_f32 v7, v3, s20, -v4
	v_rndne_f32_e32 v8, v4
	v_fmac_f32_e32 v7, 0x32a5705f, v3
	v_sub_f32_e32 v4, v4, v8
	v_add_f32_e32 v4, v4, v7
	v_exp_f32_e32 v4, v4
	v_cvt_i32_f32_e32 v7, v8
	v_cmp_ngt_f32_e32 vcc, s19, v2
	v_cndmask_b32_e32 v6, 0, v6, vcc
	v_cmp_nlt_f32_e32 vcc, s21, v2
	v_cndmask_b32_e32 v2, v5, v6, vcc
	v_add_f32_e32 v1, v1, v2
	v_ldexp_f32 v2, v4, v7
	v_cmp_ngt_f32_e32 vcc, s19, v3
	v_cndmask_b32_e32 v2, 0, v2, vcc
	v_cmp_nlt_f32_e32 vcc, s21, v3
	v_cndmask_b32_e32 v2, v5, v2, vcc
	v_add_f32_e32 v1, v1, v2
	v_add_f32_e32 v1, v16, v1
	v_cmp_neq_f32_e32 vcc, 0, v1
	s_and_b64 exec, exec, vcc
	s_cbranch_execz .LBB129_19
; %bb.9:
	s_andn2_b64 vcc, exec, s[14:15]
	s_cbranch_vccnz .LBB129_19
; %bb.10:
	v_div_scale_f32 v2, s[0:1], v1, v1, 1.0
	v_rcp_f32_e32 v3, v2
	v_div_scale_f32 v4, vcc, 1.0, v1, 1.0
	s_cmp_gt_u32 s8, 3
	v_fma_f32 v5, -v2, v3, 1.0
	v_fmac_f32_e32 v3, v5, v3
	v_mul_f32_e32 v5, v4, v3
	v_fma_f32 v6, -v2, v5, v4
	v_fmac_f32_e32 v5, v6, v3
	v_fma_f32 v2, -v2, v5, v4
	v_div_fmas_f32 v2, v2, v3, v5
	v_div_fixup_f32 v2, v2, v1, 1.0
	v_ashrrev_i32_e32 v1, 31, v0
	s_cbranch_scc0 .LBB129_14
; %bb.11:
	v_lshlrev_b64 v[4:5], 2, v[0:1]
	v_mov_b32_e32 v6, s13
	v_add_co_u32_e32 v4, vcc, s12, v4
	v_addc_co_u32_e32 v5, vcc, v5, v6, vcc
	s_and_b32 s4, s8, 0x7ffffffc
	v_add_co_u32_e32 v4, vcc, 8, v4
	v_mov_b32_e32 v3, v2
	v_addc_co_u32_e32 v5, vcc, 0, v5, vcc
	s_mov_b32 s0, s4
.LBB129_12:                             ; =>This Inner Loop Header: Depth=1
	global_load_dwordx4 v[6:9], v[4:5], off offset:-8
	s_add_i32 s0, s0, -4
	s_cmp_lg_u32 s0, 0
	s_waitcnt vmcnt(0)
	v_pk_mul_f32 v[6:7], v[2:3], v[6:7]
	v_pk_mul_f32 v[8:9], v[2:3], v[8:9]
	global_store_dwordx4 v[4:5], v[6:9], off offset:-8
	v_add_co_u32_e32 v4, vcc, 16, v4
	v_addc_co_u32_e32 v5, vcc, 0, v5, vcc
	s_cbranch_scc1 .LBB129_12
; %bb.13:
	s_cmp_lg_u32 s4, s8
	s_cselect_b64 s[0:1], -1, 0
	s_branch .LBB129_16
.LBB129_14:
	s_mov_b64 s[0:1], 0
                                        ; implicit-def: $sgpr4
	s_cbranch_execz .LBB129_16
; %bb.15:
	s_mov_b64 s[0:1], -1
	s_mov_b32 s4, 0
.LBB129_16:
	s_andn2_b64 vcc, exec, s[0:1]
	s_cbranch_vccnz .LBB129_19
; %bb.17:
	v_add_co_u32_e32 v0, vcc, s4, v0
	v_addc_co_u32_e32 v1, vcc, 0, v1, vcc
	v_lshlrev_b64 v[0:1], 2, v[0:1]
	v_mov_b32_e32 v3, s13
	v_add_co_u32_e32 v0, vcc, s12, v0
	s_sub_i32 s0, s8, s4
	v_addc_co_u32_e32 v1, vcc, v3, v1, vcc
.LBB129_18:                             ; =>This Inner Loop Header: Depth=1
	global_load_dword v3, v[0:1], off
	s_add_i32 s0, s0, -1
	s_cmp_lg_u32 s0, 0
	s_waitcnt vmcnt(0)
	v_mul_f32_e32 v3, v2, v3
	global_store_dword v[0:1], v3, off
	v_add_co_u32_e32 v0, vcc, 4, v0
	v_addc_co_u32_e32 v1, vcc, 0, v1, vcc
	s_cbranch_scc1 .LBB129_18
.LBB129_19:
	s_endpgm
	.section	.rodata,"a",@progbits
	.p2align	6, 0x0
	.amdhsa_kernel _ZN4vllm3moe17topkGatingSoftmaxIDF16_Li4ELi4ELi8ELi8ELb0ELi1ELNS0_23SharedExpertScoringFuncE1EEEvPKT_PKbPfiPiS9_iiiiii
		.amdhsa_group_segment_fixed_size 0
		.amdhsa_private_segment_fixed_size 0
		.amdhsa_kernarg_size 72
		.amdhsa_user_sgpr_count 6
		.amdhsa_user_sgpr_private_segment_buffer 1
		.amdhsa_user_sgpr_dispatch_ptr 0
		.amdhsa_user_sgpr_queue_ptr 0
		.amdhsa_user_sgpr_kernarg_segment_ptr 1
		.amdhsa_user_sgpr_dispatch_id 0
		.amdhsa_user_sgpr_flat_scratch_init 0
		.amdhsa_user_sgpr_kernarg_preload_length 0
		.amdhsa_user_sgpr_kernarg_preload_offset 0
		.amdhsa_user_sgpr_private_segment_size 0
		.amdhsa_uses_dynamic_stack 0
		.amdhsa_system_sgpr_private_segment_wavefront_offset 0
		.amdhsa_system_sgpr_workgroup_id_x 1
		.amdhsa_system_sgpr_workgroup_id_y 0
		.amdhsa_system_sgpr_workgroup_id_z 0
		.amdhsa_system_sgpr_workgroup_info 0
		.amdhsa_system_vgpr_workitem_id 1
		.amdhsa_next_free_vgpr 23
		.amdhsa_next_free_sgpr 24
		.amdhsa_accum_offset 24
		.amdhsa_reserve_vcc 1
		.amdhsa_reserve_flat_scratch 0
		.amdhsa_float_round_mode_32 0
		.amdhsa_float_round_mode_16_64 0
		.amdhsa_float_denorm_mode_32 3
		.amdhsa_float_denorm_mode_16_64 3
		.amdhsa_dx10_clamp 1
		.amdhsa_ieee_mode 1
		.amdhsa_fp16_overflow 0
		.amdhsa_tg_split 0
		.amdhsa_exception_fp_ieee_invalid_op 0
		.amdhsa_exception_fp_denorm_src 0
		.amdhsa_exception_fp_ieee_div_zero 0
		.amdhsa_exception_fp_ieee_overflow 0
		.amdhsa_exception_fp_ieee_underflow 0
		.amdhsa_exception_fp_ieee_inexact 0
		.amdhsa_exception_int_div_zero 0
	.end_amdhsa_kernel
	.section	.text._ZN4vllm3moe17topkGatingSoftmaxIDF16_Li4ELi4ELi8ELi8ELb0ELi1ELNS0_23SharedExpertScoringFuncE1EEEvPKT_PKbPfiPiS9_iiiiii,"axG",@progbits,_ZN4vllm3moe17topkGatingSoftmaxIDF16_Li4ELi4ELi8ELi8ELb0ELi1ELNS0_23SharedExpertScoringFuncE1EEEvPKT_PKbPfiPiS9_iiiiii,comdat
.Lfunc_end129:
	.size	_ZN4vllm3moe17topkGatingSoftmaxIDF16_Li4ELi4ELi8ELi8ELb0ELi1ELNS0_23SharedExpertScoringFuncE1EEEvPKT_PKbPfiPiS9_iiiiii, .Lfunc_end129-_ZN4vllm3moe17topkGatingSoftmaxIDF16_Li4ELi4ELi8ELi8ELb0ELi1ELNS0_23SharedExpertScoringFuncE1EEEvPKT_PKbPfiPiS9_iiiiii
                                        ; -- End function
	.section	.AMDGPU.csdata,"",@progbits
; Kernel info:
; codeLenInByte = 1932
; NumSgprs: 28
; NumVgprs: 23
; NumAgprs: 0
; TotalNumVgprs: 23
; ScratchSize: 0
; MemoryBound: 0
; FloatMode: 240
; IeeeMode: 1
; LDSByteSize: 0 bytes/workgroup (compile time only)
; SGPRBlocks: 3
; VGPRBlocks: 2
; NumSGPRsForWavesPerEU: 28
; NumVGPRsForWavesPerEU: 23
; AccumOffset: 24
; Occupancy: 8
; WaveLimiterHint : 0
; COMPUTE_PGM_RSRC2:SCRATCH_EN: 0
; COMPUTE_PGM_RSRC2:USER_SGPR: 6
; COMPUTE_PGM_RSRC2:TRAP_HANDLER: 0
; COMPUTE_PGM_RSRC2:TGID_X_EN: 1
; COMPUTE_PGM_RSRC2:TGID_Y_EN: 0
; COMPUTE_PGM_RSRC2:TGID_Z_EN: 0
; COMPUTE_PGM_RSRC2:TIDIG_COMP_CNT: 1
; COMPUTE_PGM_RSRC3_GFX90A:ACCUM_OFFSET: 5
; COMPUTE_PGM_RSRC3_GFX90A:TG_SPLIT: 0
	.section	.text._ZN4vllm3moe17topkGatingSoftmaxIDF16_Li4ELi4ELi8ELi8ELb1ELi2ELNS0_23SharedExpertScoringFuncE1EEEvPKT_PKbPfiPiS9_iiiiii,"axG",@progbits,_ZN4vllm3moe17topkGatingSoftmaxIDF16_Li4ELi4ELi8ELi8ELb1ELi2ELNS0_23SharedExpertScoringFuncE1EEEvPKT_PKbPfiPiS9_iiiiii,comdat
	.protected	_ZN4vllm3moe17topkGatingSoftmaxIDF16_Li4ELi4ELi8ELi8ELb1ELi2ELNS0_23SharedExpertScoringFuncE1EEEvPKT_PKbPfiPiS9_iiiiii ; -- Begin function _ZN4vllm3moe17topkGatingSoftmaxIDF16_Li4ELi4ELi8ELi8ELb1ELi2ELNS0_23SharedExpertScoringFuncE1EEEvPKT_PKbPfiPiS9_iiiiii
	.globl	_ZN4vllm3moe17topkGatingSoftmaxIDF16_Li4ELi4ELi8ELi8ELb1ELi2ELNS0_23SharedExpertScoringFuncE1EEEvPKT_PKbPfiPiS9_iiiiii
	.p2align	8
	.type	_ZN4vllm3moe17topkGatingSoftmaxIDF16_Li4ELi4ELi8ELi8ELb1ELi2ELNS0_23SharedExpertScoringFuncE1EEEvPKT_PKbPfiPiS9_iiiiii,@function
_ZN4vllm3moe17topkGatingSoftmaxIDF16_Li4ELi4ELi8ELi8ELb1ELi2ELNS0_23SharedExpertScoringFuncE1EEEvPKT_PKbPfiPiS9_iiiiii: ; @_ZN4vllm3moe17topkGatingSoftmaxIDF16_Li4ELi4ELi8ELi8ELb1ELi2ELNS0_23SharedExpertScoringFuncE1EEEvPKT_PKbPfiPiS9_iiiiii
; %bb.0:
	s_load_dword s18, s[4:5], 0x18
	v_bfe_u32 v1, v0, 10, 10
	s_lshl_b32 s19, s6, 9
	v_lshlrev_b32_e32 v15, 6, v1
	v_and_b32_e32 v16, 0x3ff, v0
	v_add3_u32 v3, v15, v16, s19
	s_waitcnt lgkmcnt(0)
	v_cmp_gt_i32_e32 vcc, s18, v3
	s_and_saveexec_b64 s[0:1], vcc
	s_cbranch_execz .LBB130_19
; %bb.1:
	s_load_dwordx4 s[0:3], s[4:5], 0x0
	s_load_dwordx2 s[12:13], s[4:5], 0x10
	s_waitcnt lgkmcnt(0)
	s_cmp_eq_u64 s[2:3], 0
	s_cbranch_scc1 .LBB130_3
; %bb.2:
	v_ashrrev_i32_e32 v1, 31, v3
	v_mov_b32_e32 v2, s3
	v_add_co_u32_e32 v0, vcc, s2, v3
	v_addc_co_u32_e32 v1, vcc, v2, v1, vcc
	global_load_ubyte v0, v[0:1], off
	s_waitcnt vmcnt(0)
	v_and_b32_e32 v0, 1, v0
	v_cmp_eq_u32_e32 vcc, 1, v0
	s_xor_b64 s[2:3], vcc, -1
	s_orn2_b64 s[14:15], s[2:3], exec
	s_branch .LBB130_4
.LBB130_3:
	s_mov_b64 s[14:15], -1
.LBB130_4:
	s_load_dwordx2 s[2:3], s[4:5], 0x40
	s_load_dwordx4 s[8:11], s[4:5], 0x30
	v_mov_b32_e32 v2, s1
	s_mov_b32 s20, 0x3fb8aa3b
	v_mov_b32_e32 v8, s13
	s_waitcnt lgkmcnt(0)
	v_mul_lo_u32 v0, v3, s3
	v_ashrrev_i32_e32 v1, 31, v0
	v_lshlrev_b64 v[0:1], 1, v[0:1]
	v_add_co_u32_e32 v0, vcc, s0, v0
	v_addc_co_u32_e32 v1, vcc, v2, v1, vcc
	global_load_dwordx3 v[0:2], v[0:1], off
	s_mov_b32 s0, 0x32a5705f
	v_mul_lo_u32 v4, v3, s11
	v_add_u32_e32 v6, s8, v4
	v_ashrrev_i32_e32 v7, 31, v6
	v_lshlrev_b64 v[6:7], 2, v[6:7]
	v_add_co_u32_e32 v6, vcc, s12, v6
	s_mov_b32 s3, 0xc2ce8ed0
	v_addc_co_u32_e32 v7, vcc, v8, v7, vcc
	s_mov_b32 s21, 0x42b17218
	v_mov_b32_e32 v5, 0x7f800000
	s_cmp_gt_i32 s8, 0
	v_mov_b32_e32 v14, 0
	s_cselect_b64 s[16:17], -1, 0
	s_cmp_lt_i32 s8, 1
	s_waitcnt vmcnt(0)
	v_cvt_f32_f16_e64 v9, -v2
	v_cvt_f32_f16_sdwa v10, -v2 dst_sel:DWORD dst_unused:UNUSED_PAD src0_sel:WORD_1
	v_mul_f32_e32 v11, 0x3fb8aa3b, v9
	v_mul_f32_e32 v12, 0x3fb8aa3b, v10
	v_fma_mix_f32 v13, -v2, s20, -v11 op_sel_hi:[1,0,0]
	v_rndne_f32_e32 v17, v11
	v_fma_mix_f32 v18, -v2, s20, -v12 op_sel:[1,0,0] op_sel_hi:[1,0,0]
	v_rndne_f32_e32 v19, v12
	v_fma_mix_f32 v13, -v2, s0, v13 op_sel_hi:[1,0,0]
	v_sub_f32_e32 v11, v11, v17
	v_fma_mix_f32 v2, -v2, s0, v18 op_sel:[1,0,0] op_sel_hi:[1,0,0]
	v_sub_f32_e32 v12, v12, v19
	v_add_f32_e32 v11, v11, v13
	v_cvt_i32_f32_e32 v17, v17
	v_add_f32_e32 v2, v12, v2
	v_exp_f32_e32 v11, v11
	v_cvt_i32_f32_e32 v18, v19
	v_exp_f32_e32 v2, v2
	v_cmp_ngt_f32_e32 vcc, s3, v9
	v_ldexp_f32 v8, v11, v17
	v_cndmask_b32_e32 v8, 0, v8, vcc
	v_ldexp_f32 v2, v2, v18
	v_cmp_ngt_f32_e32 vcc, s3, v10
	v_cndmask_b32_e32 v2, 0, v2, vcc
	v_cmp_nlt_f32_e32 vcc, s21, v9
	v_cndmask_b32_e32 v8, v5, v8, vcc
	v_cmp_nlt_f32_e32 vcc, s21, v10
	v_cndmask_b32_e32 v9, v5, v2, vcc
	v_pk_add_f32 v[8:9], v[8:9], 1.0 op_sel_hi:[1,0]
	v_div_scale_f32 v2, s[0:1], v9, v9, 1.0
	v_div_scale_f32 v11, s[0:1], v8, v8, 1.0
	v_rcp_f32_e32 v12, v2
	v_rcp_f32_e32 v13, v11
	v_div_scale_f32 v10, vcc, 1.0, v9, 1.0
	v_fma_f32 v18, -v2, v12, 1.0
	v_fma_f32 v19, -v11, v13, 1.0
	v_fmac_f32_e32 v12, v18, v12
	v_div_scale_f32 v17, s[0:1], 1.0, v8, 1.0
	v_fmac_f32_e32 v13, v19, v13
	v_mul_f32_e32 v18, v10, v12
	v_mul_f32_e32 v19, v17, v13
	v_fma_f32 v20, -v2, v18, v10
	v_fma_f32 v21, -v11, v19, v17
	v_fmac_f32_e32 v18, v20, v12
	v_fmac_f32_e32 v19, v21, v13
	v_fma_f32 v2, -v2, v18, v10
	v_fma_f32 v10, -v11, v19, v17
	v_div_fmas_f32 v2, v2, v12, v18
	s_mov_b64 vcc, s[0:1]
	v_div_fixup_f32 v9, v2, v9, 1.0
	v_div_fmas_f32 v2, v10, v13, v19
	v_div_fixup_f32 v8, v2, v8, 1.0
	global_store_dwordx2 v[6:7], v[8:9], off
	s_cbranch_scc1 .LBB130_8
; %bb.5:
	v_cvt_f32_f16_e32 v18, v0
	v_cvt_f32_f16_sdwa v19, v0 dst_sel:DWORD dst_unused:UNUSED_PAD src0_sel:WORD_1
	v_cvt_f32_f16_sdwa v2, v1 dst_sel:DWORD dst_unused:UNUSED_PAD src0_sel:WORD_1
	v_cvt_f32_f16_e32 v1, v1
	v_cmp_lt_f16_sdwa vcc, v0, v0 src0_sel:DWORD src1_sel:WORD_1
	v_cndmask_b32_e32 v6, v18, v19, vcc
	v_cndmask_b32_e64 v0, 0, 1, vcc
	v_cmp_lt_f32_e32 vcc, v6, v1
	v_cndmask_b32_e32 v6, v6, v1, vcc
	v_cndmask_b32_e64 v0, v0, 2, vcc
	v_cmp_lt_f32_e32 vcc, v6, v2
	v_cndmask_b32_e32 v17, v6, v2, vcc
	v_sub_f32_e32 v7, v17, v17
	v_mul_f32_e32 v8, 0x3fb8aa3b, v7
	v_fma_f32 v9, v7, s20, -v8
	v_rndne_f32_e32 v10, v8
	v_fmac_f32_e32 v9, 0x32a5705f, v7
	v_sub_f32_e32 v8, v8, v10
	v_add_f32_e32 v8, v8, v9
	v_exp_f32_e32 v8, v8
	v_cvt_i32_f32_e32 v9, v10
	v_cndmask_b32_e64 v0, v0, 3, vcc
	v_cmp_le_i32_e32 vcc, s9, v0
	v_cmp_gt_i32_e64 s[0:1], s10, v0
	s_and_b64 s[22:23], vcc, s[0:1]
	v_ldexp_f32 v8, v8, v9
	v_cmp_ngt_f32_e32 vcc, s3, v7
	v_cndmask_b32_e32 v8, 0, v8, vcc
	v_cmp_nlt_f32_e32 vcc, s21, v7
	s_load_dwordx4 s[4:7], s[4:5], 0x20
	v_cndmask_b32_e32 v14, v5, v8, vcc
	v_ashrrev_i32_e32 v5, 31, v4
	v_lshlrev_b64 v[10:11], 2, v[4:5]
	v_mul_lo_u32 v6, v3, s2
	v_mov_b32_e32 v5, s13
	v_add_co_u32_e32 v12, vcc, s12, v10
	v_addc_co_u32_e64 v13, s[0:1], v5, v11, vcc
	v_ashrrev_i32_e32 v7, 31, v6
	v_subrev_u32_e32 v5, s9, v0
	s_and_b64 s[0:1], s[14:15], s[22:23]
	v_lshlrev_b64 v[8:9], 2, v[6:7]
	v_mul_lo_u32 v20, v3, s8
	v_cndmask_b32_e64 v5, 4, v5, s[0:1]
	s_waitcnt lgkmcnt(0)
	v_mov_b32_e32 v7, s5
	v_add_co_u32_e64 v6, s[0:1], s4, v8
	v_addc_co_u32_e64 v7, s[0:1], v7, v9, s[0:1]
	v_ashrrev_i32_e32 v21, 31, v20
	global_store_dword v[6:7], v5, off
	v_lshlrev_b64 v[6:7], 2, v[20:21]
	v_mov_b32_e32 v5, s7
	v_add_co_u32_e64 v20, s[0:1], s6, v6
	v_addc_co_u32_e64 v21, s[0:1], v5, v7, s[0:1]
	s_cmp_eq_u32 s8, 1
	global_store_dword v[12:13], v14, off
	global_store_dword v[20:21], v3, off
	s_cbranch_scc1 .LBB130_8
; %bb.6:
	v_mov_b32_e32 v5, 0xff800000
	v_cmp_ne_u32_e64 s[0:1], 3, v0
	v_cndmask_b32_e64 v3, v5, v2, s[0:1]
	v_cmp_ne_u32_e64 s[0:1], 2, v0
	v_cndmask_b32_e64 v2, v5, v1, s[0:1]
	;; [unrolled: 2-line block ×4, first 2 shown]
	v_mov_b32_e32 v10, s7
	v_add_co_u32_e64 v6, s[0:1], s6, v6
	v_addc_co_u32_e64 v7, s[0:1], v7, v10, s[0:1]
	v_add_co_u32_e64 v6, s[0:1], 4, v6
	v_addc_co_u32_e64 v7, s[0:1], 0, v7, s[0:1]
	v_mov_b32_e32 v10, s5
	v_add_co_u32_e64 v8, s[0:1], s4, v8
	v_addc_co_u32_e64 v9, s[0:1], v9, v10, s[0:1]
	v_mov_b32_e32 v10, s13
	v_addc_co_u32_e32 v11, vcc, v11, v10, vcc
	v_add_co_u32_e64 v8, s[0:1], 4, v8
	v_add_co_u32_e32 v10, vcc, 4, v12
	s_add_i32 s19, s19, s18
	v_addc_co_u32_e64 v9, s[0:1], 0, v9, s[0:1]
	v_addc_co_u32_e32 v11, vcc, 0, v11, vcc
	s_add_i32 s4, s8, -1
	v_add3_u32 v12, s19, v16, v15
	s_mov_b32 s5, 0x3fb8aa3b
	s_mov_b32 s6, 0xc2ce8ed0
	s_mov_b32 s7, 0x42b17218
	v_mov_b32_e32 v13, 0x7f800000
.LBB130_7:                              ; =>This Inner Loop Header: Depth=1
	v_cmp_gt_f32_e32 vcc, v1, v0
	v_cndmask_b32_e32 v15, v0, v1, vcc
	v_cmp_gt_f32_e64 s[0:1], v2, v15
	v_cndmask_b32_e64 v15, v15, v2, s[0:1]
	v_cndmask_b32_e64 v16, 0, 1, vcc
	v_cmp_gt_f32_e32 vcc, v3, v15
	v_cndmask_b32_e64 v16, v16, 2, s[0:1]
	v_cndmask_b32_e64 v16, v16, 3, vcc
	v_cndmask_b32_e32 v15, v15, v3, vcc
	v_cmp_ne_u32_e64 s[2:3], 3, v16
	v_sub_f32_e32 v15, v15, v17
	v_cndmask_b32_e64 v3, v5, v3, s[2:3]
	v_cmp_ne_u32_e64 s[2:3], 2, v16
	v_cmp_le_i32_e32 vcc, s9, v16
	v_cmp_gt_i32_e64 s[0:1], s10, v16
	v_mul_f32_e32 v18, 0x3fb8aa3b, v15
	v_cndmask_b32_e64 v2, v5, v2, s[2:3]
	v_cmp_ne_u32_e64 s[2:3], 1, v16
	v_subrev_u32_e32 v19, s9, v16
	v_cndmask_b32_e64 v1, v5, v1, s[2:3]
	v_cmp_ne_u32_e64 s[2:3], 0, v16
	s_and_b64 s[0:1], vcc, s[0:1]
	v_fma_f32 v16, v15, s5, -v18
	v_rndne_f32_e32 v20, v18
	v_fmac_f32_e32 v16, 0x32a5705f, v15
	v_sub_f32_e32 v18, v18, v20
	s_and_b64 vcc, s[14:15], s[0:1]
	v_cndmask_b32_e32 v19, 4, v19, vcc
	v_add_f32_e32 v16, v18, v16
	v_cvt_i32_f32_e32 v20, v20
	global_store_dword v[8:9], v19, off
	global_store_dword v[6:7], v12, off
	v_add_co_u32_e32 v6, vcc, 4, v6
	v_exp_f32_e32 v16, v16
	v_addc_co_u32_e32 v7, vcc, 0, v7, vcc
	v_add_co_u32_e32 v8, vcc, 4, v8
	v_addc_co_u32_e32 v9, vcc, 0, v9, vcc
	v_ldexp_f32 v16, v16, v20
	v_cmp_ngt_f32_e32 vcc, s6, v15
	v_cndmask_b32_e32 v16, 0, v16, vcc
	v_cmp_nlt_f32_e32 vcc, s7, v15
	v_cndmask_b32_e32 v15, v13, v16, vcc
	s_add_i32 s4, s4, -1
	global_store_dword v[10:11], v15, off
	v_add_co_u32_e32 v10, vcc, 4, v10
	v_cndmask_b32_e64 v0, v5, v0, s[2:3]
	v_add_u32_e32 v12, s18, v12
	s_cmp_eq_u32 s4, 0
	v_add_f32_e32 v14, v14, v15
	v_addc_co_u32_e32 v11, vcc, 0, v11, vcc
	s_cbranch_scc0 .LBB130_7
.LBB130_8:
	v_cmp_neq_f32_e32 vcc, 0, v14
	s_and_b64 exec, exec, vcc
	s_cbranch_execz .LBB130_19
; %bb.9:
	s_andn2_b64 vcc, exec, s[16:17]
	s_cbranch_vccnz .LBB130_19
; %bb.10:
	v_div_scale_f32 v0, s[0:1], v14, v14, 1.0
	v_rcp_f32_e32 v1, v0
	v_div_scale_f32 v2, vcc, 1.0, v14, 1.0
	s_cmp_gt_u32 s8, 3
	v_fma_f32 v3, -v0, v1, 1.0
	v_fmac_f32_e32 v1, v3, v1
	v_mul_f32_e32 v3, v2, v1
	v_fma_f32 v5, -v0, v3, v2
	v_fmac_f32_e32 v3, v5, v1
	v_fma_f32 v0, -v0, v3, v2
	v_div_fmas_f32 v0, v0, v1, v3
	v_div_fixup_f32 v0, v0, v14, 1.0
	v_ashrrev_i32_e32 v5, 31, v4
	s_cbranch_scc0 .LBB130_14
; %bb.11:
	v_lshlrev_b64 v[2:3], 2, v[4:5]
	v_mov_b32_e32 v6, s13
	v_add_co_u32_e32 v2, vcc, s12, v2
	v_addc_co_u32_e32 v3, vcc, v3, v6, vcc
	s_and_b32 s4, s8, 0x7ffffffc
	v_add_co_u32_e32 v2, vcc, 8, v2
	v_mov_b32_e32 v1, v0
	v_addc_co_u32_e32 v3, vcc, 0, v3, vcc
	s_mov_b32 s0, s4
.LBB130_12:                             ; =>This Inner Loop Header: Depth=1
	global_load_dwordx4 v[6:9], v[2:3], off offset:-8
	s_add_i32 s0, s0, -4
	s_cmp_lg_u32 s0, 0
	s_waitcnt vmcnt(0)
	v_pk_mul_f32 v[6:7], v[0:1], v[6:7]
	v_pk_mul_f32 v[8:9], v[0:1], v[8:9]
	global_store_dwordx4 v[2:3], v[6:9], off offset:-8
	v_add_co_u32_e32 v2, vcc, 16, v2
	v_addc_co_u32_e32 v3, vcc, 0, v3, vcc
	s_cbranch_scc1 .LBB130_12
; %bb.13:
	s_cmp_lg_u32 s4, s8
	s_cselect_b64 s[0:1], -1, 0
	s_branch .LBB130_16
.LBB130_14:
	s_mov_b64 s[0:1], 0
                                        ; implicit-def: $sgpr4
	s_cbranch_execz .LBB130_16
; %bb.15:
	s_mov_b64 s[0:1], -1
	s_mov_b32 s4, 0
.LBB130_16:
	s_andn2_b64 vcc, exec, s[0:1]
	s_cbranch_vccnz .LBB130_19
; %bb.17:
	v_add_co_u32_e32 v2, vcc, s4, v4
	v_addc_co_u32_e32 v3, vcc, 0, v5, vcc
	v_lshlrev_b64 v[2:3], 2, v[2:3]
	v_mov_b32_e32 v1, s13
	v_add_co_u32_e32 v2, vcc, s12, v2
	s_sub_i32 s0, s8, s4
	v_addc_co_u32_e32 v3, vcc, v1, v3, vcc
.LBB130_18:                             ; =>This Inner Loop Header: Depth=1
	global_load_dword v1, v[2:3], off
	s_add_i32 s0, s0, -1
	s_cmp_lg_u32 s0, 0
	s_waitcnt vmcnt(0)
	v_mul_f32_e32 v1, v0, v1
	global_store_dword v[2:3], v1, off
	v_add_co_u32_e32 v2, vcc, 4, v2
	v_addc_co_u32_e32 v3, vcc, 0, v3, vcc
	s_cbranch_scc1 .LBB130_18
.LBB130_19:
	s_endpgm
	.section	.rodata,"a",@progbits
	.p2align	6, 0x0
	.amdhsa_kernel _ZN4vllm3moe17topkGatingSoftmaxIDF16_Li4ELi4ELi8ELi8ELb1ELi2ELNS0_23SharedExpertScoringFuncE1EEEvPKT_PKbPfiPiS9_iiiiii
		.amdhsa_group_segment_fixed_size 0
		.amdhsa_private_segment_fixed_size 0
		.amdhsa_kernarg_size 72
		.amdhsa_user_sgpr_count 6
		.amdhsa_user_sgpr_private_segment_buffer 1
		.amdhsa_user_sgpr_dispatch_ptr 0
		.amdhsa_user_sgpr_queue_ptr 0
		.amdhsa_user_sgpr_kernarg_segment_ptr 1
		.amdhsa_user_sgpr_dispatch_id 0
		.amdhsa_user_sgpr_flat_scratch_init 0
		.amdhsa_user_sgpr_kernarg_preload_length 0
		.amdhsa_user_sgpr_kernarg_preload_offset 0
		.amdhsa_user_sgpr_private_segment_size 0
		.amdhsa_uses_dynamic_stack 0
		.amdhsa_system_sgpr_private_segment_wavefront_offset 0
		.amdhsa_system_sgpr_workgroup_id_x 1
		.amdhsa_system_sgpr_workgroup_id_y 0
		.amdhsa_system_sgpr_workgroup_id_z 0
		.amdhsa_system_sgpr_workgroup_info 0
		.amdhsa_system_vgpr_workitem_id 1
		.amdhsa_next_free_vgpr 22
		.amdhsa_next_free_sgpr 24
		.amdhsa_accum_offset 24
		.amdhsa_reserve_vcc 1
		.amdhsa_reserve_flat_scratch 0
		.amdhsa_float_round_mode_32 0
		.amdhsa_float_round_mode_16_64 0
		.amdhsa_float_denorm_mode_32 3
		.amdhsa_float_denorm_mode_16_64 3
		.amdhsa_dx10_clamp 1
		.amdhsa_ieee_mode 1
		.amdhsa_fp16_overflow 0
		.amdhsa_tg_split 0
		.amdhsa_exception_fp_ieee_invalid_op 0
		.amdhsa_exception_fp_denorm_src 0
		.amdhsa_exception_fp_ieee_div_zero 0
		.amdhsa_exception_fp_ieee_overflow 0
		.amdhsa_exception_fp_ieee_underflow 0
		.amdhsa_exception_fp_ieee_inexact 0
		.amdhsa_exception_int_div_zero 0
	.end_amdhsa_kernel
	.section	.text._ZN4vllm3moe17topkGatingSoftmaxIDF16_Li4ELi4ELi8ELi8ELb1ELi2ELNS0_23SharedExpertScoringFuncE1EEEvPKT_PKbPfiPiS9_iiiiii,"axG",@progbits,_ZN4vllm3moe17topkGatingSoftmaxIDF16_Li4ELi4ELi8ELi8ELb1ELi2ELNS0_23SharedExpertScoringFuncE1EEEvPKT_PKbPfiPiS9_iiiiii,comdat
.Lfunc_end130:
	.size	_ZN4vllm3moe17topkGatingSoftmaxIDF16_Li4ELi4ELi8ELi8ELb1ELi2ELNS0_23SharedExpertScoringFuncE1EEEvPKT_PKbPfiPiS9_iiiiii, .Lfunc_end130-_ZN4vllm3moe17topkGatingSoftmaxIDF16_Li4ELi4ELi8ELi8ELb1ELi2ELNS0_23SharedExpertScoringFuncE1EEEvPKT_PKbPfiPiS9_iiiiii
                                        ; -- End function
	.section	.AMDGPU.csdata,"",@progbits
; Kernel info:
; codeLenInByte = 1760
; NumSgprs: 28
; NumVgprs: 22
; NumAgprs: 0
; TotalNumVgprs: 22
; ScratchSize: 0
; MemoryBound: 0
; FloatMode: 240
; IeeeMode: 1
; LDSByteSize: 0 bytes/workgroup (compile time only)
; SGPRBlocks: 3
; VGPRBlocks: 2
; NumSGPRsForWavesPerEU: 28
; NumVGPRsForWavesPerEU: 22
; AccumOffset: 24
; Occupancy: 8
; WaveLimiterHint : 0
; COMPUTE_PGM_RSRC2:SCRATCH_EN: 0
; COMPUTE_PGM_RSRC2:USER_SGPR: 6
; COMPUTE_PGM_RSRC2:TRAP_HANDLER: 0
; COMPUTE_PGM_RSRC2:TGID_X_EN: 1
; COMPUTE_PGM_RSRC2:TGID_Y_EN: 0
; COMPUTE_PGM_RSRC2:TGID_Z_EN: 0
; COMPUTE_PGM_RSRC2:TIDIG_COMP_CNT: 1
; COMPUTE_PGM_RSRC3_GFX90A:ACCUM_OFFSET: 5
; COMPUTE_PGM_RSRC3_GFX90A:TG_SPLIT: 0
	.section	.text._ZN4vllm3moe17topkGatingSoftmaxIDF16_Li4ELi4ELi8ELi8ELb0ELi2ELNS0_23SharedExpertScoringFuncE1EEEvPKT_PKbPfiPiS9_iiiiii,"axG",@progbits,_ZN4vllm3moe17topkGatingSoftmaxIDF16_Li4ELi4ELi8ELi8ELb0ELi2ELNS0_23SharedExpertScoringFuncE1EEEvPKT_PKbPfiPiS9_iiiiii,comdat
	.protected	_ZN4vllm3moe17topkGatingSoftmaxIDF16_Li4ELi4ELi8ELi8ELb0ELi2ELNS0_23SharedExpertScoringFuncE1EEEvPKT_PKbPfiPiS9_iiiiii ; -- Begin function _ZN4vllm3moe17topkGatingSoftmaxIDF16_Li4ELi4ELi8ELi8ELb0ELi2ELNS0_23SharedExpertScoringFuncE1EEEvPKT_PKbPfiPiS9_iiiiii
	.globl	_ZN4vllm3moe17topkGatingSoftmaxIDF16_Li4ELi4ELi8ELi8ELb0ELi2ELNS0_23SharedExpertScoringFuncE1EEEvPKT_PKbPfiPiS9_iiiiii
	.p2align	8
	.type	_ZN4vllm3moe17topkGatingSoftmaxIDF16_Li4ELi4ELi8ELi8ELb0ELi2ELNS0_23SharedExpertScoringFuncE1EEEvPKT_PKbPfiPiS9_iiiiii,@function
_ZN4vllm3moe17topkGatingSoftmaxIDF16_Li4ELi4ELi8ELi8ELb0ELi2ELNS0_23SharedExpertScoringFuncE1EEEvPKT_PKbPfiPiS9_iiiiii: ; @_ZN4vllm3moe17topkGatingSoftmaxIDF16_Li4ELi4ELi8ELi8ELb0ELi2ELNS0_23SharedExpertScoringFuncE1EEEvPKT_PKbPfiPiS9_iiiiii
; %bb.0:
	s_load_dword s22, s[4:5], 0x18
	v_bfe_u32 v1, v0, 10, 10
	s_lshl_b32 s23, s6, 9
	v_lshlrev_b32_e32 v17, 6, v1
	v_and_b32_e32 v18, 0x3ff, v0
	v_add3_u32 v19, v17, v18, s23
	s_waitcnt lgkmcnt(0)
	v_cmp_gt_i32_e32 vcc, s22, v19
	s_and_saveexec_b64 s[0:1], vcc
	s_cbranch_execz .LBB131_19
; %bb.1:
	s_load_dwordx4 s[0:3], s[4:5], 0x0
	s_load_dwordx2 s[12:13], s[4:5], 0x10
	s_waitcnt lgkmcnt(0)
	s_cmp_eq_u64 s[2:3], 0
	s_cbranch_scc1 .LBB131_3
; %bb.2:
	v_ashrrev_i32_e32 v1, 31, v19
	v_mov_b32_e32 v2, s3
	v_add_co_u32_e32 v0, vcc, s2, v19
	v_addc_co_u32_e32 v1, vcc, v2, v1, vcc
	global_load_ubyte v0, v[0:1], off
	s_waitcnt vmcnt(0)
	v_and_b32_e32 v0, 1, v0
	v_cmp_eq_u32_e32 vcc, 1, v0
	s_xor_b64 s[2:3], vcc, -1
	s_orn2_b64 s[16:17], s[2:3], exec
	s_branch .LBB131_4
.LBB131_3:
	s_mov_b64 s[16:17], -1
.LBB131_4:
	s_load_dwordx2 s[18:19], s[4:5], 0x40
	s_load_dwordx4 s[8:11], s[4:5], 0x30
	v_mov_b32_e32 v2, s1
	s_mov_b32 s20, 0x3fb8aa3b
	s_mov_b32 s2, 0x32a5705f
	s_waitcnt lgkmcnt(0)
	v_mul_lo_u32 v0, v19, s19
	v_ashrrev_i32_e32 v1, 31, v0
	v_lshlrev_b64 v[0:1], 1, v[0:1]
	v_add_co_u32_e32 v0, vcc, s0, v0
	v_addc_co_u32_e32 v1, vcc, v2, v1, vcc
	global_load_dwordx3 v[8:10], v[0:1], off
	v_mul_lo_u32 v0, v19, s11
	v_add_u32_e32 v2, s8, v0
	v_ashrrev_i32_e32 v3, 31, v2
	v_lshlrev_b64 v[2:3], 2, v[2:3]
	v_mov_b32_e32 v1, s13
	v_add_co_u32_e32 v12, vcc, s12, v2
	v_addc_co_u32_e32 v13, vcc, v1, v3, vcc
	s_mov_b32 s19, 0xc2ce8ed0
	s_mov_b32 s21, 0x42b17218
	v_mov_b32_e32 v7, 0x7f800000
	s_cmp_gt_i32 s8, 0
	v_mov_b32_e32 v16, 0
	s_cselect_b64 s[14:15], -1, 0
	s_cmp_lt_i32 s8, 1
	s_waitcnt vmcnt(0)
	v_cvt_f32_f16_e64 v1, -v10
	v_cvt_f32_f16_sdwa v6, -v10 dst_sel:DWORD dst_unused:UNUSED_PAD src0_sel:WORD_1
	v_cvt_f32_f16_e32 v2, v9
	v_cvt_f32_f16_sdwa v3, v9 dst_sel:DWORD dst_unused:UNUSED_PAD src0_sel:WORD_1
	v_mul_f32_e32 v9, 0x3fb8aa3b, v1
	v_mul_f32_e32 v11, 0x3fb8aa3b, v6
	v_fma_mix_f32 v14, -v10, s20, -v9 op_sel_hi:[1,0,0]
	v_rndne_f32_e32 v15, v9
	v_cvt_f32_f16_e32 v4, v8
	v_cvt_f32_f16_sdwa v5, v8 dst_sel:DWORD dst_unused:UNUSED_PAD src0_sel:WORD_1
	v_fma_mix_f32 v20, -v10, s20, -v11 op_sel:[1,0,0] op_sel_hi:[1,0,0]
	v_rndne_f32_e32 v21, v11
	v_fma_mix_f32 v14, -v10, s2, v14 op_sel_hi:[1,0,0]
	v_sub_f32_e32 v9, v9, v15
	v_fma_mix_f32 v10, -v10, s2, v20 op_sel:[1,0,0] op_sel_hi:[1,0,0]
	v_sub_f32_e32 v11, v11, v21
	v_add_f32_e32 v9, v9, v14
	v_cvt_i32_f32_e32 v15, v15
	v_add_f32_e32 v10, v11, v10
	v_exp_f32_e32 v9, v9
	v_cmp_lt_f16_sdwa s[0:1], v8, v8 src0_sel:DWORD src1_sel:WORD_1
	v_cvt_i32_f32_e32 v20, v21
	v_exp_f32_e32 v10, v10
	v_cndmask_b32_e64 v8, v4, v5, s[0:1]
	v_cmp_lt_f32_e64 s[2:3], v8, v2
	v_cndmask_b32_e64 v11, v8, v2, s[2:3]
	v_ldexp_f32 v8, v9, v15
	v_cmp_ngt_f32_e32 vcc, s19, v1
	v_ldexp_f32 v9, v10, v20
	v_cndmask_b32_e32 v8, 0, v8, vcc
	v_cmp_ngt_f32_e32 vcc, s19, v6
	v_cndmask_b32_e32 v9, 0, v9, vcc
	v_cmp_nlt_f32_e32 vcc, s21, v1
	v_cndmask_b32_e32 v8, v7, v8, vcc
	v_cmp_nlt_f32_e32 vcc, s21, v6
	v_cndmask_b32_e32 v9, v7, v9, vcc
	v_pk_add_f32 v[8:9], v[8:9], 1.0 op_sel_hi:[1,0]
	v_div_scale_f32 v1, s[6:7], v9, v9, 1.0
	v_div_scale_f32 v10, s[6:7], v8, v8, 1.0
	v_rcp_f32_e32 v14, v1
	v_rcp_f32_e32 v15, v10
	v_div_scale_f32 v6, vcc, 1.0, v9, 1.0
	v_fma_f32 v21, -v1, v14, 1.0
	v_fma_f32 v22, -v10, v15, 1.0
	v_fmac_f32_e32 v14, v21, v14
	v_div_scale_f32 v20, s[6:7], 1.0, v8, 1.0
	v_fmac_f32_e32 v15, v22, v15
	v_mul_f32_e32 v21, v6, v14
	v_mul_f32_e32 v22, v20, v15
	v_fma_f32 v23, -v1, v21, v6
	v_fma_f32 v24, -v10, v22, v20
	v_fmac_f32_e32 v21, v23, v14
	v_fmac_f32_e32 v22, v24, v15
	v_fma_f32 v1, -v1, v21, v6
	v_fma_f32 v6, -v10, v22, v20
	v_div_fmas_f32 v1, v1, v14, v21
	s_mov_b64 vcc, s[6:7]
	v_div_fixup_f32 v9, v1, v9, 1.0
	v_div_fmas_f32 v1, v6, v15, v22
	v_cmp_lt_f32_e32 vcc, v11, v3
	v_div_fixup_f32 v8, v1, v8, 1.0
	v_cndmask_b32_e32 v6, v11, v3, vcc
	global_store_dwordx2 v[12:13], v[8:9], off
	s_cbranch_scc1 .LBB131_8
; %bb.5:
	v_cndmask_b32_e64 v1, 0, 1, s[0:1]
	v_cndmask_b32_e64 v1, v1, 2, s[2:3]
	v_cndmask_b32_e64 v22, v1, 3, vcc
	v_sub_f32_e32 v1, v6, v6
	v_mul_f32_e32 v9, 0x3fb8aa3b, v1
	v_rndne_f32_e32 v10, v9
	v_sub_f32_e32 v11, v9, v10
	v_fma_f32 v9, v1, s20, -v9
	v_fmac_f32_e32 v9, 0x32a5705f, v1
	v_add_f32_e32 v9, v11, v9
	v_exp_f32_e32 v9, v9
	v_cvt_i32_f32_e32 v10, v10
	v_cmp_le_i32_e32 vcc, s9, v22
	v_cmp_gt_i32_e64 s[0:1], s10, v22
	s_and_b64 s[2:3], vcc, s[0:1]
	v_ldexp_f32 v9, v9, v10
	v_cmp_ngt_f32_e32 vcc, s19, v1
	s_load_dwordx4 s[4:7], s[4:5], 0x20
	v_cndmask_b32_e32 v9, 0, v9, vcc
	v_cmp_nlt_f32_e32 vcc, s21, v1
	v_ashrrev_i32_e32 v1, 31, v0
	v_lshlrev_b64 v[12:13], 2, v[0:1]
	v_mul_lo_u32 v8, v19, s18
	v_cndmask_b32_e32 v16, v7, v9, vcc
	v_mov_b32_e32 v1, s13
	v_add_co_u32_e32 v14, vcc, s12, v12
	v_addc_co_u32_e64 v15, s[0:1], v1, v13, vcc
	v_ashrrev_i32_e32 v9, 31, v8
	v_subrev_u32_e32 v1, s9, v22
	s_and_b64 s[0:1], s[16:17], s[2:3]
	v_lshlrev_b64 v[10:11], 2, v[8:9]
	v_mul_lo_u32 v20, v19, s8
	v_cndmask_b32_e64 v1, 4, v1, s[0:1]
	s_waitcnt lgkmcnt(0)
	v_mov_b32_e32 v9, s5
	v_add_co_u32_e64 v8, s[0:1], s4, v10
	v_addc_co_u32_e64 v9, s[0:1], v9, v11, s[0:1]
	v_ashrrev_i32_e32 v21, 31, v20
	global_store_dword v[8:9], v1, off
	v_lshlrev_b64 v[8:9], 2, v[20:21]
	v_mov_b32_e32 v1, s7
	v_add_co_u32_e64 v20, s[0:1], s6, v8
	v_addc_co_u32_e64 v21, s[0:1], v1, v9, s[0:1]
	v_mov_b32_e32 v1, 0xff800000
	v_cmp_ne_u32_e64 s[0:1], 3, v22
	v_cndmask_b32_e64 v3, v1, v3, s[0:1]
	v_cmp_ne_u32_e64 s[0:1], 2, v22
	v_cndmask_b32_e64 v2, v1, v2, s[0:1]
	;; [unrolled: 2-line block ×3, first 2 shown]
	v_cmp_ne_u32_e64 s[0:1], 0, v22
	s_cmp_eq_u32 s8, 1
	v_cndmask_b32_e64 v4, v1, v4, s[0:1]
	global_store_dword v[14:15], v16, off
	global_store_dword v[20:21], v19, off
	s_cbranch_scc1 .LBB131_8
; %bb.6:
	v_mov_b32_e32 v12, s7
	v_add_co_u32_e64 v8, s[0:1], s6, v8
	v_addc_co_u32_e64 v9, s[0:1], v9, v12, s[0:1]
	v_add_co_u32_e64 v8, s[0:1], 4, v8
	v_addc_co_u32_e64 v9, s[0:1], 0, v9, s[0:1]
	v_mov_b32_e32 v12, s5
	v_add_co_u32_e64 v10, s[0:1], s4, v10
	v_addc_co_u32_e64 v11, s[0:1], v11, v12, s[0:1]
	v_mov_b32_e32 v12, s13
	v_addc_co_u32_e32 v13, vcc, v13, v12, vcc
	v_add_co_u32_e64 v10, s[0:1], 4, v10
	v_add_co_u32_e32 v12, vcc, 4, v14
	s_add_i32 s23, s23, s22
	v_addc_co_u32_e64 v11, s[0:1], 0, v11, s[0:1]
	v_addc_co_u32_e32 v13, vcc, 0, v13, vcc
	s_add_i32 s4, s8, -1
	v_add3_u32 v14, s23, v18, v17
	s_mov_b32 s5, 0x3fb8aa3b
	s_mov_b32 s6, 0xc2ce8ed0
	;; [unrolled: 1-line block ×3, first 2 shown]
	v_mov_b32_e32 v15, 0x7f800000
.LBB131_7:                              ; =>This Inner Loop Header: Depth=1
	v_cmp_gt_f32_e32 vcc, v5, v4
	v_cndmask_b32_e32 v17, v4, v5, vcc
	v_cmp_gt_f32_e64 s[0:1], v2, v17
	v_cndmask_b32_e64 v17, v17, v2, s[0:1]
	v_cndmask_b32_e64 v18, 0, 1, vcc
	v_cmp_gt_f32_e32 vcc, v3, v17
	v_cndmask_b32_e64 v18, v18, 2, s[0:1]
	v_cndmask_b32_e64 v18, v18, 3, vcc
	v_cndmask_b32_e32 v17, v17, v3, vcc
	v_cmp_ne_u32_e64 s[2:3], 3, v18
	v_sub_f32_e32 v17, v17, v6
	v_cndmask_b32_e64 v3, v1, v3, s[2:3]
	v_cmp_ne_u32_e64 s[2:3], 2, v18
	v_cmp_le_i32_e32 vcc, s9, v18
	v_cmp_gt_i32_e64 s[0:1], s10, v18
	v_mul_f32_e32 v19, 0x3fb8aa3b, v17
	v_cndmask_b32_e64 v2, v1, v2, s[2:3]
	v_cmp_ne_u32_e64 s[2:3], 1, v18
	v_subrev_u32_e32 v20, s9, v18
	v_cndmask_b32_e64 v5, v1, v5, s[2:3]
	v_cmp_ne_u32_e64 s[2:3], 0, v18
	s_and_b64 s[0:1], vcc, s[0:1]
	v_fma_f32 v18, v17, s5, -v19
	v_rndne_f32_e32 v21, v19
	v_fmac_f32_e32 v18, 0x32a5705f, v17
	v_sub_f32_e32 v19, v19, v21
	s_and_b64 vcc, s[16:17], s[0:1]
	v_cndmask_b32_e32 v20, 4, v20, vcc
	v_add_f32_e32 v18, v19, v18
	v_cvt_i32_f32_e32 v21, v21
	global_store_dword v[10:11], v20, off
	global_store_dword v[8:9], v14, off
	v_add_co_u32_e32 v8, vcc, 4, v8
	v_exp_f32_e32 v18, v18
	v_addc_co_u32_e32 v9, vcc, 0, v9, vcc
	v_add_co_u32_e32 v10, vcc, 4, v10
	v_addc_co_u32_e32 v11, vcc, 0, v11, vcc
	v_ldexp_f32 v18, v18, v21
	v_cmp_ngt_f32_e32 vcc, s6, v17
	v_cndmask_b32_e32 v18, 0, v18, vcc
	v_cmp_nlt_f32_e32 vcc, s7, v17
	v_cndmask_b32_e32 v17, v15, v18, vcc
	s_add_i32 s4, s4, -1
	global_store_dword v[12:13], v17, off
	v_add_co_u32_e32 v12, vcc, 4, v12
	v_cndmask_b32_e64 v4, v1, v4, s[2:3]
	v_add_u32_e32 v14, s22, v14
	s_cmp_eq_u32 s4, 0
	v_add_f32_e32 v16, v16, v17
	v_addc_co_u32_e32 v13, vcc, 0, v13, vcc
	s_cbranch_scc0 .LBB131_7
.LBB131_8:
	v_pk_add_f32 v[4:5], v[4:5], v[6:7] op_sel_hi:[1,0] neg_lo:[0,1] neg_hi:[0,1]
	v_mul_f32_e32 v1, 0x3fb8aa3b, v5
	v_fma_f32 v8, v5, s20, -v1
	v_rndne_f32_e32 v9, v1
	v_fmac_f32_e32 v8, 0x32a5705f, v5
	v_sub_f32_e32 v1, v1, v9
	v_add_f32_e32 v1, v1, v8
	v_cvt_i32_f32_e32 v8, v9
	v_exp_f32_e32 v1, v1
	v_cmp_ngt_f32_e32 vcc, s19, v5
	v_sub_f32_e32 v2, v2, v6
	v_sub_f32_e32 v3, v3, v6
	v_ldexp_f32 v1, v1, v8
	v_mul_f32_e32 v8, 0x3fb8aa3b, v4
	v_fma_f32 v9, v4, s20, -v8
	v_rndne_f32_e32 v10, v8
	v_fmac_f32_e32 v9, 0x32a5705f, v4
	v_sub_f32_e32 v8, v8, v10
	v_add_f32_e32 v8, v8, v9
	v_exp_f32_e32 v8, v8
	v_cvt_i32_f32_e32 v9, v10
	v_cndmask_b32_e32 v1, 0, v1, vcc
	v_cmp_nlt_f32_e32 vcc, s21, v5
	v_cndmask_b32_e32 v1, v7, v1, vcc
	v_ldexp_f32 v5, v8, v9
	v_mul_f32_e32 v8, 0x3fb8aa3b, v2
	v_fma_f32 v9, v2, s20, -v8
	v_rndne_f32_e32 v10, v8
	v_fmac_f32_e32 v9, 0x32a5705f, v2
	v_sub_f32_e32 v8, v8, v10
	v_add_f32_e32 v8, v8, v9
	v_exp_f32_e32 v8, v8
	v_cvt_i32_f32_e32 v9, v10
	v_cmp_ngt_f32_e32 vcc, s19, v4
	v_cndmask_b32_e32 v5, 0, v5, vcc
	v_cmp_nlt_f32_e32 vcc, s21, v4
	v_cndmask_b32_e32 v4, v7, v5, vcc
	v_mul_f32_e32 v5, 0x3fb8aa3b, v3
	v_add_f32_e32 v1, v4, v1
	v_ldexp_f32 v4, v8, v9
	v_fma_f32 v6, v3, s20, -v5
	v_rndne_f32_e32 v8, v5
	v_fmac_f32_e32 v6, 0x32a5705f, v3
	v_sub_f32_e32 v5, v5, v8
	v_add_f32_e32 v5, v5, v6
	v_exp_f32_e32 v5, v5
	v_cvt_i32_f32_e32 v6, v8
	v_cmp_ngt_f32_e32 vcc, s19, v2
	v_cndmask_b32_e32 v4, 0, v4, vcc
	v_cmp_nlt_f32_e32 vcc, s21, v2
	v_cndmask_b32_e32 v2, v7, v4, vcc
	v_add_f32_e32 v1, v1, v2
	v_ldexp_f32 v2, v5, v6
	v_cmp_ngt_f32_e32 vcc, s19, v3
	v_cndmask_b32_e32 v2, 0, v2, vcc
	v_cmp_nlt_f32_e32 vcc, s21, v3
	v_cndmask_b32_e32 v2, v7, v2, vcc
	v_add_f32_e32 v1, v1, v2
	v_add_f32_e32 v1, v16, v1
	v_cmp_neq_f32_e32 vcc, 0, v1
	s_and_b64 exec, exec, vcc
	s_cbranch_execz .LBB131_19
; %bb.9:
	s_andn2_b64 vcc, exec, s[14:15]
	s_cbranch_vccnz .LBB131_19
; %bb.10:
	v_div_scale_f32 v2, s[0:1], v1, v1, 1.0
	v_rcp_f32_e32 v3, v2
	v_div_scale_f32 v4, vcc, 1.0, v1, 1.0
	s_cmp_gt_u32 s8, 3
	v_fma_f32 v5, -v2, v3, 1.0
	v_fmac_f32_e32 v3, v5, v3
	v_mul_f32_e32 v5, v4, v3
	v_fma_f32 v6, -v2, v5, v4
	v_fmac_f32_e32 v5, v6, v3
	v_fma_f32 v2, -v2, v5, v4
	v_div_fmas_f32 v2, v2, v3, v5
	v_div_fixup_f32 v2, v2, v1, 1.0
	v_ashrrev_i32_e32 v1, 31, v0
	s_cbranch_scc0 .LBB131_14
; %bb.11:
	v_lshlrev_b64 v[4:5], 2, v[0:1]
	v_mov_b32_e32 v6, s13
	v_add_co_u32_e32 v4, vcc, s12, v4
	v_addc_co_u32_e32 v5, vcc, v5, v6, vcc
	s_and_b32 s4, s8, 0x7ffffffc
	v_add_co_u32_e32 v4, vcc, 8, v4
	v_mov_b32_e32 v3, v2
	v_addc_co_u32_e32 v5, vcc, 0, v5, vcc
	s_mov_b32 s0, s4
.LBB131_12:                             ; =>This Inner Loop Header: Depth=1
	global_load_dwordx4 v[6:9], v[4:5], off offset:-8
	s_add_i32 s0, s0, -4
	s_cmp_lg_u32 s0, 0
	s_waitcnt vmcnt(0)
	v_pk_mul_f32 v[6:7], v[2:3], v[6:7]
	v_pk_mul_f32 v[8:9], v[2:3], v[8:9]
	global_store_dwordx4 v[4:5], v[6:9], off offset:-8
	v_add_co_u32_e32 v4, vcc, 16, v4
	v_addc_co_u32_e32 v5, vcc, 0, v5, vcc
	s_cbranch_scc1 .LBB131_12
; %bb.13:
	s_cmp_lg_u32 s4, s8
	s_cselect_b64 s[0:1], -1, 0
	s_branch .LBB131_16
.LBB131_14:
	s_mov_b64 s[0:1], 0
                                        ; implicit-def: $sgpr4
	s_cbranch_execz .LBB131_16
; %bb.15:
	s_mov_b64 s[0:1], -1
	s_mov_b32 s4, 0
.LBB131_16:
	s_andn2_b64 vcc, exec, s[0:1]
	s_cbranch_vccnz .LBB131_19
; %bb.17:
	v_add_co_u32_e32 v0, vcc, s4, v0
	v_addc_co_u32_e32 v1, vcc, 0, v1, vcc
	v_lshlrev_b64 v[0:1], 2, v[0:1]
	v_mov_b32_e32 v3, s13
	v_add_co_u32_e32 v0, vcc, s12, v0
	s_sub_i32 s0, s8, s4
	v_addc_co_u32_e32 v1, vcc, v3, v1, vcc
.LBB131_18:                             ; =>This Inner Loop Header: Depth=1
	global_load_dword v3, v[0:1], off
	s_add_i32 s0, s0, -1
	s_cmp_lg_u32 s0, 0
	s_waitcnt vmcnt(0)
	v_mul_f32_e32 v3, v2, v3
	global_store_dword v[0:1], v3, off
	v_add_co_u32_e32 v0, vcc, 4, v0
	v_addc_co_u32_e32 v1, vcc, 0, v1, vcc
	s_cbranch_scc1 .LBB131_18
.LBB131_19:
	s_endpgm
	.section	.rodata,"a",@progbits
	.p2align	6, 0x0
	.amdhsa_kernel _ZN4vllm3moe17topkGatingSoftmaxIDF16_Li4ELi4ELi8ELi8ELb0ELi2ELNS0_23SharedExpertScoringFuncE1EEEvPKT_PKbPfiPiS9_iiiiii
		.amdhsa_group_segment_fixed_size 0
		.amdhsa_private_segment_fixed_size 0
		.amdhsa_kernarg_size 72
		.amdhsa_user_sgpr_count 6
		.amdhsa_user_sgpr_private_segment_buffer 1
		.amdhsa_user_sgpr_dispatch_ptr 0
		.amdhsa_user_sgpr_queue_ptr 0
		.amdhsa_user_sgpr_kernarg_segment_ptr 1
		.amdhsa_user_sgpr_dispatch_id 0
		.amdhsa_user_sgpr_flat_scratch_init 0
		.amdhsa_user_sgpr_kernarg_preload_length 0
		.amdhsa_user_sgpr_kernarg_preload_offset 0
		.amdhsa_user_sgpr_private_segment_size 0
		.amdhsa_uses_dynamic_stack 0
		.amdhsa_system_sgpr_private_segment_wavefront_offset 0
		.amdhsa_system_sgpr_workgroup_id_x 1
		.amdhsa_system_sgpr_workgroup_id_y 0
		.amdhsa_system_sgpr_workgroup_id_z 0
		.amdhsa_system_sgpr_workgroup_info 0
		.amdhsa_system_vgpr_workitem_id 1
		.amdhsa_next_free_vgpr 25
		.amdhsa_next_free_sgpr 24
		.amdhsa_accum_offset 28
		.amdhsa_reserve_vcc 1
		.amdhsa_reserve_flat_scratch 0
		.amdhsa_float_round_mode_32 0
		.amdhsa_float_round_mode_16_64 0
		.amdhsa_float_denorm_mode_32 3
		.amdhsa_float_denorm_mode_16_64 3
		.amdhsa_dx10_clamp 1
		.amdhsa_ieee_mode 1
		.amdhsa_fp16_overflow 0
		.amdhsa_tg_split 0
		.amdhsa_exception_fp_ieee_invalid_op 0
		.amdhsa_exception_fp_denorm_src 0
		.amdhsa_exception_fp_ieee_div_zero 0
		.amdhsa_exception_fp_ieee_overflow 0
		.amdhsa_exception_fp_ieee_underflow 0
		.amdhsa_exception_fp_ieee_inexact 0
		.amdhsa_exception_int_div_zero 0
	.end_amdhsa_kernel
	.section	.text._ZN4vllm3moe17topkGatingSoftmaxIDF16_Li4ELi4ELi8ELi8ELb0ELi2ELNS0_23SharedExpertScoringFuncE1EEEvPKT_PKbPfiPiS9_iiiiii,"axG",@progbits,_ZN4vllm3moe17topkGatingSoftmaxIDF16_Li4ELi4ELi8ELi8ELb0ELi2ELNS0_23SharedExpertScoringFuncE1EEEvPKT_PKbPfiPiS9_iiiiii,comdat
.Lfunc_end131:
	.size	_ZN4vllm3moe17topkGatingSoftmaxIDF16_Li4ELi4ELi8ELi8ELb0ELi2ELNS0_23SharedExpertScoringFuncE1EEEvPKT_PKbPfiPiS9_iiiiii, .Lfunc_end131-_ZN4vllm3moe17topkGatingSoftmaxIDF16_Li4ELi4ELi8ELi8ELb0ELi2ELNS0_23SharedExpertScoringFuncE1EEEvPKT_PKbPfiPiS9_iiiiii
                                        ; -- End function
	.section	.AMDGPU.csdata,"",@progbits
; Kernel info:
; codeLenInByte = 2076
; NumSgprs: 28
; NumVgprs: 25
; NumAgprs: 0
; TotalNumVgprs: 25
; ScratchSize: 0
; MemoryBound: 0
; FloatMode: 240
; IeeeMode: 1
; LDSByteSize: 0 bytes/workgroup (compile time only)
; SGPRBlocks: 3
; VGPRBlocks: 3
; NumSGPRsForWavesPerEU: 28
; NumVGPRsForWavesPerEU: 25
; AccumOffset: 28
; Occupancy: 8
; WaveLimiterHint : 0
; COMPUTE_PGM_RSRC2:SCRATCH_EN: 0
; COMPUTE_PGM_RSRC2:USER_SGPR: 6
; COMPUTE_PGM_RSRC2:TRAP_HANDLER: 0
; COMPUTE_PGM_RSRC2:TGID_X_EN: 1
; COMPUTE_PGM_RSRC2:TGID_Y_EN: 0
; COMPUTE_PGM_RSRC2:TGID_Z_EN: 0
; COMPUTE_PGM_RSRC2:TIDIG_COMP_CNT: 1
; COMPUTE_PGM_RSRC3_GFX90A:ACCUM_OFFSET: 6
; COMPUTE_PGM_RSRC3_GFX90A:TG_SPLIT: 0
	.section	.text._ZN4vllm3moe17topkGatingSoftmaxIDF16_Li4ELi4ELi8ELi8ELb1ELi4ELNS0_23SharedExpertScoringFuncE1EEEvPKT_PKbPfiPiS9_iiiiii,"axG",@progbits,_ZN4vllm3moe17topkGatingSoftmaxIDF16_Li4ELi4ELi8ELi8ELb1ELi4ELNS0_23SharedExpertScoringFuncE1EEEvPKT_PKbPfiPiS9_iiiiii,comdat
	.protected	_ZN4vllm3moe17topkGatingSoftmaxIDF16_Li4ELi4ELi8ELi8ELb1ELi4ELNS0_23SharedExpertScoringFuncE1EEEvPKT_PKbPfiPiS9_iiiiii ; -- Begin function _ZN4vllm3moe17topkGatingSoftmaxIDF16_Li4ELi4ELi8ELi8ELb1ELi4ELNS0_23SharedExpertScoringFuncE1EEEvPKT_PKbPfiPiS9_iiiiii
	.globl	_ZN4vllm3moe17topkGatingSoftmaxIDF16_Li4ELi4ELi8ELi8ELb1ELi4ELNS0_23SharedExpertScoringFuncE1EEEvPKT_PKbPfiPiS9_iiiiii
	.p2align	8
	.type	_ZN4vllm3moe17topkGatingSoftmaxIDF16_Li4ELi4ELi8ELi8ELb1ELi4ELNS0_23SharedExpertScoringFuncE1EEEvPKT_PKbPfiPiS9_iiiiii,@function
_ZN4vllm3moe17topkGatingSoftmaxIDF16_Li4ELi4ELi8ELi8ELb1ELi4ELNS0_23SharedExpertScoringFuncE1EEEvPKT_PKbPfiPiS9_iiiiii: ; @_ZN4vllm3moe17topkGatingSoftmaxIDF16_Li4ELi4ELi8ELi8ELb1ELi4ELNS0_23SharedExpertScoringFuncE1EEEvPKT_PKbPfiPiS9_iiiiii
; %bb.0:
	s_load_dword s20, s[4:5], 0x18
	v_bfe_u32 v1, v0, 10, 10
	s_lshl_b32 s21, s6, 9
	v_lshlrev_b32_e32 v15, 6, v1
	v_and_b32_e32 v16, 0x3ff, v0
	v_add3_u32 v17, v15, v16, s21
	s_waitcnt lgkmcnt(0)
	v_cmp_gt_i32_e32 vcc, s20, v17
	s_and_saveexec_b64 s[0:1], vcc
	s_cbranch_execz .LBB132_19
; %bb.1:
	s_load_dwordx4 s[0:3], s[4:5], 0x0
	s_load_dwordx2 s[12:13], s[4:5], 0x10
	s_waitcnt lgkmcnt(0)
	s_cmp_eq_u64 s[2:3], 0
	s_cbranch_scc1 .LBB132_3
; %bb.2:
	v_ashrrev_i32_e32 v1, 31, v17
	v_mov_b32_e32 v2, s3
	v_add_co_u32_e32 v0, vcc, s2, v17
	v_addc_co_u32_e32 v1, vcc, v2, v1, vcc
	global_load_ubyte v0, v[0:1], off
	s_waitcnt vmcnt(0)
	v_and_b32_e32 v0, 1, v0
	v_cmp_eq_u32_e32 vcc, 1, v0
	s_xor_b64 s[2:3], vcc, -1
	s_orn2_b64 s[14:15], s[2:3], exec
	s_branch .LBB132_4
.LBB132_3:
	s_mov_b64 s[14:15], -1
.LBB132_4:
	s_load_dwordx2 s[18:19], s[4:5], 0x40
	s_load_dwordx4 s[8:11], s[4:5], 0x30
	v_mov_b32_e32 v2, s1
	v_mov_b32_e32 v8, s13
	s_mov_b32 s22, 0x3fb8aa3b
	s_waitcnt lgkmcnt(0)
	v_mul_lo_u32 v0, v17, s19
	v_ashrrev_i32_e32 v1, 31, v0
	v_lshlrev_b64 v[0:1], 1, v[0:1]
	v_add_co_u32_e32 v0, vcc, s0, v0
	v_addc_co_u32_e32 v1, vcc, v2, v1, vcc
	global_load_dwordx4 v[0:3], v[0:1], off
	v_mul_lo_u32 v4, v17, s11
	v_add_u32_e32 v6, s8, v4
	v_ashrrev_i32_e32 v7, 31, v6
	v_lshlrev_b64 v[6:7], 2, v[6:7]
	v_add_co_u32_e32 v10, vcc, s12, v6
	v_addc_co_u32_e32 v11, vcc, v8, v7, vcc
	s_mov_b32 s0, 0x32a5705f
	s_mov_b32 s19, 0xc2ce8ed0
	s_mov_b32 s23, 0x42b17218
	v_mov_b32_e32 v5, 0x7f800000
	s_cmp_gt_i32 s8, 0
	v_mov_b32_e32 v14, 0
	s_cselect_b64 s[16:17], -1, 0
	s_cmp_lt_i32 s8, 1
	s_waitcnt vmcnt(0)
	v_cvt_f32_f16_e64 v6, -v2
	v_cvt_f32_f16_sdwa v7, -v2 dst_sel:DWORD dst_unused:UNUSED_PAD src0_sel:WORD_1
	v_cvt_f32_f16_e64 v8, -v3
	v_cvt_f32_f16_sdwa v9, -v3 dst_sel:DWORD dst_unused:UNUSED_PAD src0_sel:WORD_1
	v_mul_f32_e32 v12, 0x3fb8aa3b, v6
	v_mul_f32_e32 v13, 0x3fb8aa3b, v7
	v_fma_mix_f32 v20, -v2, s22, -v12 op_sel_hi:[1,0,0]
	v_rndne_f32_e32 v21, v12
	v_mul_f32_e32 v18, 0x3fb8aa3b, v8
	v_fma_mix_f32 v22, -v2, s22, -v13 op_sel:[1,0,0] op_sel_hi:[1,0,0]
	v_rndne_f32_e32 v23, v13
	v_fma_mix_f32 v20, -v2, s0, v20 op_sel_hi:[1,0,0]
	v_sub_f32_e32 v12, v12, v21
	v_mul_f32_e32 v19, 0x3fb8aa3b, v9
	v_fma_mix_f32 v24, -v3, s22, -v18 op_sel_hi:[1,0,0]
	v_rndne_f32_e32 v25, v18
	v_fma_mix_f32 v2, -v2, s0, v22 op_sel:[1,0,0] op_sel_hi:[1,0,0]
	v_sub_f32_e32 v13, v13, v23
	v_add_f32_e32 v12, v12, v20
	v_fma_mix_f32 v26, -v3, s22, -v19 op_sel:[1,0,0] op_sel_hi:[1,0,0]
	v_rndne_f32_e32 v27, v19
	v_cvt_i32_f32_e32 v21, v21
	v_cvt_i32_f32_e32 v22, v23
	v_fma_mix_f32 v23, -v3, s0, v24 op_sel_hi:[1,0,0]
	v_sub_f32_e32 v18, v18, v25
	v_add_f32_e32 v2, v13, v2
	v_exp_f32_e32 v12, v12
	v_fma_mix_f32 v3, -v3, s0, v26 op_sel:[1,0,0] op_sel_hi:[1,0,0]
	v_sub_f32_e32 v19, v19, v27
	v_add_f32_e32 v13, v18, v23
	v_exp_f32_e32 v2, v2
	v_cvt_i32_f32_e32 v24, v25
	v_add_f32_e32 v3, v19, v3
	v_exp_f32_e32 v13, v13
	v_cvt_i32_f32_e32 v25, v27
	v_exp_f32_e32 v3, v3
	v_ldexp_f32 v12, v12, v21
	v_cmp_ngt_f32_e32 vcc, s19, v6
	v_ldexp_f32 v2, v2, v22
	v_cndmask_b32_e32 v12, 0, v12, vcc
	v_cmp_ngt_f32_e32 vcc, s19, v7
	v_ldexp_f32 v13, v13, v24
	v_cndmask_b32_e32 v18, 0, v2, vcc
	;; [unrolled: 3-line block ×3, first 2 shown]
	v_cmp_ngt_f32_e32 vcc, s19, v9
	v_cndmask_b32_e32 v19, 0, v3, vcc
	v_cmp_nlt_f32_e32 vcc, s23, v6
	v_cndmask_b32_e32 v2, v5, v12, vcc
	v_cmp_nlt_f32_e32 vcc, s23, v7
	;; [unrolled: 2-line block ×4, first 2 shown]
	v_cndmask_b32_e32 v7, v5, v19, vcc
	v_pk_add_f32 v[2:3], v[2:3], 1.0 op_sel_hi:[1,0]
	v_pk_add_f32 v[8:9], v[6:7], 1.0 op_sel_hi:[1,0]
	v_div_scale_f32 v6, s[0:1], v3, v3, 1.0
	v_div_scale_f32 v12, s[0:1], v2, v2, 1.0
	v_rcp_f32_e32 v19, v6
	v_div_scale_f32 v18, s[2:3], v9, v9, 1.0
	v_rcp_f32_e32 v20, v12
	v_rcp_f32_e32 v21, v18
	v_fma_f32 v23, -v6, v19, 1.0
	v_div_scale_f32 v7, vcc, 1.0, v3, 1.0
	v_fma_f32 v24, -v12, v20, 1.0
	v_fmac_f32_e32 v19, v23, v19
	v_div_scale_f32 v13, s[0:1], 1.0, v2, 1.0
	v_fma_f32 v25, -v18, v21, 1.0
	v_fmac_f32_e32 v20, v24, v20
	v_mul_f32_e32 v23, v7, v19
	v_fmac_f32_e32 v21, v25, v21
	v_mul_f32_e32 v24, v13, v20
	v_fma_f32 v25, -v6, v23, v7
	v_fma_f32 v26, -v12, v24, v13
	v_fmac_f32_e32 v23, v25, v19
	v_fmac_f32_e32 v24, v26, v20
	v_fma_f32 v6, -v6, v23, v7
	v_fma_f32 v12, -v12, v24, v13
	v_div_fmas_f32 v6, v6, v19, v23
	s_mov_b64 vcc, s[0:1]
	v_div_scale_f32 v22, s[2:3], 1.0, v9, 1.0
	v_div_fixup_f32 v7, v6, v3, 1.0
	v_div_fmas_f32 v3, v12, v20, v24
	v_div_fixup_f32 v6, v3, v2, 1.0
	v_mul_f32_e32 v2, v22, v21
	v_div_scale_f32 v12, s[0:1], v8, v8, 1.0
	v_fma_f32 v3, -v18, v2, v22
	v_rcp_f32_e32 v13, v12
	v_fmac_f32_e32 v2, v3, v21
	v_fma_f32 v3, -v18, v2, v22
	s_mov_b64 vcc, s[2:3]
	v_div_fmas_f32 v2, v3, v21, v2
	v_div_fixup_f32 v9, v2, v9, 1.0
	v_fma_f32 v2, -v12, v13, 1.0
	v_fmac_f32_e32 v13, v2, v13
	v_div_scale_f32 v2, vcc, 1.0, v8, 1.0
	v_mul_f32_e32 v3, v2, v13
	v_fma_f32 v18, -v12, v3, v2
	v_fmac_f32_e32 v3, v18, v13
	v_fma_f32 v2, -v12, v3, v2
	v_div_fmas_f32 v2, v2, v13, v3
	v_div_fixup_f32 v8, v2, v8, 1.0
	global_store_dwordx4 v[10:11], v[6:9], off
	s_cbranch_scc1 .LBB132_8
; %bb.5:
	v_cvt_f32_f16_e32 v19, v0
	v_cvt_f32_f16_sdwa v20, v0 dst_sel:DWORD dst_unused:UNUSED_PAD src0_sel:WORD_1
	v_cvt_f32_f16_sdwa v2, v1 dst_sel:DWORD dst_unused:UNUSED_PAD src0_sel:WORD_1
	v_cvt_f32_f16_e32 v1, v1
	v_cmp_lt_f16_sdwa vcc, v0, v0 src0_sel:DWORD src1_sel:WORD_1
	v_cndmask_b32_e32 v3, v19, v20, vcc
	v_cndmask_b32_e64 v0, 0, 1, vcc
	v_cmp_lt_f32_e32 vcc, v3, v1
	v_cndmask_b32_e32 v3, v3, v1, vcc
	v_cndmask_b32_e64 v0, v0, 2, vcc
	v_cmp_lt_f32_e32 vcc, v3, v2
	v_cndmask_b32_e32 v18, v3, v2, vcc
	v_sub_f32_e32 v3, v18, v18
	v_mul_f32_e32 v7, 0x3fb8aa3b, v3
	v_fma_f32 v8, v3, s22, -v7
	v_rndne_f32_e32 v9, v7
	v_fmac_f32_e32 v8, 0x32a5705f, v3
	v_sub_f32_e32 v7, v7, v9
	v_add_f32_e32 v7, v7, v8
	v_exp_f32_e32 v7, v7
	v_cvt_i32_f32_e32 v8, v9
	v_cndmask_b32_e64 v0, v0, 3, vcc
	v_cmp_le_i32_e32 vcc, s9, v0
	v_cmp_gt_i32_e64 s[0:1], s10, v0
	s_and_b64 s[2:3], vcc, s[0:1]
	v_ldexp_f32 v7, v7, v8
	v_cmp_ngt_f32_e32 vcc, s19, v3
	v_cndmask_b32_e32 v7, 0, v7, vcc
	v_cmp_nlt_f32_e32 vcc, s23, v3
	s_load_dwordx4 s[4:7], s[4:5], 0x20
	v_cndmask_b32_e32 v14, v5, v7, vcc
	v_ashrrev_i32_e32 v5, 31, v4
	v_lshlrev_b64 v[10:11], 2, v[4:5]
	v_mul_lo_u32 v6, v17, s18
	v_mov_b32_e32 v3, s13
	v_add_co_u32_e32 v12, vcc, s12, v10
	v_addc_co_u32_e64 v13, s[0:1], v3, v11, vcc
	v_ashrrev_i32_e32 v7, 31, v6
	v_subrev_u32_e32 v3, s9, v0
	s_and_b64 s[0:1], s[14:15], s[2:3]
	v_lshlrev_b64 v[8:9], 2, v[6:7]
	v_mul_lo_u32 v22, v17, s8
	v_cndmask_b32_e64 v3, 4, v3, s[0:1]
	s_waitcnt lgkmcnt(0)
	v_mov_b32_e32 v5, s5
	v_add_co_u32_e64 v6, s[0:1], s4, v8
	v_addc_co_u32_e64 v7, s[0:1], v5, v9, s[0:1]
	v_ashrrev_i32_e32 v23, 31, v22
	global_store_dword v[6:7], v3, off
	v_lshlrev_b64 v[6:7], 2, v[22:23]
	v_mov_b32_e32 v3, s7
	v_add_co_u32_e64 v22, s[0:1], s6, v6
	v_addc_co_u32_e64 v23, s[0:1], v3, v7, s[0:1]
	s_cmp_eq_u32 s8, 1
	global_store_dword v[12:13], v14, off
	global_store_dword v[22:23], v17, off
	s_cbranch_scc1 .LBB132_8
; %bb.6:
	v_mov_b32_e32 v5, 0xff800000
	v_cmp_ne_u32_e64 s[0:1], 3, v0
	v_cndmask_b32_e64 v3, v5, v2, s[0:1]
	v_cmp_ne_u32_e64 s[0:1], 2, v0
	v_cndmask_b32_e64 v2, v5, v1, s[0:1]
	;; [unrolled: 2-line block ×4, first 2 shown]
	v_mov_b32_e32 v10, s7
	v_add_co_u32_e64 v6, s[0:1], s6, v6
	v_addc_co_u32_e64 v7, s[0:1], v7, v10, s[0:1]
	v_add_co_u32_e64 v6, s[0:1], 4, v6
	v_addc_co_u32_e64 v7, s[0:1], 0, v7, s[0:1]
	v_mov_b32_e32 v10, s5
	v_add_co_u32_e64 v8, s[0:1], s4, v8
	v_addc_co_u32_e64 v9, s[0:1], v9, v10, s[0:1]
	v_mov_b32_e32 v10, s13
	v_addc_co_u32_e32 v11, vcc, v11, v10, vcc
	v_add_co_u32_e64 v8, s[0:1], 4, v8
	v_add_co_u32_e32 v10, vcc, 4, v12
	s_add_i32 s21, s21, s20
	v_addc_co_u32_e64 v9, s[0:1], 0, v9, s[0:1]
	v_addc_co_u32_e32 v11, vcc, 0, v11, vcc
	s_add_i32 s4, s8, -1
	v_add3_u32 v12, s21, v16, v15
	s_mov_b32 s5, 0x3fb8aa3b
	s_mov_b32 s6, 0xc2ce8ed0
	s_mov_b32 s7, 0x42b17218
	v_mov_b32_e32 v13, 0x7f800000
.LBB132_7:                              ; =>This Inner Loop Header: Depth=1
	v_cmp_gt_f32_e32 vcc, v1, v0
	v_cndmask_b32_e32 v15, v0, v1, vcc
	v_cmp_gt_f32_e64 s[0:1], v2, v15
	v_cndmask_b32_e64 v15, v15, v2, s[0:1]
	v_cndmask_b32_e64 v16, 0, 1, vcc
	v_cmp_gt_f32_e32 vcc, v3, v15
	v_cndmask_b32_e64 v16, v16, 2, s[0:1]
	v_cndmask_b32_e64 v16, v16, 3, vcc
	v_cndmask_b32_e32 v15, v15, v3, vcc
	v_cmp_ne_u32_e64 s[2:3], 3, v16
	v_sub_f32_e32 v15, v15, v18
	v_cndmask_b32_e64 v3, v5, v3, s[2:3]
	v_cmp_ne_u32_e64 s[2:3], 2, v16
	v_cmp_le_i32_e32 vcc, s9, v16
	v_cmp_gt_i32_e64 s[0:1], s10, v16
	v_mul_f32_e32 v17, 0x3fb8aa3b, v15
	v_cndmask_b32_e64 v2, v5, v2, s[2:3]
	v_cmp_ne_u32_e64 s[2:3], 1, v16
	v_subrev_u32_e32 v19, s9, v16
	v_cndmask_b32_e64 v1, v5, v1, s[2:3]
	v_cmp_ne_u32_e64 s[2:3], 0, v16
	s_and_b64 s[0:1], vcc, s[0:1]
	v_fma_f32 v16, v15, s5, -v17
	v_rndne_f32_e32 v20, v17
	v_fmac_f32_e32 v16, 0x32a5705f, v15
	v_sub_f32_e32 v17, v17, v20
	s_and_b64 vcc, s[14:15], s[0:1]
	v_cndmask_b32_e32 v19, 4, v19, vcc
	v_add_f32_e32 v16, v17, v16
	v_cvt_i32_f32_e32 v20, v20
	global_store_dword v[8:9], v19, off
	global_store_dword v[6:7], v12, off
	v_add_co_u32_e32 v6, vcc, 4, v6
	v_exp_f32_e32 v16, v16
	v_addc_co_u32_e32 v7, vcc, 0, v7, vcc
	v_add_co_u32_e32 v8, vcc, 4, v8
	v_addc_co_u32_e32 v9, vcc, 0, v9, vcc
	v_ldexp_f32 v16, v16, v20
	v_cmp_ngt_f32_e32 vcc, s6, v15
	v_cndmask_b32_e32 v16, 0, v16, vcc
	v_cmp_nlt_f32_e32 vcc, s7, v15
	v_cndmask_b32_e32 v15, v13, v16, vcc
	s_add_i32 s4, s4, -1
	global_store_dword v[10:11], v15, off
	v_add_co_u32_e32 v10, vcc, 4, v10
	v_cndmask_b32_e64 v0, v5, v0, s[2:3]
	v_add_u32_e32 v12, s20, v12
	s_cmp_eq_u32 s4, 0
	v_add_f32_e32 v14, v14, v15
	v_addc_co_u32_e32 v11, vcc, 0, v11, vcc
	s_cbranch_scc0 .LBB132_7
.LBB132_8:
	v_cmp_neq_f32_e32 vcc, 0, v14
	s_and_b64 exec, exec, vcc
	s_cbranch_execz .LBB132_19
; %bb.9:
	s_andn2_b64 vcc, exec, s[16:17]
	s_cbranch_vccnz .LBB132_19
; %bb.10:
	v_div_scale_f32 v0, s[0:1], v14, v14, 1.0
	v_rcp_f32_e32 v1, v0
	v_div_scale_f32 v2, vcc, 1.0, v14, 1.0
	s_cmp_gt_u32 s8, 3
	v_fma_f32 v3, -v0, v1, 1.0
	v_fmac_f32_e32 v1, v3, v1
	v_mul_f32_e32 v3, v2, v1
	v_fma_f32 v5, -v0, v3, v2
	v_fmac_f32_e32 v3, v5, v1
	v_fma_f32 v0, -v0, v3, v2
	v_div_fmas_f32 v0, v0, v1, v3
	v_div_fixup_f32 v0, v0, v14, 1.0
	v_ashrrev_i32_e32 v5, 31, v4
	s_cbranch_scc0 .LBB132_14
; %bb.11:
	v_lshlrev_b64 v[2:3], 2, v[4:5]
	v_mov_b32_e32 v6, s13
	v_add_co_u32_e32 v2, vcc, s12, v2
	v_addc_co_u32_e32 v3, vcc, v3, v6, vcc
	s_and_b32 s4, s8, 0x7ffffffc
	v_add_co_u32_e32 v2, vcc, 8, v2
	v_mov_b32_e32 v1, v0
	v_addc_co_u32_e32 v3, vcc, 0, v3, vcc
	s_mov_b32 s0, s4
.LBB132_12:                             ; =>This Inner Loop Header: Depth=1
	global_load_dwordx4 v[6:9], v[2:3], off offset:-8
	s_add_i32 s0, s0, -4
	s_cmp_lg_u32 s0, 0
	s_waitcnt vmcnt(0)
	v_pk_mul_f32 v[6:7], v[0:1], v[6:7]
	v_pk_mul_f32 v[8:9], v[0:1], v[8:9]
	global_store_dwordx4 v[2:3], v[6:9], off offset:-8
	v_add_co_u32_e32 v2, vcc, 16, v2
	v_addc_co_u32_e32 v3, vcc, 0, v3, vcc
	s_cbranch_scc1 .LBB132_12
; %bb.13:
	s_cmp_lg_u32 s4, s8
	s_cselect_b64 s[0:1], -1, 0
	s_branch .LBB132_16
.LBB132_14:
	s_mov_b64 s[0:1], 0
                                        ; implicit-def: $sgpr4
	s_cbranch_execz .LBB132_16
; %bb.15:
	s_mov_b64 s[0:1], -1
	s_mov_b32 s4, 0
.LBB132_16:
	s_andn2_b64 vcc, exec, s[0:1]
	s_cbranch_vccnz .LBB132_19
; %bb.17:
	v_add_co_u32_e32 v2, vcc, s4, v4
	v_addc_co_u32_e32 v3, vcc, 0, v5, vcc
	v_lshlrev_b64 v[2:3], 2, v[2:3]
	v_mov_b32_e32 v1, s13
	v_add_co_u32_e32 v2, vcc, s12, v2
	s_sub_i32 s0, s8, s4
	v_addc_co_u32_e32 v3, vcc, v1, v3, vcc
.LBB132_18:                             ; =>This Inner Loop Header: Depth=1
	global_load_dword v1, v[2:3], off
	s_add_i32 s0, s0, -1
	s_cmp_lg_u32 s0, 0
	s_waitcnt vmcnt(0)
	v_mul_f32_e32 v1, v0, v1
	global_store_dword v[2:3], v1, off
	v_add_co_u32_e32 v2, vcc, 4, v2
	v_addc_co_u32_e32 v3, vcc, 0, v3, vcc
	s_cbranch_scc1 .LBB132_18
.LBB132_19:
	s_endpgm
	.section	.rodata,"a",@progbits
	.p2align	6, 0x0
	.amdhsa_kernel _ZN4vllm3moe17topkGatingSoftmaxIDF16_Li4ELi4ELi8ELi8ELb1ELi4ELNS0_23SharedExpertScoringFuncE1EEEvPKT_PKbPfiPiS9_iiiiii
		.amdhsa_group_segment_fixed_size 0
		.amdhsa_private_segment_fixed_size 0
		.amdhsa_kernarg_size 72
		.amdhsa_user_sgpr_count 6
		.amdhsa_user_sgpr_private_segment_buffer 1
		.amdhsa_user_sgpr_dispatch_ptr 0
		.amdhsa_user_sgpr_queue_ptr 0
		.amdhsa_user_sgpr_kernarg_segment_ptr 1
		.amdhsa_user_sgpr_dispatch_id 0
		.amdhsa_user_sgpr_flat_scratch_init 0
		.amdhsa_user_sgpr_kernarg_preload_length 0
		.amdhsa_user_sgpr_kernarg_preload_offset 0
		.amdhsa_user_sgpr_private_segment_size 0
		.amdhsa_uses_dynamic_stack 0
		.amdhsa_system_sgpr_private_segment_wavefront_offset 0
		.amdhsa_system_sgpr_workgroup_id_x 1
		.amdhsa_system_sgpr_workgroup_id_y 0
		.amdhsa_system_sgpr_workgroup_id_z 0
		.amdhsa_system_sgpr_workgroup_info 0
		.amdhsa_system_vgpr_workitem_id 1
		.amdhsa_next_free_vgpr 28
		.amdhsa_next_free_sgpr 24
		.amdhsa_accum_offset 28
		.amdhsa_reserve_vcc 1
		.amdhsa_reserve_flat_scratch 0
		.amdhsa_float_round_mode_32 0
		.amdhsa_float_round_mode_16_64 0
		.amdhsa_float_denorm_mode_32 3
		.amdhsa_float_denorm_mode_16_64 3
		.amdhsa_dx10_clamp 1
		.amdhsa_ieee_mode 1
		.amdhsa_fp16_overflow 0
		.amdhsa_tg_split 0
		.amdhsa_exception_fp_ieee_invalid_op 0
		.amdhsa_exception_fp_denorm_src 0
		.amdhsa_exception_fp_ieee_div_zero 0
		.amdhsa_exception_fp_ieee_overflow 0
		.amdhsa_exception_fp_ieee_underflow 0
		.amdhsa_exception_fp_ieee_inexact 0
		.amdhsa_exception_int_div_zero 0
	.end_amdhsa_kernel
	.section	.text._ZN4vllm3moe17topkGatingSoftmaxIDF16_Li4ELi4ELi8ELi8ELb1ELi4ELNS0_23SharedExpertScoringFuncE1EEEvPKT_PKbPfiPiS9_iiiiii,"axG",@progbits,_ZN4vllm3moe17topkGatingSoftmaxIDF16_Li4ELi4ELi8ELi8ELb1ELi4ELNS0_23SharedExpertScoringFuncE1EEEvPKT_PKbPfiPiS9_iiiiii,comdat
.Lfunc_end132:
	.size	_ZN4vllm3moe17topkGatingSoftmaxIDF16_Li4ELi4ELi8ELi8ELb1ELi4ELNS0_23SharedExpertScoringFuncE1EEEvPKT_PKbPfiPiS9_iiiiii, .Lfunc_end132-_ZN4vllm3moe17topkGatingSoftmaxIDF16_Li4ELi4ELi8ELi8ELb1ELi4ELNS0_23SharedExpertScoringFuncE1EEEvPKT_PKbPfiPiS9_iiiiii
                                        ; -- End function
	.section	.AMDGPU.csdata,"",@progbits
; Kernel info:
; codeLenInByte = 2068
; NumSgprs: 28
; NumVgprs: 28
; NumAgprs: 0
; TotalNumVgprs: 28
; ScratchSize: 0
; MemoryBound: 0
; FloatMode: 240
; IeeeMode: 1
; LDSByteSize: 0 bytes/workgroup (compile time only)
; SGPRBlocks: 3
; VGPRBlocks: 3
; NumSGPRsForWavesPerEU: 28
; NumVGPRsForWavesPerEU: 28
; AccumOffset: 28
; Occupancy: 8
; WaveLimiterHint : 0
; COMPUTE_PGM_RSRC2:SCRATCH_EN: 0
; COMPUTE_PGM_RSRC2:USER_SGPR: 6
; COMPUTE_PGM_RSRC2:TRAP_HANDLER: 0
; COMPUTE_PGM_RSRC2:TGID_X_EN: 1
; COMPUTE_PGM_RSRC2:TGID_Y_EN: 0
; COMPUTE_PGM_RSRC2:TGID_Z_EN: 0
; COMPUTE_PGM_RSRC2:TIDIG_COMP_CNT: 1
; COMPUTE_PGM_RSRC3_GFX90A:ACCUM_OFFSET: 6
; COMPUTE_PGM_RSRC3_GFX90A:TG_SPLIT: 0
	.section	.text._ZN4vllm3moe17topkGatingSoftmaxIDF16_Li4ELi4ELi8ELi8ELb0ELi4ELNS0_23SharedExpertScoringFuncE1EEEvPKT_PKbPfiPiS9_iiiiii,"axG",@progbits,_ZN4vllm3moe17topkGatingSoftmaxIDF16_Li4ELi4ELi8ELi8ELb0ELi4ELNS0_23SharedExpertScoringFuncE1EEEvPKT_PKbPfiPiS9_iiiiii,comdat
	.protected	_ZN4vllm3moe17topkGatingSoftmaxIDF16_Li4ELi4ELi8ELi8ELb0ELi4ELNS0_23SharedExpertScoringFuncE1EEEvPKT_PKbPfiPiS9_iiiiii ; -- Begin function _ZN4vllm3moe17topkGatingSoftmaxIDF16_Li4ELi4ELi8ELi8ELb0ELi4ELNS0_23SharedExpertScoringFuncE1EEEvPKT_PKbPfiPiS9_iiiiii
	.globl	_ZN4vllm3moe17topkGatingSoftmaxIDF16_Li4ELi4ELi8ELi8ELb0ELi4ELNS0_23SharedExpertScoringFuncE1EEEvPKT_PKbPfiPiS9_iiiiii
	.p2align	8
	.type	_ZN4vllm3moe17topkGatingSoftmaxIDF16_Li4ELi4ELi8ELi8ELb0ELi4ELNS0_23SharedExpertScoringFuncE1EEEvPKT_PKbPfiPiS9_iiiiii,@function
_ZN4vllm3moe17topkGatingSoftmaxIDF16_Li4ELi4ELi8ELi8ELb0ELi4ELNS0_23SharedExpertScoringFuncE1EEEvPKT_PKbPfiPiS9_iiiiii: ; @_ZN4vllm3moe17topkGatingSoftmaxIDF16_Li4ELi4ELi8ELi8ELb0ELi4ELNS0_23SharedExpertScoringFuncE1EEEvPKT_PKbPfiPiS9_iiiiii
; %bb.0:
	s_load_dword s22, s[4:5], 0x18
	v_bfe_u32 v1, v0, 10, 10
	s_lshl_b32 s23, s6, 9
	v_lshlrev_b32_e32 v17, 6, v1
	v_and_b32_e32 v18, 0x3ff, v0
	v_add3_u32 v19, v17, v18, s23
	s_waitcnt lgkmcnt(0)
	v_cmp_gt_i32_e32 vcc, s22, v19
	s_and_saveexec_b64 s[0:1], vcc
	s_cbranch_execz .LBB133_19
; %bb.1:
	s_load_dwordx4 s[0:3], s[4:5], 0x0
	s_load_dwordx2 s[12:13], s[4:5], 0x10
	s_waitcnt lgkmcnt(0)
	s_cmp_eq_u64 s[2:3], 0
	s_cbranch_scc1 .LBB133_3
; %bb.2:
	v_ashrrev_i32_e32 v1, 31, v19
	v_mov_b32_e32 v2, s3
	v_add_co_u32_e32 v0, vcc, s2, v19
	v_addc_co_u32_e32 v1, vcc, v2, v1, vcc
	global_load_ubyte v0, v[0:1], off
	s_waitcnt vmcnt(0)
	v_and_b32_e32 v0, 1, v0
	v_cmp_eq_u32_e32 vcc, 1, v0
	s_xor_b64 s[2:3], vcc, -1
	s_orn2_b64 s[14:15], s[2:3], exec
	s_branch .LBB133_4
.LBB133_3:
	s_mov_b64 s[14:15], -1
.LBB133_4:
	s_load_dwordx2 s[18:19], s[4:5], 0x40
	s_load_dwordx4 s[8:11], s[4:5], 0x30
	v_mov_b32_e32 v2, s1
	s_mov_b32 s20, 0x3fb8aa3b
	s_mov_b32 s21, 0x42b17218
	s_waitcnt lgkmcnt(0)
	v_mul_lo_u32 v0, v19, s19
	v_ashrrev_i32_e32 v1, 31, v0
	v_lshlrev_b64 v[0:1], 1, v[0:1]
	v_add_co_u32_e32 v0, vcc, s0, v0
	v_addc_co_u32_e32 v1, vcc, v2, v1, vcc
	global_load_dwordx4 v[8:11], v[0:1], off
	v_mul_lo_u32 v0, v19, s11
	v_add_u32_e32 v2, s8, v0
	v_ashrrev_i32_e32 v3, 31, v2
	v_lshlrev_b64 v[2:3], 2, v[2:3]
	v_mov_b32_e32 v1, s13
	v_add_co_u32_e32 v14, vcc, s12, v2
	v_addc_co_u32_e32 v15, vcc, v1, v3, vcc
	s_mov_b32 s0, 0x32a5705f
	s_mov_b32 s19, 0xc2ce8ed0
	v_mov_b32_e32 v7, 0x7f800000
	s_cmp_gt_i32 s8, 0
	v_mov_b32_e32 v16, 0
	s_cselect_b64 s[16:17], -1, 0
	s_cmp_lt_i32 s8, 1
	s_waitcnt vmcnt(0)
	v_cvt_f32_f16_e64 v1, -v10
	v_cvt_f32_f16_sdwa v6, -v10 dst_sel:DWORD dst_unused:UNUSED_PAD src0_sel:WORD_1
	v_cvt_f32_f16_e32 v2, v9
	v_cvt_f32_f16_sdwa v3, v9 dst_sel:DWORD dst_unused:UNUSED_PAD src0_sel:WORD_1
	v_cvt_f32_f16_e64 v9, -v11
	v_cvt_f32_f16_sdwa v13, -v11 dst_sel:DWORD dst_unused:UNUSED_PAD src0_sel:WORD_1
	v_mul_f32_e32 v12, 0x3fb8aa3b, v1
	v_mul_f32_e32 v20, 0x3fb8aa3b, v6
	v_fma_mix_f32 v23, -v10, s20, -v12 op_sel_hi:[1,0,0]
	v_rndne_f32_e32 v24, v12
	v_mul_f32_e32 v21, 0x3fb8aa3b, v9
	v_fma_mix_f32 v25, -v10, s20, -v20 op_sel:[1,0,0] op_sel_hi:[1,0,0]
	v_rndne_f32_e32 v26, v20
	v_fma_mix_f32 v23, -v10, s0, v23 op_sel_hi:[1,0,0]
	v_sub_f32_e32 v12, v12, v24
	v_mul_f32_e32 v22, 0x3fb8aa3b, v13
	v_fma_mix_f32 v27, -v11, s20, -v21 op_sel_hi:[1,0,0]
	v_rndne_f32_e32 v28, v21
	v_fma_mix_f32 v10, -v10, s0, v25 op_sel:[1,0,0] op_sel_hi:[1,0,0]
	v_sub_f32_e32 v20, v20, v26
	v_add_f32_e32 v12, v12, v23
	v_fma_mix_f32 v29, -v11, s20, -v22 op_sel:[1,0,0] op_sel_hi:[1,0,0]
	v_rndne_f32_e32 v30, v22
	v_cvt_i32_f32_e32 v24, v24
	v_cvt_i32_f32_e32 v25, v26
	v_fma_mix_f32 v26, -v11, s0, v27 op_sel_hi:[1,0,0]
	v_sub_f32_e32 v21, v21, v28
	v_add_f32_e32 v10, v20, v10
	v_exp_f32_e32 v12, v12
	v_fma_mix_f32 v11, -v11, s0, v29 op_sel:[1,0,0] op_sel_hi:[1,0,0]
	v_sub_f32_e32 v22, v22, v30
	v_add_f32_e32 v20, v21, v26
	v_exp_f32_e32 v10, v10
	v_cvt_i32_f32_e32 v27, v28
	v_add_f32_e32 v11, v22, v11
	v_exp_f32_e32 v20, v20
	v_cvt_i32_f32_e32 v28, v30
	v_exp_f32_e32 v11, v11
	v_ldexp_f32 v12, v12, v24
	v_cmp_ngt_f32_e32 vcc, s19, v1
	v_ldexp_f32 v10, v10, v25
	v_cndmask_b32_e32 v12, 0, v12, vcc
	v_cmp_ngt_f32_e32 vcc, s19, v6
	v_ldexp_f32 v20, v20, v27
	v_cndmask_b32_e32 v21, 0, v10, vcc
	;; [unrolled: 3-line block ×3, first 2 shown]
	v_cmp_ngt_f32_e32 vcc, s19, v13
	v_cndmask_b32_e32 v22, 0, v11, vcc
	v_cmp_nlt_f32_e32 vcc, s21, v1
	v_cndmask_b32_e32 v10, v7, v12, vcc
	v_cmp_nlt_f32_e32 vcc, s21, v6
	v_cndmask_b32_e32 v11, v7, v21, vcc
	v_pk_add_f32 v[10:11], v[10:11], 1.0 op_sel_hi:[1,0]
	v_cmp_nlt_f32_e32 vcc, s21, v9
	v_div_scale_f32 v1, s[0:1], v11, v11, 1.0
	v_cndmask_b32_e32 v12, v7, v20, vcc
	v_cmp_nlt_f32_e32 vcc, s21, v13
	v_div_scale_f32 v9, s[0:1], v10, v10, 1.0
	v_rcp_f32_e32 v21, v1
	v_cndmask_b32_e32 v13, v7, v22, vcc
	v_rcp_f32_e32 v22, v9
	v_div_scale_f32 v6, vcc, 1.0, v11, 1.0
	v_fma_f32 v25, -v1, v21, 1.0
	v_fma_f32 v26, -v9, v22, 1.0
	v_fmac_f32_e32 v21, v25, v21
	v_pk_add_f32 v[12:13], v[12:13], 1.0 op_sel_hi:[1,0]
	v_div_scale_f32 v20, s[0:1], 1.0, v10, 1.0
	v_fmac_f32_e32 v22, v26, v22
	v_mul_f32_e32 v25, v6, v21
	v_div_scale_f32 v23, s[2:3], v13, v13, 1.0
	v_mul_f32_e32 v26, v20, v22
	v_fma_f32 v27, -v1, v25, v6
	v_rcp_f32_e32 v24, v23
	v_fma_f32 v28, -v9, v26, v20
	v_fmac_f32_e32 v25, v27, v21
	v_fmac_f32_e32 v26, v28, v22
	v_fma_f32 v1, -v1, v25, v6
	v_fma_f32 v6, -v9, v26, v20
	v_div_fmas_f32 v1, v1, v21, v25
	s_mov_b64 vcc, s[0:1]
	v_div_fixup_f32 v11, v1, v11, 1.0
	v_div_fmas_f32 v1, v6, v22, v26
	v_div_fixup_f32 v10, v1, v10, 1.0
	v_fma_f32 v1, -v23, v24, 1.0
	v_fmac_f32_e32 v24, v1, v24
	v_div_scale_f32 v1, vcc, 1.0, v13, 1.0
	v_mul_f32_e32 v6, v1, v24
	v_fma_f32 v9, -v23, v6, v1
	v_fmac_f32_e32 v6, v9, v24
	v_div_scale_f32 v9, s[0:1], v12, v12, 1.0
	v_rcp_f32_e32 v20, v9
	v_fma_f32 v1, -v23, v6, v1
	v_div_fmas_f32 v1, v1, v24, v6
	v_div_fixup_f32 v13, v1, v13, 1.0
	v_fma_f32 v1, -v9, v20, 1.0
	v_fmac_f32_e32 v20, v1, v20
	v_div_scale_f32 v1, vcc, 1.0, v12, 1.0
	v_mul_f32_e32 v6, v1, v20
	v_cvt_f32_f16_e32 v4, v8
	v_cvt_f32_f16_sdwa v5, v8 dst_sel:DWORD dst_unused:UNUSED_PAD src0_sel:WORD_1
	v_fma_f32 v21, -v9, v6, v1
	v_fmac_f32_e32 v6, v21, v20
	v_fma_f32 v1, -v9, v6, v1
	v_div_fmas_f32 v1, v1, v20, v6
	v_cmp_lt_f16_sdwa vcc, v8, v8 src0_sel:DWORD src1_sel:WORD_1
	v_div_fixup_f32 v12, v1, v12, 1.0
	v_cndmask_b32_e32 v1, v4, v5, vcc
	v_cmp_lt_f32_e64 s[0:1], v1, v2
	v_cndmask_b32_e64 v1, v1, v2, s[0:1]
	v_cmp_lt_f32_e64 s[2:3], v1, v3
	v_cndmask_b32_e64 v6, v1, v3, s[2:3]
	global_store_dwordx4 v[14:15], v[10:13], off
	s_cbranch_scc1 .LBB133_8
; %bb.5:
	v_cndmask_b32_e64 v1, 0, 1, vcc
	v_cndmask_b32_e64 v1, v1, 2, s[0:1]
	v_cndmask_b32_e64 v22, v1, 3, s[2:3]
	v_sub_f32_e32 v1, v6, v6
	v_mul_f32_e32 v9, 0x3fb8aa3b, v1
	v_rndne_f32_e32 v10, v9
	v_sub_f32_e32 v11, v9, v10
	v_fma_f32 v9, v1, s20, -v9
	v_fmac_f32_e32 v9, 0x32a5705f, v1
	v_add_f32_e32 v9, v11, v9
	v_exp_f32_e32 v9, v9
	v_cvt_i32_f32_e32 v10, v10
	v_cmp_le_i32_e32 vcc, s9, v22
	v_cmp_gt_i32_e64 s[0:1], s10, v22
	s_and_b64 s[2:3], vcc, s[0:1]
	v_ldexp_f32 v9, v9, v10
	v_cmp_ngt_f32_e32 vcc, s19, v1
	s_load_dwordx4 s[4:7], s[4:5], 0x20
	v_cndmask_b32_e32 v9, 0, v9, vcc
	v_cmp_nlt_f32_e32 vcc, s21, v1
	v_ashrrev_i32_e32 v1, 31, v0
	v_lshlrev_b64 v[12:13], 2, v[0:1]
	v_mul_lo_u32 v8, v19, s18
	v_cndmask_b32_e32 v16, v7, v9, vcc
	v_mov_b32_e32 v1, s13
	v_add_co_u32_e32 v14, vcc, s12, v12
	v_addc_co_u32_e64 v15, s[0:1], v1, v13, vcc
	v_ashrrev_i32_e32 v9, 31, v8
	v_subrev_u32_e32 v1, s9, v22
	s_and_b64 s[0:1], s[14:15], s[2:3]
	v_lshlrev_b64 v[10:11], 2, v[8:9]
	v_mul_lo_u32 v20, v19, s8
	v_cndmask_b32_e64 v1, 4, v1, s[0:1]
	s_waitcnt lgkmcnt(0)
	v_mov_b32_e32 v9, s5
	v_add_co_u32_e64 v8, s[0:1], s4, v10
	v_addc_co_u32_e64 v9, s[0:1], v9, v11, s[0:1]
	v_ashrrev_i32_e32 v21, 31, v20
	global_store_dword v[8:9], v1, off
	v_lshlrev_b64 v[8:9], 2, v[20:21]
	v_mov_b32_e32 v1, s7
	v_add_co_u32_e64 v20, s[0:1], s6, v8
	v_addc_co_u32_e64 v21, s[0:1], v1, v9, s[0:1]
	v_mov_b32_e32 v1, 0xff800000
	v_cmp_ne_u32_e64 s[0:1], 3, v22
	v_cndmask_b32_e64 v3, v1, v3, s[0:1]
	v_cmp_ne_u32_e64 s[0:1], 2, v22
	v_cndmask_b32_e64 v2, v1, v2, s[0:1]
	;; [unrolled: 2-line block ×3, first 2 shown]
	v_cmp_ne_u32_e64 s[0:1], 0, v22
	s_cmp_eq_u32 s8, 1
	v_cndmask_b32_e64 v4, v1, v4, s[0:1]
	global_store_dword v[14:15], v16, off
	global_store_dword v[20:21], v19, off
	s_cbranch_scc1 .LBB133_8
; %bb.6:
	v_mov_b32_e32 v12, s7
	v_add_co_u32_e64 v8, s[0:1], s6, v8
	v_addc_co_u32_e64 v9, s[0:1], v9, v12, s[0:1]
	v_add_co_u32_e64 v8, s[0:1], 4, v8
	v_addc_co_u32_e64 v9, s[0:1], 0, v9, s[0:1]
	v_mov_b32_e32 v12, s5
	v_add_co_u32_e64 v10, s[0:1], s4, v10
	v_addc_co_u32_e64 v11, s[0:1], v11, v12, s[0:1]
	v_mov_b32_e32 v12, s13
	v_addc_co_u32_e32 v13, vcc, v13, v12, vcc
	v_add_co_u32_e64 v10, s[0:1], 4, v10
	v_add_co_u32_e32 v12, vcc, 4, v14
	s_add_i32 s23, s23, s22
	v_addc_co_u32_e64 v11, s[0:1], 0, v11, s[0:1]
	v_addc_co_u32_e32 v13, vcc, 0, v13, vcc
	s_add_i32 s4, s8, -1
	v_add3_u32 v14, s23, v18, v17
	s_mov_b32 s5, 0x3fb8aa3b
	s_mov_b32 s6, 0xc2ce8ed0
	;; [unrolled: 1-line block ×3, first 2 shown]
	v_mov_b32_e32 v15, 0x7f800000
.LBB133_7:                              ; =>This Inner Loop Header: Depth=1
	v_cmp_gt_f32_e32 vcc, v5, v4
	v_cndmask_b32_e32 v17, v4, v5, vcc
	v_cmp_gt_f32_e64 s[0:1], v2, v17
	v_cndmask_b32_e64 v17, v17, v2, s[0:1]
	v_cndmask_b32_e64 v18, 0, 1, vcc
	v_cmp_gt_f32_e32 vcc, v3, v17
	v_cndmask_b32_e64 v18, v18, 2, s[0:1]
	v_cndmask_b32_e64 v18, v18, 3, vcc
	v_cndmask_b32_e32 v17, v17, v3, vcc
	v_cmp_ne_u32_e64 s[2:3], 3, v18
	v_sub_f32_e32 v17, v17, v6
	v_cndmask_b32_e64 v3, v1, v3, s[2:3]
	v_cmp_ne_u32_e64 s[2:3], 2, v18
	v_cmp_le_i32_e32 vcc, s9, v18
	v_cmp_gt_i32_e64 s[0:1], s10, v18
	v_mul_f32_e32 v19, 0x3fb8aa3b, v17
	v_cndmask_b32_e64 v2, v1, v2, s[2:3]
	v_cmp_ne_u32_e64 s[2:3], 1, v18
	v_subrev_u32_e32 v20, s9, v18
	v_cndmask_b32_e64 v5, v1, v5, s[2:3]
	v_cmp_ne_u32_e64 s[2:3], 0, v18
	s_and_b64 s[0:1], vcc, s[0:1]
	v_fma_f32 v18, v17, s5, -v19
	v_rndne_f32_e32 v21, v19
	v_fmac_f32_e32 v18, 0x32a5705f, v17
	v_sub_f32_e32 v19, v19, v21
	s_and_b64 vcc, s[14:15], s[0:1]
	v_cndmask_b32_e32 v20, 4, v20, vcc
	v_add_f32_e32 v18, v19, v18
	v_cvt_i32_f32_e32 v21, v21
	global_store_dword v[10:11], v20, off
	global_store_dword v[8:9], v14, off
	v_add_co_u32_e32 v8, vcc, 4, v8
	v_exp_f32_e32 v18, v18
	v_addc_co_u32_e32 v9, vcc, 0, v9, vcc
	v_add_co_u32_e32 v10, vcc, 4, v10
	v_addc_co_u32_e32 v11, vcc, 0, v11, vcc
	v_ldexp_f32 v18, v18, v21
	v_cmp_ngt_f32_e32 vcc, s6, v17
	v_cndmask_b32_e32 v18, 0, v18, vcc
	v_cmp_nlt_f32_e32 vcc, s7, v17
	v_cndmask_b32_e32 v17, v15, v18, vcc
	s_add_i32 s4, s4, -1
	global_store_dword v[12:13], v17, off
	v_add_co_u32_e32 v12, vcc, 4, v12
	v_cndmask_b32_e64 v4, v1, v4, s[2:3]
	v_add_u32_e32 v14, s22, v14
	s_cmp_eq_u32 s4, 0
	v_add_f32_e32 v16, v16, v17
	v_addc_co_u32_e32 v13, vcc, 0, v13, vcc
	s_cbranch_scc0 .LBB133_7
.LBB133_8:
	v_pk_add_f32 v[4:5], v[4:5], v[6:7] op_sel_hi:[1,0] neg_lo:[0,1] neg_hi:[0,1]
	v_mul_f32_e32 v1, 0x3fb8aa3b, v5
	v_fma_f32 v8, v5, s20, -v1
	v_rndne_f32_e32 v9, v1
	v_fmac_f32_e32 v8, 0x32a5705f, v5
	v_sub_f32_e32 v1, v1, v9
	v_add_f32_e32 v1, v1, v8
	v_cvt_i32_f32_e32 v8, v9
	v_exp_f32_e32 v1, v1
	v_cmp_ngt_f32_e32 vcc, s19, v5
	v_sub_f32_e32 v2, v2, v6
	v_sub_f32_e32 v3, v3, v6
	v_ldexp_f32 v1, v1, v8
	v_mul_f32_e32 v8, 0x3fb8aa3b, v4
	v_fma_f32 v9, v4, s20, -v8
	v_rndne_f32_e32 v10, v8
	v_fmac_f32_e32 v9, 0x32a5705f, v4
	v_sub_f32_e32 v8, v8, v10
	v_add_f32_e32 v8, v8, v9
	v_exp_f32_e32 v8, v8
	v_cvt_i32_f32_e32 v9, v10
	v_cndmask_b32_e32 v1, 0, v1, vcc
	v_cmp_nlt_f32_e32 vcc, s21, v5
	v_cndmask_b32_e32 v1, v7, v1, vcc
	v_ldexp_f32 v5, v8, v9
	v_mul_f32_e32 v8, 0x3fb8aa3b, v2
	v_fma_f32 v9, v2, s20, -v8
	v_rndne_f32_e32 v10, v8
	v_fmac_f32_e32 v9, 0x32a5705f, v2
	v_sub_f32_e32 v8, v8, v10
	v_add_f32_e32 v8, v8, v9
	v_exp_f32_e32 v8, v8
	v_cvt_i32_f32_e32 v9, v10
	v_cmp_ngt_f32_e32 vcc, s19, v4
	v_cndmask_b32_e32 v5, 0, v5, vcc
	v_cmp_nlt_f32_e32 vcc, s21, v4
	v_cndmask_b32_e32 v4, v7, v5, vcc
	v_mul_f32_e32 v5, 0x3fb8aa3b, v3
	v_add_f32_e32 v1, v4, v1
	v_ldexp_f32 v4, v8, v9
	v_fma_f32 v6, v3, s20, -v5
	v_rndne_f32_e32 v8, v5
	v_fmac_f32_e32 v6, 0x32a5705f, v3
	v_sub_f32_e32 v5, v5, v8
	v_add_f32_e32 v5, v5, v6
	v_exp_f32_e32 v5, v5
	v_cvt_i32_f32_e32 v6, v8
	v_cmp_ngt_f32_e32 vcc, s19, v2
	v_cndmask_b32_e32 v4, 0, v4, vcc
	v_cmp_nlt_f32_e32 vcc, s21, v2
	v_cndmask_b32_e32 v2, v7, v4, vcc
	v_add_f32_e32 v1, v1, v2
	v_ldexp_f32 v2, v5, v6
	v_cmp_ngt_f32_e32 vcc, s19, v3
	v_cndmask_b32_e32 v2, 0, v2, vcc
	v_cmp_nlt_f32_e32 vcc, s21, v3
	v_cndmask_b32_e32 v2, v7, v2, vcc
	v_add_f32_e32 v1, v1, v2
	v_add_f32_e32 v1, v16, v1
	v_cmp_neq_f32_e32 vcc, 0, v1
	s_and_b64 exec, exec, vcc
	s_cbranch_execz .LBB133_19
; %bb.9:
	s_andn2_b64 vcc, exec, s[16:17]
	s_cbranch_vccnz .LBB133_19
; %bb.10:
	v_div_scale_f32 v2, s[0:1], v1, v1, 1.0
	v_rcp_f32_e32 v3, v2
	v_div_scale_f32 v4, vcc, 1.0, v1, 1.0
	s_cmp_gt_u32 s8, 3
	v_fma_f32 v5, -v2, v3, 1.0
	v_fmac_f32_e32 v3, v5, v3
	v_mul_f32_e32 v5, v4, v3
	v_fma_f32 v6, -v2, v5, v4
	v_fmac_f32_e32 v5, v6, v3
	v_fma_f32 v2, -v2, v5, v4
	v_div_fmas_f32 v2, v2, v3, v5
	v_div_fixup_f32 v2, v2, v1, 1.0
	v_ashrrev_i32_e32 v1, 31, v0
	s_cbranch_scc0 .LBB133_14
; %bb.11:
	v_lshlrev_b64 v[4:5], 2, v[0:1]
	v_mov_b32_e32 v6, s13
	v_add_co_u32_e32 v4, vcc, s12, v4
	v_addc_co_u32_e32 v5, vcc, v5, v6, vcc
	s_and_b32 s4, s8, 0x7ffffffc
	v_add_co_u32_e32 v4, vcc, 8, v4
	v_mov_b32_e32 v3, v2
	v_addc_co_u32_e32 v5, vcc, 0, v5, vcc
	s_mov_b32 s0, s4
.LBB133_12:                             ; =>This Inner Loop Header: Depth=1
	global_load_dwordx4 v[6:9], v[4:5], off offset:-8
	s_add_i32 s0, s0, -4
	s_cmp_lg_u32 s0, 0
	s_waitcnt vmcnt(0)
	v_pk_mul_f32 v[6:7], v[2:3], v[6:7]
	v_pk_mul_f32 v[8:9], v[2:3], v[8:9]
	global_store_dwordx4 v[4:5], v[6:9], off offset:-8
	v_add_co_u32_e32 v4, vcc, 16, v4
	v_addc_co_u32_e32 v5, vcc, 0, v5, vcc
	s_cbranch_scc1 .LBB133_12
; %bb.13:
	s_cmp_lg_u32 s4, s8
	s_cselect_b64 s[0:1], -1, 0
	s_branch .LBB133_16
.LBB133_14:
	s_mov_b64 s[0:1], 0
                                        ; implicit-def: $sgpr4
	s_cbranch_execz .LBB133_16
; %bb.15:
	s_mov_b64 s[0:1], -1
	s_mov_b32 s4, 0
.LBB133_16:
	s_andn2_b64 vcc, exec, s[0:1]
	s_cbranch_vccnz .LBB133_19
; %bb.17:
	v_add_co_u32_e32 v0, vcc, s4, v0
	v_addc_co_u32_e32 v1, vcc, 0, v1, vcc
	v_lshlrev_b64 v[0:1], 2, v[0:1]
	v_mov_b32_e32 v3, s13
	v_add_co_u32_e32 v0, vcc, s12, v0
	s_sub_i32 s0, s8, s4
	v_addc_co_u32_e32 v1, vcc, v3, v1, vcc
.LBB133_18:                             ; =>This Inner Loop Header: Depth=1
	global_load_dword v3, v[0:1], off
	s_add_i32 s0, s0, -1
	s_cmp_lg_u32 s0, 0
	s_waitcnt vmcnt(0)
	v_mul_f32_e32 v3, v2, v3
	global_store_dword v[0:1], v3, off
	v_add_co_u32_e32 v0, vcc, 4, v0
	v_addc_co_u32_e32 v1, vcc, 0, v1, vcc
	s_cbranch_scc1 .LBB133_18
.LBB133_19:
	s_endpgm
	.section	.rodata,"a",@progbits
	.p2align	6, 0x0
	.amdhsa_kernel _ZN4vllm3moe17topkGatingSoftmaxIDF16_Li4ELi4ELi8ELi8ELb0ELi4ELNS0_23SharedExpertScoringFuncE1EEEvPKT_PKbPfiPiS9_iiiiii
		.amdhsa_group_segment_fixed_size 0
		.amdhsa_private_segment_fixed_size 0
		.amdhsa_kernarg_size 72
		.amdhsa_user_sgpr_count 6
		.amdhsa_user_sgpr_private_segment_buffer 1
		.amdhsa_user_sgpr_dispatch_ptr 0
		.amdhsa_user_sgpr_queue_ptr 0
		.amdhsa_user_sgpr_kernarg_segment_ptr 1
		.amdhsa_user_sgpr_dispatch_id 0
		.amdhsa_user_sgpr_flat_scratch_init 0
		.amdhsa_user_sgpr_kernarg_preload_length 0
		.amdhsa_user_sgpr_kernarg_preload_offset 0
		.amdhsa_user_sgpr_private_segment_size 0
		.amdhsa_uses_dynamic_stack 0
		.amdhsa_system_sgpr_private_segment_wavefront_offset 0
		.amdhsa_system_sgpr_workgroup_id_x 1
		.amdhsa_system_sgpr_workgroup_id_y 0
		.amdhsa_system_sgpr_workgroup_id_z 0
		.amdhsa_system_sgpr_workgroup_info 0
		.amdhsa_system_vgpr_workitem_id 1
		.amdhsa_next_free_vgpr 31
		.amdhsa_next_free_sgpr 24
		.amdhsa_accum_offset 32
		.amdhsa_reserve_vcc 1
		.amdhsa_reserve_flat_scratch 0
		.amdhsa_float_round_mode_32 0
		.amdhsa_float_round_mode_16_64 0
		.amdhsa_float_denorm_mode_32 3
		.amdhsa_float_denorm_mode_16_64 3
		.amdhsa_dx10_clamp 1
		.amdhsa_ieee_mode 1
		.amdhsa_fp16_overflow 0
		.amdhsa_tg_split 0
		.amdhsa_exception_fp_ieee_invalid_op 0
		.amdhsa_exception_fp_denorm_src 0
		.amdhsa_exception_fp_ieee_div_zero 0
		.amdhsa_exception_fp_ieee_overflow 0
		.amdhsa_exception_fp_ieee_underflow 0
		.amdhsa_exception_fp_ieee_inexact 0
		.amdhsa_exception_int_div_zero 0
	.end_amdhsa_kernel
	.section	.text._ZN4vllm3moe17topkGatingSoftmaxIDF16_Li4ELi4ELi8ELi8ELb0ELi4ELNS0_23SharedExpertScoringFuncE1EEEvPKT_PKbPfiPiS9_iiiiii,"axG",@progbits,_ZN4vllm3moe17topkGatingSoftmaxIDF16_Li4ELi4ELi8ELi8ELb0ELi4ELNS0_23SharedExpertScoringFuncE1EEEvPKT_PKbPfiPiS9_iiiiii,comdat
.Lfunc_end133:
	.size	_ZN4vllm3moe17topkGatingSoftmaxIDF16_Li4ELi4ELi8ELi8ELb0ELi4ELNS0_23SharedExpertScoringFuncE1EEEvPKT_PKbPfiPiS9_iiiiii, .Lfunc_end133-_ZN4vllm3moe17topkGatingSoftmaxIDF16_Li4ELi4ELi8ELi8ELb0ELi4ELNS0_23SharedExpertScoringFuncE1EEEvPKT_PKbPfiPiS9_iiiiii
                                        ; -- End function
	.section	.AMDGPU.csdata,"",@progbits
; Kernel info:
; codeLenInByte = 2384
; NumSgprs: 28
; NumVgprs: 31
; NumAgprs: 0
; TotalNumVgprs: 31
; ScratchSize: 0
; MemoryBound: 0
; FloatMode: 240
; IeeeMode: 1
; LDSByteSize: 0 bytes/workgroup (compile time only)
; SGPRBlocks: 3
; VGPRBlocks: 3
; NumSGPRsForWavesPerEU: 28
; NumVGPRsForWavesPerEU: 31
; AccumOffset: 32
; Occupancy: 8
; WaveLimiterHint : 0
; COMPUTE_PGM_RSRC2:SCRATCH_EN: 0
; COMPUTE_PGM_RSRC2:USER_SGPR: 6
; COMPUTE_PGM_RSRC2:TRAP_HANDLER: 0
; COMPUTE_PGM_RSRC2:TGID_X_EN: 1
; COMPUTE_PGM_RSRC2:TGID_Y_EN: 0
; COMPUTE_PGM_RSRC2:TGID_Z_EN: 0
; COMPUTE_PGM_RSRC2:TIDIG_COMP_CNT: 1
; COMPUTE_PGM_RSRC3_GFX90A:ACCUM_OFFSET: 7
; COMPUTE_PGM_RSRC3_GFX90A:TG_SPLIT: 0
	.section	.text._ZN4vllm3moe17topkGatingSoftmaxIDF16_Li4ELi4ELi8ELi8ELb1ELi8ELNS0_23SharedExpertScoringFuncE1EEEvPKT_PKbPfiPiS9_iiiiii,"axG",@progbits,_ZN4vllm3moe17topkGatingSoftmaxIDF16_Li4ELi4ELi8ELi8ELb1ELi8ELNS0_23SharedExpertScoringFuncE1EEEvPKT_PKbPfiPiS9_iiiiii,comdat
	.protected	_ZN4vllm3moe17topkGatingSoftmaxIDF16_Li4ELi4ELi8ELi8ELb1ELi8ELNS0_23SharedExpertScoringFuncE1EEEvPKT_PKbPfiPiS9_iiiiii ; -- Begin function _ZN4vllm3moe17topkGatingSoftmaxIDF16_Li4ELi4ELi8ELi8ELb1ELi8ELNS0_23SharedExpertScoringFuncE1EEEvPKT_PKbPfiPiS9_iiiiii
	.globl	_ZN4vllm3moe17topkGatingSoftmaxIDF16_Li4ELi4ELi8ELi8ELb1ELi8ELNS0_23SharedExpertScoringFuncE1EEEvPKT_PKbPfiPiS9_iiiiii
	.p2align	8
	.type	_ZN4vllm3moe17topkGatingSoftmaxIDF16_Li4ELi4ELi8ELi8ELb1ELi8ELNS0_23SharedExpertScoringFuncE1EEEvPKT_PKbPfiPiS9_iiiiii,@function
_ZN4vllm3moe17topkGatingSoftmaxIDF16_Li4ELi4ELi8ELi8ELb1ELi8ELNS0_23SharedExpertScoringFuncE1EEEvPKT_PKbPfiPiS9_iiiiii: ; @_ZN4vllm3moe17topkGatingSoftmaxIDF16_Li4ELi4ELi8ELi8ELb1ELi8ELNS0_23SharedExpertScoringFuncE1EEEvPKT_PKbPfiPiS9_iiiiii
; %bb.0:
	s_load_dword s18, s[4:5], 0x18
	v_bfe_u32 v1, v0, 10, 10
	s_lshl_b32 s19, s6, 9
	v_lshlrev_b32_e32 v15, 6, v1
	v_and_b32_e32 v16, 0x3ff, v0
	v_add3_u32 v17, v15, v16, s19
	s_waitcnt lgkmcnt(0)
	v_cmp_gt_i32_e32 vcc, s18, v17
	s_and_saveexec_b64 s[0:1], vcc
	s_cbranch_execz .LBB134_19
; %bb.1:
	s_load_dwordx4 s[0:3], s[4:5], 0x0
	s_load_dwordx2 s[12:13], s[4:5], 0x10
	s_waitcnt lgkmcnt(0)
	s_cmp_eq_u64 s[2:3], 0
	s_cbranch_scc1 .LBB134_3
; %bb.2:
	v_ashrrev_i32_e32 v1, 31, v17
	v_mov_b32_e32 v2, s3
	v_add_co_u32_e32 v0, vcc, s2, v17
	v_addc_co_u32_e32 v1, vcc, v2, v1, vcc
	global_load_ubyte v0, v[0:1], off
	s_waitcnt vmcnt(0)
	v_and_b32_e32 v0, 1, v0
	v_cmp_eq_u32_e32 vcc, 1, v0
	s_xor_b64 s[2:3], vcc, -1
	s_orn2_b64 s[14:15], s[2:3], exec
	s_branch .LBB134_4
.LBB134_3:
	s_mov_b64 s[14:15], -1
.LBB134_4:
	s_load_dwordx2 s[2:3], s[4:5], 0x40
	s_load_dwordx4 s[8:11], s[4:5], 0x30
	v_mov_b32_e32 v2, s1
	v_mov_b32_e32 v10, s13
	s_mov_b32 s20, 0x3fb8aa3b
	s_waitcnt lgkmcnt(0)
	v_mul_lo_u32 v0, v17, s3
	v_ashrrev_i32_e32 v1, 31, v0
	v_lshlrev_b64 v[0:1], 1, v[0:1]
	v_add_co_u32_e32 v8, vcc, s0, v0
	v_addc_co_u32_e32 v9, vcc, v2, v1, vcc
	global_load_dwordx4 v[0:3], v[8:9], off
	global_load_dwordx2 v[12:13], v[8:9], off offset:16
	v_mul_lo_u32 v4, v17, s11
	v_add_u32_e32 v6, s8, v4
	v_ashrrev_i32_e32 v7, 31, v6
	v_lshlrev_b64 v[6:7], 2, v[6:7]
	v_add_co_u32_e32 v6, vcc, s12, v6
	v_addc_co_u32_e32 v7, vcc, v10, v7, vcc
	s_mov_b32 s6, 0x32a5705f
	s_mov_b32 s3, 0xc2ce8ed0
	;; [unrolled: 1-line block ×3, first 2 shown]
	v_mov_b32_e32 v5, 0x7f800000
	s_cmp_gt_i32 s8, 0
	v_mov_b32_e32 v14, 0
	s_cselect_b64 s[16:17], -1, 0
	s_cmp_lt_i32 s8, 1
	s_waitcnt vmcnt(1)
	v_cvt_f32_f16_e64 v8, -v2
	v_cvt_f32_f16_sdwa v9, -v2 dst_sel:DWORD dst_unused:UNUSED_PAD src0_sel:WORD_1
	v_cvt_f32_f16_e64 v10, -v3
	v_cvt_f32_f16_sdwa v11, -v3 dst_sel:DWORD dst_unused:UNUSED_PAD src0_sel:WORD_1
	v_mul_f32_e32 v18, 0x3fb8aa3b, v8
	v_mul_f32_e32 v19, 0x3fb8aa3b, v9
	v_fma_mix_f32 v22, -v2, s20, -v18 op_sel_hi:[1,0,0]
	v_rndne_f32_e32 v23, v18
	v_mul_f32_e32 v20, 0x3fb8aa3b, v10
	v_fma_mix_f32 v24, -v2, s20, -v19 op_sel:[1,0,0] op_sel_hi:[1,0,0]
	v_rndne_f32_e32 v25, v19
	v_fma_mix_f32 v22, -v2, s6, v22 op_sel_hi:[1,0,0]
	v_sub_f32_e32 v18, v18, v23
	v_mul_f32_e32 v21, 0x3fb8aa3b, v11
	v_fma_mix_f32 v26, -v3, s20, -v20 op_sel_hi:[1,0,0]
	v_rndne_f32_e32 v27, v20
	v_fma_mix_f32 v2, -v2, s6, v24 op_sel:[1,0,0] op_sel_hi:[1,0,0]
	v_sub_f32_e32 v19, v19, v25
	v_add_f32_e32 v18, v18, v22
	v_fma_mix_f32 v28, -v3, s20, -v21 op_sel:[1,0,0] op_sel_hi:[1,0,0]
	v_rndne_f32_e32 v29, v21
	v_cvt_i32_f32_e32 v23, v23
	v_cvt_i32_f32_e32 v24, v25
	v_fma_mix_f32 v25, -v3, s6, v26 op_sel_hi:[1,0,0]
	v_sub_f32_e32 v20, v20, v27
	v_add_f32_e32 v2, v19, v2
	v_exp_f32_e32 v18, v18
	v_fma_mix_f32 v3, -v3, s6, v28 op_sel:[1,0,0] op_sel_hi:[1,0,0]
	v_sub_f32_e32 v21, v21, v29
	v_add_f32_e32 v19, v20, v25
	v_exp_f32_e32 v2, v2
	v_cvt_i32_f32_e32 v26, v27
	v_add_f32_e32 v3, v21, v3
	v_exp_f32_e32 v19, v19
	v_cvt_i32_f32_e32 v27, v29
	v_exp_f32_e32 v3, v3
	v_ldexp_f32 v18, v18, v23
	v_cmp_ngt_f32_e32 vcc, s3, v8
	v_ldexp_f32 v2, v2, v24
	v_cndmask_b32_e32 v18, 0, v18, vcc
	v_cmp_ngt_f32_e32 vcc, s3, v9
	v_ldexp_f32 v19, v19, v26
	v_cndmask_b32_e32 v20, 0, v2, vcc
	;; [unrolled: 3-line block ×3, first 2 shown]
	v_cmp_ngt_f32_e32 vcc, s3, v11
	v_cndmask_b32_e32 v21, 0, v3, vcc
	v_cmp_nlt_f32_e32 vcc, s21, v8
	v_cndmask_b32_e32 v2, v5, v18, vcc
	v_cmp_nlt_f32_e32 vcc, s21, v9
	;; [unrolled: 2-line block ×4, first 2 shown]
	v_cndmask_b32_e32 v9, v5, v21, vcc
	v_pk_add_f32 v[2:3], v[2:3], 1.0 op_sel_hi:[1,0]
	v_pk_add_f32 v[10:11], v[8:9], 1.0 op_sel_hi:[1,0]
	v_div_scale_f32 v8, s[0:1], v3, v3, 1.0
	v_div_scale_f32 v18, s[0:1], v2, v2, 1.0
	v_rcp_f32_e32 v20, v8
	v_div_scale_f32 v19, s[0:1], v11, v11, 1.0
	v_rcp_f32_e32 v21, v18
	v_rcp_f32_e32 v22, v19
	v_fma_f32 v24, -v8, v20, 1.0
	v_div_scale_f32 v9, vcc, 1.0, v3, 1.0
	v_fma_f32 v25, -v18, v21, 1.0
	v_fmac_f32_e32 v20, v24, v20
	v_div_scale_f32 v23, s[0:1], 1.0, v2, 1.0
	v_fma_f32 v26, -v19, v22, 1.0
	v_fmac_f32_e32 v21, v25, v21
	v_mul_f32_e32 v24, v9, v20
	v_fmac_f32_e32 v22, v26, v22
	v_mul_f32_e32 v25, v23, v21
	v_fma_f32 v26, -v8, v24, v9
	v_fma_f32 v27, -v18, v25, v23
	v_fmac_f32_e32 v24, v26, v20
	v_fmac_f32_e32 v25, v27, v21
	v_fma_f32 v8, -v8, v24, v9
	v_fma_f32 v18, -v18, v25, v23
	v_div_fmas_f32 v8, v8, v20, v24
	s_mov_b64 vcc, s[0:1]
	v_div_fixup_f32 v9, v8, v3, 1.0
	v_div_fmas_f32 v3, v18, v21, v25
	v_div_fixup_f32 v8, v3, v2, 1.0
	v_div_scale_f32 v2, vcc, 1.0, v11, 1.0
	v_mul_f32_e32 v3, v2, v22
	v_fma_f32 v18, -v19, v3, v2
	v_fmac_f32_e32 v3, v18, v22
	v_div_scale_f32 v18, s[0:1], v10, v10, 1.0
	v_fma_f32 v2, -v19, v3, v2
	v_rcp_f32_e32 v19, v18
	v_div_fmas_f32 v2, v2, v22, v3
	v_div_fixup_f32 v11, v2, v11, 1.0
	v_div_scale_f32 v3, vcc, 1.0, v10, 1.0
	v_fma_f32 v2, -v18, v19, 1.0
	v_fmac_f32_e32 v19, v2, v19
	s_waitcnt vmcnt(0)
	v_cvt_f32_f16_e64 v2, -v12
	v_mul_f32_e32 v20, v3, v19
	v_fma_f32 v21, -v18, v20, v3
	v_fmac_f32_e32 v20, v21, v19
	v_mul_f32_e32 v22, 0x3fb8aa3b, v2
	v_fma_mix_f32 v23, -v12, s20, -v22 op_sel_hi:[1,0,0]
	v_rndne_f32_e32 v24, v22
	v_fma_mix_f32 v23, -v12, s6, v23 op_sel_hi:[1,0,0]
	v_sub_f32_e32 v22, v22, v24
	v_add_f32_e32 v22, v22, v23
	v_cvt_i32_f32_e32 v23, v24
	v_cvt_f32_f16_sdwa v24, -v12 dst_sel:DWORD dst_unused:UNUSED_PAD src0_sel:WORD_1
	v_exp_f32_e32 v22, v22
	v_fma_f32 v18, -v18, v20, v3
	v_cmp_ngt_f32_e64 s[0:1], s3, v2
	v_mul_f32_e32 v21, 0x3fb8aa3b, v24
	v_ldexp_f32 v3, v22, v23
	v_fma_mix_f32 v22, -v12, s20, -v21 op_sel:[1,0,0] op_sel_hi:[1,0,0]
	v_fma_mix_f32 v12, -v12, s6, v22 op_sel:[1,0,0] op_sel_hi:[1,0,0]
	v_rndne_f32_e32 v22, v21
	v_sub_f32_e32 v21, v21, v22
	v_add_f32_e32 v12, v21, v12
	v_exp_f32_e32 v12, v12
	v_cvt_i32_f32_e32 v21, v22
	v_cndmask_b32_e64 v3, 0, v3, s[0:1]
	v_cmp_nlt_f32_e64 s[0:1], s21, v2
	v_cndmask_b32_e64 v2, v5, v3, s[0:1]
	v_ldexp_f32 v3, v12, v21
	v_cmp_ngt_f32_e64 s[0:1], s3, v24
	v_cndmask_b32_e64 v3, 0, v3, s[0:1]
	v_cmp_nlt_f32_e64 s[0:1], s21, v24
	v_cndmask_b32_e64 v3, v5, v3, s[0:1]
	v_pk_add_f32 v[2:3], v[2:3], 1.0 op_sel_hi:[1,0]
	v_div_scale_f32 v12, s[0:1], v3, v3, 1.0
	v_rcp_f32_e32 v21, v12
	v_div_fmas_f32 v18, v18, v19, v20
	v_div_fixup_f32 v10, v18, v10, 1.0
	global_store_dwordx4 v[6:7], v[8:11], off
	s_nop 0
	v_fma_f32 v8, -v12, v21, 1.0
	v_fmac_f32_e32 v21, v8, v21
	v_div_scale_f32 v8, vcc, 1.0, v3, 1.0
	v_mul_f32_e32 v9, v8, v21
	v_fma_f32 v10, -v12, v9, v8
	v_fmac_f32_e32 v9, v10, v21
	v_div_scale_f32 v10, s[0:1], v2, v2, 1.0
	v_fma_f32 v8, -v12, v9, v8
	v_rcp_f32_e32 v12, v10
	v_div_fmas_f32 v8, v8, v21, v9
	v_div_fixup_f32 v9, v8, v3, 1.0
	v_div_scale_f32 v8, vcc, 1.0, v2, 1.0
	v_fma_f32 v3, -v10, v12, 1.0
	v_fmac_f32_e32 v12, v3, v12
	v_cvt_f32_f16_e64 v3, -v13
	v_mul_f32_e32 v18, v8, v12
	v_fma_f32 v11, -v10, v18, v8
	v_fmac_f32_e32 v18, v11, v12
	v_mul_f32_e32 v19, 0x3fb8aa3b, v3
	v_fma_mix_f32 v20, -v13, s20, -v19 op_sel_hi:[1,0,0]
	v_rndne_f32_e32 v21, v19
	v_fma_mix_f32 v20, -v13, s6, v20 op_sel_hi:[1,0,0]
	v_sub_f32_e32 v19, v19, v21
	v_add_f32_e32 v19, v19, v20
	v_cvt_i32_f32_e32 v20, v21
	v_cvt_f32_f16_sdwa v21, -v13 dst_sel:DWORD dst_unused:UNUSED_PAD src0_sel:WORD_1
	v_exp_f32_e32 v19, v19
	v_fma_f32 v8, -v10, v18, v8
	v_cmp_ngt_f32_e64 s[0:1], s3, v3
	v_mul_f32_e32 v11, 0x3fb8aa3b, v21
	v_ldexp_f32 v10, v19, v20
	v_fma_mix_f32 v19, -v13, s20, -v11 op_sel:[1,0,0] op_sel_hi:[1,0,0]
	v_fma_mix_f32 v13, -v13, s6, v19 op_sel:[1,0,0] op_sel_hi:[1,0,0]
	v_rndne_f32_e32 v19, v11
	v_sub_f32_e32 v11, v11, v19
	v_add_f32_e32 v11, v11, v13
	v_exp_f32_e32 v11, v11
	v_cvt_i32_f32_e32 v13, v19
	v_cndmask_b32_e64 v10, 0, v10, s[0:1]
	v_cmp_nlt_f32_e64 s[0:1], s21, v3
	v_cndmask_b32_e64 v10, v5, v10, s[0:1]
	v_ldexp_f32 v3, v11, v13
	v_cmp_ngt_f32_e64 s[0:1], s3, v21
	v_cndmask_b32_e64 v3, 0, v3, s[0:1]
	v_cmp_nlt_f32_e64 s[0:1], s21, v21
	v_cndmask_b32_e64 v11, v5, v3, s[0:1]
	v_pk_add_f32 v[10:11], v[10:11], 1.0 op_sel_hi:[1,0]
	v_div_scale_f32 v3, s[0:1], v11, v11, 1.0
	v_rcp_f32_e32 v13, v3
	v_div_fmas_f32 v8, v8, v12, v18
	v_div_fixup_f32 v8, v8, v2, 1.0
	v_fma_f32 v2, -v3, v13, 1.0
	v_fmac_f32_e32 v13, v2, v13
	v_div_scale_f32 v2, vcc, 1.0, v11, 1.0
	v_mul_f32_e32 v12, v2, v13
	v_fma_f32 v18, -v3, v12, v2
	v_fmac_f32_e32 v12, v18, v13
	v_fma_f32 v2, -v3, v12, v2
	v_div_scale_f32 v3, s[0:1], v10, v10, 1.0
	v_rcp_f32_e32 v18, v3
	v_div_fmas_f32 v2, v2, v13, v12
	v_div_fixup_f32 v11, v2, v11, 1.0
	v_fma_f32 v2, -v3, v18, 1.0
	v_fmac_f32_e32 v18, v2, v18
	v_div_scale_f32 v2, vcc, 1.0, v10, 1.0
	v_mul_f32_e32 v12, v2, v18
	v_fma_f32 v13, -v3, v12, v2
	v_fmac_f32_e32 v12, v13, v18
	v_fma_f32 v2, -v3, v12, v2
	v_div_fmas_f32 v2, v2, v18, v12
	v_div_fixup_f32 v10, v2, v10, 1.0
	global_store_dwordx4 v[6:7], v[8:11], off offset:16
	s_cbranch_scc1 .LBB134_8
; %bb.5:
	v_cvt_f32_f16_e32 v19, v0
	v_cvt_f32_f16_sdwa v20, v0 dst_sel:DWORD dst_unused:UNUSED_PAD src0_sel:WORD_1
	v_cvt_f32_f16_sdwa v2, v1 dst_sel:DWORD dst_unused:UNUSED_PAD src0_sel:WORD_1
	v_cvt_f32_f16_e32 v1, v1
	v_cmp_lt_f16_sdwa vcc, v0, v0 src0_sel:DWORD src1_sel:WORD_1
	v_cndmask_b32_e32 v3, v19, v20, vcc
	v_cndmask_b32_e64 v0, 0, 1, vcc
	v_cmp_lt_f32_e32 vcc, v3, v1
	v_cndmask_b32_e32 v3, v3, v1, vcc
	v_cndmask_b32_e64 v0, v0, 2, vcc
	v_cmp_lt_f32_e32 vcc, v3, v2
	v_cndmask_b32_e32 v18, v3, v2, vcc
	v_sub_f32_e32 v3, v18, v18
	v_mul_f32_e32 v7, 0x3fb8aa3b, v3
	v_fma_f32 v8, v3, s20, -v7
	v_rndne_f32_e32 v9, v7
	v_fmac_f32_e32 v8, 0x32a5705f, v3
	v_sub_f32_e32 v7, v7, v9
	v_add_f32_e32 v7, v7, v8
	v_exp_f32_e32 v7, v7
	v_cvt_i32_f32_e32 v8, v9
	v_cndmask_b32_e64 v0, v0, 3, vcc
	v_cmp_le_i32_e32 vcc, s9, v0
	v_cmp_gt_i32_e64 s[0:1], s10, v0
	s_and_b64 s[22:23], vcc, s[0:1]
	v_ldexp_f32 v7, v7, v8
	v_cmp_ngt_f32_e32 vcc, s3, v3
	v_cndmask_b32_e32 v7, 0, v7, vcc
	v_cmp_nlt_f32_e32 vcc, s21, v3
	s_load_dwordx4 s[4:7], s[4:5], 0x20
	v_cndmask_b32_e32 v14, v5, v7, vcc
	v_ashrrev_i32_e32 v5, 31, v4
	v_lshlrev_b64 v[10:11], 2, v[4:5]
	v_mul_lo_u32 v6, v17, s2
	v_mov_b32_e32 v3, s13
	v_add_co_u32_e32 v12, vcc, s12, v10
	v_addc_co_u32_e64 v13, s[0:1], v3, v11, vcc
	v_ashrrev_i32_e32 v7, 31, v6
	v_subrev_u32_e32 v3, s9, v0
	s_and_b64 s[0:1], s[14:15], s[22:23]
	v_lshlrev_b64 v[8:9], 2, v[6:7]
	v_mul_lo_u32 v22, v17, s8
	v_cndmask_b32_e64 v3, 4, v3, s[0:1]
	s_waitcnt lgkmcnt(0)
	v_mov_b32_e32 v5, s5
	v_add_co_u32_e64 v6, s[0:1], s4, v8
	v_addc_co_u32_e64 v7, s[0:1], v5, v9, s[0:1]
	v_ashrrev_i32_e32 v23, 31, v22
	global_store_dword v[6:7], v3, off
	v_lshlrev_b64 v[6:7], 2, v[22:23]
	v_mov_b32_e32 v3, s7
	v_add_co_u32_e64 v22, s[0:1], s6, v6
	v_addc_co_u32_e64 v23, s[0:1], v3, v7, s[0:1]
	s_cmp_eq_u32 s8, 1
	global_store_dword v[12:13], v14, off
	global_store_dword v[22:23], v17, off
	s_cbranch_scc1 .LBB134_8
; %bb.6:
	v_mov_b32_e32 v5, 0xff800000
	v_cmp_ne_u32_e64 s[0:1], 3, v0
	v_cndmask_b32_e64 v3, v5, v2, s[0:1]
	v_cmp_ne_u32_e64 s[0:1], 2, v0
	v_cndmask_b32_e64 v2, v5, v1, s[0:1]
	;; [unrolled: 2-line block ×4, first 2 shown]
	v_mov_b32_e32 v10, s7
	v_add_co_u32_e64 v6, s[0:1], s6, v6
	v_addc_co_u32_e64 v7, s[0:1], v7, v10, s[0:1]
	v_add_co_u32_e64 v6, s[0:1], 4, v6
	v_addc_co_u32_e64 v7, s[0:1], 0, v7, s[0:1]
	v_mov_b32_e32 v10, s5
	v_add_co_u32_e64 v8, s[0:1], s4, v8
	v_addc_co_u32_e64 v9, s[0:1], v9, v10, s[0:1]
	v_mov_b32_e32 v10, s13
	v_addc_co_u32_e32 v11, vcc, v11, v10, vcc
	v_add_co_u32_e64 v8, s[0:1], 4, v8
	v_add_co_u32_e32 v10, vcc, 4, v12
	s_add_i32 s19, s19, s18
	v_addc_co_u32_e64 v9, s[0:1], 0, v9, s[0:1]
	v_addc_co_u32_e32 v11, vcc, 0, v11, vcc
	s_add_i32 s4, s8, -1
	v_add3_u32 v12, s19, v16, v15
	s_mov_b32 s5, 0x3fb8aa3b
	s_mov_b32 s6, 0xc2ce8ed0
	s_mov_b32 s7, 0x42b17218
	v_mov_b32_e32 v13, 0x7f800000
.LBB134_7:                              ; =>This Inner Loop Header: Depth=1
	v_cmp_gt_f32_e32 vcc, v1, v0
	v_cndmask_b32_e32 v15, v0, v1, vcc
	v_cmp_gt_f32_e64 s[0:1], v2, v15
	v_cndmask_b32_e64 v15, v15, v2, s[0:1]
	v_cndmask_b32_e64 v16, 0, 1, vcc
	v_cmp_gt_f32_e32 vcc, v3, v15
	v_cndmask_b32_e64 v16, v16, 2, s[0:1]
	v_cndmask_b32_e64 v16, v16, 3, vcc
	v_cndmask_b32_e32 v15, v15, v3, vcc
	v_cmp_ne_u32_e64 s[2:3], 3, v16
	v_sub_f32_e32 v15, v15, v18
	v_cndmask_b32_e64 v3, v5, v3, s[2:3]
	v_cmp_ne_u32_e64 s[2:3], 2, v16
	v_cmp_le_i32_e32 vcc, s9, v16
	v_cmp_gt_i32_e64 s[0:1], s10, v16
	v_mul_f32_e32 v17, 0x3fb8aa3b, v15
	v_cndmask_b32_e64 v2, v5, v2, s[2:3]
	v_cmp_ne_u32_e64 s[2:3], 1, v16
	v_subrev_u32_e32 v19, s9, v16
	v_cndmask_b32_e64 v1, v5, v1, s[2:3]
	v_cmp_ne_u32_e64 s[2:3], 0, v16
	s_and_b64 s[0:1], vcc, s[0:1]
	v_fma_f32 v16, v15, s5, -v17
	v_rndne_f32_e32 v20, v17
	v_fmac_f32_e32 v16, 0x32a5705f, v15
	v_sub_f32_e32 v17, v17, v20
	s_and_b64 vcc, s[14:15], s[0:1]
	v_cndmask_b32_e32 v19, 4, v19, vcc
	v_add_f32_e32 v16, v17, v16
	v_cvt_i32_f32_e32 v20, v20
	global_store_dword v[8:9], v19, off
	global_store_dword v[6:7], v12, off
	v_add_co_u32_e32 v6, vcc, 4, v6
	v_exp_f32_e32 v16, v16
	v_addc_co_u32_e32 v7, vcc, 0, v7, vcc
	v_add_co_u32_e32 v8, vcc, 4, v8
	v_addc_co_u32_e32 v9, vcc, 0, v9, vcc
	v_ldexp_f32 v16, v16, v20
	v_cmp_ngt_f32_e32 vcc, s6, v15
	v_cndmask_b32_e32 v16, 0, v16, vcc
	v_cmp_nlt_f32_e32 vcc, s7, v15
	v_cndmask_b32_e32 v15, v13, v16, vcc
	s_add_i32 s4, s4, -1
	global_store_dword v[10:11], v15, off
	v_add_co_u32_e32 v10, vcc, 4, v10
	v_cndmask_b32_e64 v0, v5, v0, s[2:3]
	v_add_u32_e32 v12, s18, v12
	s_cmp_eq_u32 s4, 0
	v_add_f32_e32 v14, v14, v15
	v_addc_co_u32_e32 v11, vcc, 0, v11, vcc
	s_cbranch_scc0 .LBB134_7
.LBB134_8:
	v_cmp_neq_f32_e32 vcc, 0, v14
	s_and_b64 exec, exec, vcc
	s_cbranch_execz .LBB134_19
; %bb.9:
	s_andn2_b64 vcc, exec, s[16:17]
	s_cbranch_vccnz .LBB134_19
; %bb.10:
	v_div_scale_f32 v0, s[0:1], v14, v14, 1.0
	v_rcp_f32_e32 v1, v0
	v_div_scale_f32 v2, vcc, 1.0, v14, 1.0
	s_cmp_gt_u32 s8, 3
	v_fma_f32 v3, -v0, v1, 1.0
	v_fmac_f32_e32 v1, v3, v1
	v_mul_f32_e32 v3, v2, v1
	v_fma_f32 v5, -v0, v3, v2
	v_fmac_f32_e32 v3, v5, v1
	v_fma_f32 v0, -v0, v3, v2
	v_div_fmas_f32 v0, v0, v1, v3
	v_div_fixup_f32 v0, v0, v14, 1.0
	v_ashrrev_i32_e32 v5, 31, v4
	s_cbranch_scc0 .LBB134_14
; %bb.11:
	v_lshlrev_b64 v[2:3], 2, v[4:5]
	v_mov_b32_e32 v6, s13
	v_add_co_u32_e32 v2, vcc, s12, v2
	v_addc_co_u32_e32 v3, vcc, v3, v6, vcc
	s_and_b32 s4, s8, 0x7ffffffc
	v_add_co_u32_e32 v2, vcc, 8, v2
	v_mov_b32_e32 v1, v0
	v_addc_co_u32_e32 v3, vcc, 0, v3, vcc
	s_mov_b32 s0, s4
.LBB134_12:                             ; =>This Inner Loop Header: Depth=1
	global_load_dwordx4 v[6:9], v[2:3], off offset:-8
	s_add_i32 s0, s0, -4
	s_cmp_lg_u32 s0, 0
	s_waitcnt vmcnt(0)
	v_pk_mul_f32 v[6:7], v[0:1], v[6:7]
	v_pk_mul_f32 v[8:9], v[0:1], v[8:9]
	global_store_dwordx4 v[2:3], v[6:9], off offset:-8
	v_add_co_u32_e32 v2, vcc, 16, v2
	v_addc_co_u32_e32 v3, vcc, 0, v3, vcc
	s_cbranch_scc1 .LBB134_12
; %bb.13:
	s_cmp_lg_u32 s4, s8
	s_cselect_b64 s[0:1], -1, 0
	s_branch .LBB134_16
.LBB134_14:
	s_mov_b64 s[0:1], 0
                                        ; implicit-def: $sgpr4
	s_cbranch_execz .LBB134_16
; %bb.15:
	s_mov_b64 s[0:1], -1
	s_mov_b32 s4, 0
.LBB134_16:
	s_andn2_b64 vcc, exec, s[0:1]
	s_cbranch_vccnz .LBB134_19
; %bb.17:
	v_add_co_u32_e32 v2, vcc, s4, v4
	v_addc_co_u32_e32 v3, vcc, 0, v5, vcc
	v_lshlrev_b64 v[2:3], 2, v[2:3]
	v_mov_b32_e32 v1, s13
	v_add_co_u32_e32 v2, vcc, s12, v2
	s_sub_i32 s0, s8, s4
	v_addc_co_u32_e32 v3, vcc, v1, v3, vcc
.LBB134_18:                             ; =>This Inner Loop Header: Depth=1
	global_load_dword v1, v[2:3], off
	s_add_i32 s0, s0, -1
	s_cmp_lg_u32 s0, 0
	s_waitcnt vmcnt(0)
	v_mul_f32_e32 v1, v0, v1
	global_store_dword v[2:3], v1, off
	v_add_co_u32_e32 v2, vcc, 4, v2
	v_addc_co_u32_e32 v3, vcc, 0, v3, vcc
	s_cbranch_scc1 .LBB134_18
.LBB134_19:
	s_endpgm
	.section	.rodata,"a",@progbits
	.p2align	6, 0x0
	.amdhsa_kernel _ZN4vllm3moe17topkGatingSoftmaxIDF16_Li4ELi4ELi8ELi8ELb1ELi8ELNS0_23SharedExpertScoringFuncE1EEEvPKT_PKbPfiPiS9_iiiiii
		.amdhsa_group_segment_fixed_size 0
		.amdhsa_private_segment_fixed_size 0
		.amdhsa_kernarg_size 72
		.amdhsa_user_sgpr_count 6
		.amdhsa_user_sgpr_private_segment_buffer 1
		.amdhsa_user_sgpr_dispatch_ptr 0
		.amdhsa_user_sgpr_queue_ptr 0
		.amdhsa_user_sgpr_kernarg_segment_ptr 1
		.amdhsa_user_sgpr_dispatch_id 0
		.amdhsa_user_sgpr_flat_scratch_init 0
		.amdhsa_user_sgpr_kernarg_preload_length 0
		.amdhsa_user_sgpr_kernarg_preload_offset 0
		.amdhsa_user_sgpr_private_segment_size 0
		.amdhsa_uses_dynamic_stack 0
		.amdhsa_system_sgpr_private_segment_wavefront_offset 0
		.amdhsa_system_sgpr_workgroup_id_x 1
		.amdhsa_system_sgpr_workgroup_id_y 0
		.amdhsa_system_sgpr_workgroup_id_z 0
		.amdhsa_system_sgpr_workgroup_info 0
		.amdhsa_system_vgpr_workitem_id 1
		.amdhsa_next_free_vgpr 30
		.amdhsa_next_free_sgpr 24
		.amdhsa_accum_offset 32
		.amdhsa_reserve_vcc 1
		.amdhsa_reserve_flat_scratch 0
		.amdhsa_float_round_mode_32 0
		.amdhsa_float_round_mode_16_64 0
		.amdhsa_float_denorm_mode_32 3
		.amdhsa_float_denorm_mode_16_64 3
		.amdhsa_dx10_clamp 1
		.amdhsa_ieee_mode 1
		.amdhsa_fp16_overflow 0
		.amdhsa_tg_split 0
		.amdhsa_exception_fp_ieee_invalid_op 0
		.amdhsa_exception_fp_denorm_src 0
		.amdhsa_exception_fp_ieee_div_zero 0
		.amdhsa_exception_fp_ieee_overflow 0
		.amdhsa_exception_fp_ieee_underflow 0
		.amdhsa_exception_fp_ieee_inexact 0
		.amdhsa_exception_int_div_zero 0
	.end_amdhsa_kernel
	.section	.text._ZN4vllm3moe17topkGatingSoftmaxIDF16_Li4ELi4ELi8ELi8ELb1ELi8ELNS0_23SharedExpertScoringFuncE1EEEvPKT_PKbPfiPiS9_iiiiii,"axG",@progbits,_ZN4vllm3moe17topkGatingSoftmaxIDF16_Li4ELi4ELi8ELi8ELb1ELi8ELNS0_23SharedExpertScoringFuncE1EEEvPKT_PKbPfiPiS9_iiiiii,comdat
.Lfunc_end134:
	.size	_ZN4vllm3moe17topkGatingSoftmaxIDF16_Li4ELi4ELi8ELi8ELb1ELi8ELNS0_23SharedExpertScoringFuncE1EEEvPKT_PKbPfiPiS9_iiiiii, .Lfunc_end134-_ZN4vllm3moe17topkGatingSoftmaxIDF16_Li4ELi4ELi8ELi8ELb1ELi8ELNS0_23SharedExpertScoringFuncE1EEEvPKT_PKbPfiPiS9_iiiiii
                                        ; -- End function
	.section	.AMDGPU.csdata,"",@progbits
; Kernel info:
; codeLenInByte = 2760
; NumSgprs: 28
; NumVgprs: 30
; NumAgprs: 0
; TotalNumVgprs: 30
; ScratchSize: 0
; MemoryBound: 0
; FloatMode: 240
; IeeeMode: 1
; LDSByteSize: 0 bytes/workgroup (compile time only)
; SGPRBlocks: 3
; VGPRBlocks: 3
; NumSGPRsForWavesPerEU: 28
; NumVGPRsForWavesPerEU: 30
; AccumOffset: 32
; Occupancy: 8
; WaveLimiterHint : 0
; COMPUTE_PGM_RSRC2:SCRATCH_EN: 0
; COMPUTE_PGM_RSRC2:USER_SGPR: 6
; COMPUTE_PGM_RSRC2:TRAP_HANDLER: 0
; COMPUTE_PGM_RSRC2:TGID_X_EN: 1
; COMPUTE_PGM_RSRC2:TGID_Y_EN: 0
; COMPUTE_PGM_RSRC2:TGID_Z_EN: 0
; COMPUTE_PGM_RSRC2:TIDIG_COMP_CNT: 1
; COMPUTE_PGM_RSRC3_GFX90A:ACCUM_OFFSET: 7
; COMPUTE_PGM_RSRC3_GFX90A:TG_SPLIT: 0
	.section	.text._ZN4vllm3moe17topkGatingSoftmaxIDF16_Li4ELi4ELi8ELi8ELb0ELi8ELNS0_23SharedExpertScoringFuncE1EEEvPKT_PKbPfiPiS9_iiiiii,"axG",@progbits,_ZN4vllm3moe17topkGatingSoftmaxIDF16_Li4ELi4ELi8ELi8ELb0ELi8ELNS0_23SharedExpertScoringFuncE1EEEvPKT_PKbPfiPiS9_iiiiii,comdat
	.protected	_ZN4vllm3moe17topkGatingSoftmaxIDF16_Li4ELi4ELi8ELi8ELb0ELi8ELNS0_23SharedExpertScoringFuncE1EEEvPKT_PKbPfiPiS9_iiiiii ; -- Begin function _ZN4vllm3moe17topkGatingSoftmaxIDF16_Li4ELi4ELi8ELi8ELb0ELi8ELNS0_23SharedExpertScoringFuncE1EEEvPKT_PKbPfiPiS9_iiiiii
	.globl	_ZN4vllm3moe17topkGatingSoftmaxIDF16_Li4ELi4ELi8ELi8ELb0ELi8ELNS0_23SharedExpertScoringFuncE1EEEvPKT_PKbPfiPiS9_iiiiii
	.p2align	8
	.type	_ZN4vllm3moe17topkGatingSoftmaxIDF16_Li4ELi4ELi8ELi8ELb0ELi8ELNS0_23SharedExpertScoringFuncE1EEEvPKT_PKbPfiPiS9_iiiiii,@function
_ZN4vllm3moe17topkGatingSoftmaxIDF16_Li4ELi4ELi8ELi8ELb0ELi8ELNS0_23SharedExpertScoringFuncE1EEEvPKT_PKbPfiPiS9_iiiiii: ; @_ZN4vllm3moe17topkGatingSoftmaxIDF16_Li4ELi4ELi8ELi8ELb0ELi8ELNS0_23SharedExpertScoringFuncE1EEEvPKT_PKbPfiPiS9_iiiiii
; %bb.0:
	s_load_dword s22, s[4:5], 0x18
	v_bfe_u32 v1, v0, 10, 10
	s_lshl_b32 s23, s6, 9
	v_lshlrev_b32_e32 v18, 6, v1
	v_and_b32_e32 v19, 0x3ff, v0
	v_add3_u32 v20, v18, v19, s23
	s_waitcnt lgkmcnt(0)
	v_cmp_gt_i32_e32 vcc, s22, v20
	s_and_saveexec_b64 s[0:1], vcc
	s_cbranch_execz .LBB135_19
; %bb.1:
	s_load_dwordx4 s[0:3], s[4:5], 0x0
	s_load_dwordx2 s[12:13], s[4:5], 0x10
	s_waitcnt lgkmcnt(0)
	s_cmp_eq_u64 s[2:3], 0
	s_cbranch_scc1 .LBB135_3
; %bb.2:
	v_ashrrev_i32_e32 v1, 31, v20
	v_mov_b32_e32 v2, s3
	v_add_co_u32_e32 v0, vcc, s2, v20
	v_addc_co_u32_e32 v1, vcc, v2, v1, vcc
	global_load_ubyte v0, v[0:1], off
	s_waitcnt vmcnt(0)
	v_and_b32_e32 v0, 1, v0
	v_cmp_eq_u32_e32 vcc, 1, v0
	s_xor_b64 s[2:3], vcc, -1
	s_orn2_b64 s[14:15], s[2:3], exec
	s_branch .LBB135_4
.LBB135_3:
	s_mov_b64 s[14:15], -1
.LBB135_4:
	s_load_dwordx2 s[16:17], s[4:5], 0x40
	s_load_dwordx4 s[8:11], s[4:5], 0x30
	v_mov_b32_e32 v3, s1
	s_mov_b32 s20, 0x3fb8aa3b
	s_mov_b32 s2, 0x32a5705f
	s_waitcnt lgkmcnt(0)
	v_mul_lo_u32 v0, v20, s17
	v_ashrrev_i32_e32 v1, 31, v0
	v_lshlrev_b64 v[0:1], 1, v[0:1]
	v_add_co_u32_e32 v2, vcc, s0, v0
	v_addc_co_u32_e32 v3, vcc, v3, v1, vcc
	global_load_dwordx4 v[4:7], v[2:3], off
	global_load_dwordx2 v[22:23], v[2:3], off offset:16
	v_mul_lo_u32 v0, v20, s11
	v_add_u32_e32 v8, s8, v0
	v_ashrrev_i32_e32 v9, 31, v8
	v_lshlrev_b64 v[8:9], 2, v[8:9]
	v_mov_b32_e32 v1, s13
	v_add_co_u32_e32 v10, vcc, s12, v8
	v_addc_co_u32_e32 v11, vcc, v1, v9, vcc
	s_mov_b32 s17, 0xc2ce8ed0
	s_mov_b32 s21, 0x42b17218
	v_mov_b32_e32 v16, 0x7f800000
	s_cmp_gt_i32 s8, 0
	v_mov_b32_e32 v17, 0
	s_cselect_b64 s[18:19], -1, 0
	s_cmp_lt_i32 s8, 1
	s_waitcnt vmcnt(1)
	v_cvt_f32_f16_e64 v1, -v6
	v_cvt_f32_f16_e32 v2, v5
	v_cvt_f32_f16_sdwa v3, v5 dst_sel:DWORD dst_unused:UNUSED_PAD src0_sel:WORD_1
	v_cvt_f32_f16_sdwa v5, -v6 dst_sel:DWORD dst_unused:UNUSED_PAD src0_sel:WORD_1
	v_cvt_f32_f16_e64 v12, -v7
	v_cvt_f32_f16_sdwa v13, -v7 dst_sel:DWORD dst_unused:UNUSED_PAD src0_sel:WORD_1
	v_mul_f32_e32 v14, 0x3fb8aa3b, v1
	v_mul_f32_e32 v15, 0x3fb8aa3b, v5
	v_fma_mix_f32 v25, -v6, s20, -v14 op_sel_hi:[1,0,0]
	v_rndne_f32_e32 v26, v14
	v_mul_f32_e32 v21, 0x3fb8aa3b, v12
	v_fma_mix_f32 v27, -v6, s20, -v15 op_sel:[1,0,0] op_sel_hi:[1,0,0]
	v_rndne_f32_e32 v28, v15
	v_fma_mix_f32 v25, -v6, s2, v25 op_sel_hi:[1,0,0]
	v_sub_f32_e32 v14, v14, v26
	v_mul_f32_e32 v24, 0x3fb8aa3b, v13
	v_fma_mix_f32 v29, -v7, s20, -v21 op_sel_hi:[1,0,0]
	v_rndne_f32_e32 v30, v21
	v_fma_mix_f32 v6, -v6, s2, v27 op_sel:[1,0,0] op_sel_hi:[1,0,0]
	v_sub_f32_e32 v15, v15, v28
	v_add_f32_e32 v14, v14, v25
	v_fma_mix_f32 v31, -v7, s20, -v24 op_sel:[1,0,0] op_sel_hi:[1,0,0]
	v_rndne_f32_e32 v32, v24
	v_cvt_i32_f32_e32 v26, v26
	v_cvt_i32_f32_e32 v27, v28
	v_fma_mix_f32 v28, -v7, s2, v29 op_sel_hi:[1,0,0]
	v_sub_f32_e32 v21, v21, v30
	v_add_f32_e32 v6, v15, v6
	v_exp_f32_e32 v14, v14
	v_fma_mix_f32 v7, -v7, s2, v31 op_sel:[1,0,0] op_sel_hi:[1,0,0]
	v_sub_f32_e32 v24, v24, v32
	v_add_f32_e32 v15, v21, v28
	v_exp_f32_e32 v6, v6
	v_cvt_i32_f32_e32 v29, v30
	v_add_f32_e32 v7, v24, v7
	v_exp_f32_e32 v15, v15
	v_cvt_i32_f32_e32 v30, v32
	v_exp_f32_e32 v7, v7
	v_ldexp_f32 v14, v14, v26
	v_cmp_ngt_f32_e32 vcc, s17, v1
	v_ldexp_f32 v6, v6, v27
	v_cndmask_b32_e32 v14, 0, v14, vcc
	v_cmp_ngt_f32_e32 vcc, s17, v5
	v_ldexp_f32 v15, v15, v29
	v_cndmask_b32_e32 v21, 0, v6, vcc
	;; [unrolled: 3-line block ×3, first 2 shown]
	v_cmp_ngt_f32_e32 vcc, s17, v13
	v_cndmask_b32_e32 v24, 0, v7, vcc
	v_cmp_nlt_f32_e32 vcc, s21, v1
	v_cndmask_b32_e32 v6, v16, v14, vcc
	v_cmp_nlt_f32_e32 vcc, s21, v5
	;; [unrolled: 2-line block ×4, first 2 shown]
	v_pk_add_f32 v[6:7], v[6:7], 1.0 op_sel_hi:[1,0]
	v_cndmask_b32_e32 v13, v16, v24, vcc
	v_div_scale_f32 v1, s[0:1], v7, v7, 1.0
	v_pk_add_f32 v[14:15], v[12:13], 1.0 op_sel_hi:[1,0]
	v_div_scale_f32 v12, s[0:1], v6, v6, 1.0
	v_rcp_f32_e32 v21, v1
	v_rcp_f32_e32 v24, v12
	v_div_scale_f32 v5, vcc, 1.0, v7, 1.0
	v_fma_f32 v27, -v1, v21, 1.0
	v_fma_f32 v28, -v12, v24, 1.0
	v_fmac_f32_e32 v21, v27, v21
	v_div_scale_f32 v13, s[0:1], 1.0, v6, 1.0
	v_fmac_f32_e32 v24, v28, v24
	v_mul_f32_e32 v27, v5, v21
	v_div_scale_f32 v25, s[6:7], v15, v15, 1.0
	v_mul_f32_e32 v28, v13, v24
	v_fma_f32 v29, -v1, v27, v5
	v_rcp_f32_e32 v26, v25
	v_fma_f32 v30, -v12, v28, v13
	v_fmac_f32_e32 v27, v29, v21
	v_fmac_f32_e32 v28, v30, v24
	v_fma_f32 v1, -v1, v27, v5
	v_fma_f32 v5, -v12, v28, v13
	v_div_fmas_f32 v1, v1, v21, v27
	s_mov_b64 vcc, s[0:1]
	v_div_fixup_f32 v13, v1, v7, 1.0
	v_div_fmas_f32 v1, v5, v24, v28
	v_div_fixup_f32 v12, v1, v6, 1.0
	v_fma_f32 v1, -v25, v26, 1.0
	v_fmac_f32_e32 v26, v1, v26
	v_div_scale_f32 v1, vcc, 1.0, v15, 1.0
	v_mul_f32_e32 v5, v1, v26
	v_fma_f32 v6, -v25, v5, v1
	v_fmac_f32_e32 v5, v6, v26
	v_div_scale_f32 v6, s[0:1], v14, v14, 1.0
	v_rcp_f32_e32 v21, v6
	v_fma_f32 v1, -v25, v5, v1
	v_div_fmas_f32 v1, v1, v26, v5
	v_div_fixup_f32 v15, v1, v15, 1.0
	v_fma_f32 v1, -v6, v21, 1.0
	v_fmac_f32_e32 v21, v1, v21
	s_waitcnt vmcnt(0)
	v_cvt_f32_f16_e64 v1, -v22
	v_div_scale_f32 v5, vcc, 1.0, v14, 1.0
	v_mul_f32_e32 v24, v5, v21
	v_mul_f32_e32 v25, 0x3fb8aa3b, v1
	v_fma_mix_f32 v26, -v22, s20, -v25 op_sel_hi:[1,0,0]
	v_rndne_f32_e32 v27, v25
	v_fma_mix_f32 v26, -v22, s2, v26 op_sel_hi:[1,0,0]
	v_sub_f32_e32 v25, v25, v27
	v_add_f32_e32 v25, v25, v26
	v_cvt_i32_f32_e32 v26, v27
	v_cvt_f32_f16_sdwa v27, -v22 dst_sel:DWORD dst_unused:UNUSED_PAD src0_sel:WORD_1
	v_exp_f32_e32 v25, v25
	v_fma_f32 v7, -v6, v24, v5
	v_fmac_f32_e32 v24, v7, v21
	v_mul_f32_e32 v7, 0x3fb8aa3b, v27
	v_fma_f32 v5, -v6, v24, v5
	v_ldexp_f32 v6, v25, v26
	v_fma_mix_f32 v25, -v22, s20, -v7 op_sel:[1,0,0] op_sel_hi:[1,0,0]
	v_fma_mix_f32 v22, -v22, s2, v25 op_sel:[1,0,0] op_sel_hi:[1,0,0]
	v_rndne_f32_e32 v25, v7
	v_sub_f32_e32 v7, v7, v25
	v_add_f32_e32 v7, v7, v22
	v_exp_f32_e32 v7, v7
	v_cvt_i32_f32_e32 v22, v25
	v_cmp_ngt_f32_e64 s[0:1], s17, v1
	v_cndmask_b32_e64 v6, 0, v6, s[0:1]
	v_cmp_nlt_f32_e64 s[0:1], s21, v1
	v_cndmask_b32_e64 v6, v16, v6, s[0:1]
	v_ldexp_f32 v1, v7, v22
	v_cmp_ngt_f32_e64 s[0:1], s17, v27
	v_cndmask_b32_e64 v1, 0, v1, s[0:1]
	v_cmp_nlt_f32_e64 s[0:1], s21, v27
	v_cndmask_b32_e64 v7, v16, v1, s[0:1]
	v_pk_add_f32 v[6:7], v[6:7], 1.0 op_sel_hi:[1,0]
	v_div_scale_f32 v1, s[0:1], v7, v7, 1.0
	v_rcp_f32_e32 v22, v1
	v_div_fmas_f32 v5, v5, v21, v24
	v_div_fixup_f32 v14, v5, v14, 1.0
	global_store_dwordx4 v[10:11], v[12:15], off
	v_fma_f32 v5, -v1, v22, 1.0
	v_fmac_f32_e32 v22, v5, v22
	v_div_scale_f32 v5, vcc, 1.0, v7, 1.0
	v_mul_f32_e32 v12, v5, v22
	v_fma_f32 v13, -v1, v12, v5
	v_fmac_f32_e32 v12, v13, v22
	v_fma_f32 v1, -v1, v12, v5
	v_div_scale_f32 v5, s[0:1], v6, v6, 1.0
	v_rcp_f32_e32 v21, v5
	v_div_fmas_f32 v1, v1, v22, v12
	v_div_fixup_f32 v13, v1, v7, 1.0
	v_div_scale_f32 v7, vcc, 1.0, v6, 1.0
	v_fma_f32 v1, -v5, v21, 1.0
	v_fmac_f32_e32 v21, v1, v21
	v_cvt_f32_f16_e64 v1, -v23
	v_mul_f32_e32 v12, v7, v21
	v_fma_f32 v14, -v5, v12, v7
	v_fmac_f32_e32 v12, v14, v21
	v_mul_f32_e32 v15, 0x3fb8aa3b, v1
	v_fma_mix_f32 v22, -v23, s20, -v15 op_sel_hi:[1,0,0]
	v_rndne_f32_e32 v24, v15
	v_fma_mix_f32 v22, -v23, s2, v22 op_sel_hi:[1,0,0]
	v_sub_f32_e32 v15, v15, v24
	v_add_f32_e32 v15, v15, v22
	v_cvt_i32_f32_e32 v22, v24
	v_cvt_f32_f16_sdwa v24, -v23 dst_sel:DWORD dst_unused:UNUSED_PAD src0_sel:WORD_1
	v_exp_f32_e32 v15, v15
	v_fma_f32 v5, -v5, v12, v7
	v_cmp_ngt_f32_e64 s[0:1], s17, v1
	v_mul_f32_e32 v14, 0x3fb8aa3b, v24
	v_ldexp_f32 v7, v15, v22
	v_fma_mix_f32 v15, -v23, s20, -v14 op_sel:[1,0,0] op_sel_hi:[1,0,0]
	v_rndne_f32_e32 v22, v14
	v_fma_mix_f32 v15, -v23, s2, v15 op_sel:[1,0,0] op_sel_hi:[1,0,0]
	v_sub_f32_e32 v14, v14, v22
	v_add_f32_e32 v14, v14, v15
	v_exp_f32_e32 v15, v14
	v_cvt_i32_f32_e32 v22, v22
	v_cndmask_b32_e64 v7, 0, v7, s[0:1]
	v_cmp_nlt_f32_e64 s[0:1], s21, v1
	v_cndmask_b32_e64 v14, v16, v7, s[0:1]
	v_ldexp_f32 v1, v15, v22
	v_cmp_ngt_f32_e64 s[0:1], s17, v24
	v_cndmask_b32_e64 v1, 0, v1, s[0:1]
	v_cmp_nlt_f32_e64 s[0:1], s21, v24
	v_cndmask_b32_e64 v15, v16, v1, s[0:1]
	v_pk_add_f32 v[14:15], v[14:15], 1.0 op_sel_hi:[1,0]
	v_div_scale_f32 v1, s[0:1], v15, v15, 1.0
	v_rcp_f32_e32 v7, v1
	v_div_fmas_f32 v5, v5, v21, v12
	v_div_fixup_f32 v12, v5, v6, 1.0
	v_cvt_f32_f16_e32 v8, v4
	v_fma_f32 v5, -v1, v7, 1.0
	v_fmac_f32_e32 v7, v5, v7
	v_div_scale_f32 v5, vcc, 1.0, v15, 1.0
	v_mul_f32_e32 v6, v5, v7
	v_fma_f32 v21, -v1, v6, v5
	v_fmac_f32_e32 v6, v21, v7
	v_fma_f32 v1, -v1, v6, v5
	v_div_scale_f32 v5, s[0:1], v14, v14, 1.0
	v_rcp_f32_e32 v21, v5
	v_div_fmas_f32 v1, v1, v7, v6
	v_div_fixup_f32 v15, v1, v15, 1.0
	v_cvt_f32_f16_sdwa v9, v4 dst_sel:DWORD dst_unused:UNUSED_PAD src0_sel:WORD_1
	v_fma_f32 v1, -v5, v21, 1.0
	v_fmac_f32_e32 v21, v1, v21
	v_div_scale_f32 v1, vcc, 1.0, v14, 1.0
	v_mul_f32_e32 v6, v1, v21
	v_fma_f32 v7, -v5, v6, v1
	v_fmac_f32_e32 v6, v7, v21
	v_fma_f32 v1, -v5, v6, v1
	v_div_fmas_f32 v1, v1, v21, v6
	v_cmp_lt_f16_sdwa vcc, v4, v4 src0_sel:DWORD src1_sel:WORD_1
	v_div_fixup_f32 v14, v1, v14, 1.0
	v_cndmask_b32_e32 v1, v8, v9, vcc
	v_cmp_lt_f32_e64 s[0:1], v1, v2
	v_cndmask_b32_e64 v1, v1, v2, s[0:1]
	v_cmp_lt_f32_e64 s[2:3], v1, v3
	v_cndmask_b32_e64 v4, v1, v3, s[2:3]
	global_store_dwordx4 v[10:11], v[12:15], off offset:16
	s_cbranch_scc1 .LBB135_8
; %bb.5:
	v_cndmask_b32_e64 v1, 0, 1, vcc
	v_cndmask_b32_e64 v1, v1, 2, s[0:1]
	v_cndmask_b32_e64 v5, v1, 3, s[2:3]
	v_sub_f32_e32 v1, v4, v4
	v_mul_f32_e32 v7, 0x3fb8aa3b, v1
	v_rndne_f32_e32 v10, v7
	v_sub_f32_e32 v11, v7, v10
	v_fma_f32 v7, v1, s20, -v7
	v_fmac_f32_e32 v7, 0x32a5705f, v1
	v_add_f32_e32 v7, v11, v7
	v_exp_f32_e32 v7, v7
	v_cvt_i32_f32_e32 v10, v10
	v_cmp_le_i32_e32 vcc, s9, v5
	v_cmp_gt_i32_e64 s[0:1], s10, v5
	s_and_b64 s[2:3], vcc, s[0:1]
	v_ldexp_f32 v7, v7, v10
	v_cmp_ngt_f32_e32 vcc, s17, v1
	s_load_dwordx4 s[4:7], s[4:5], 0x20
	v_cndmask_b32_e32 v7, 0, v7, vcc
	v_cmp_nlt_f32_e32 vcc, s21, v1
	v_ashrrev_i32_e32 v1, 31, v0
	v_lshlrev_b64 v[12:13], 2, v[0:1]
	v_mul_lo_u32 v6, v20, s16
	v_cndmask_b32_e32 v17, v16, v7, vcc
	v_mov_b32_e32 v1, s13
	v_add_co_u32_e32 v14, vcc, s12, v12
	v_addc_co_u32_e64 v15, s[0:1], v1, v13, vcc
	v_ashrrev_i32_e32 v7, 31, v6
	v_subrev_u32_e32 v1, s9, v5
	s_and_b64 s[0:1], s[14:15], s[2:3]
	v_lshlrev_b64 v[10:11], 2, v[6:7]
	v_mul_lo_u32 v22, v20, s8
	v_cndmask_b32_e64 v1, 4, v1, s[0:1]
	s_waitcnt lgkmcnt(0)
	v_mov_b32_e32 v7, s5
	v_add_co_u32_e64 v6, s[0:1], s4, v10
	v_addc_co_u32_e64 v7, s[0:1], v7, v11, s[0:1]
	v_ashrrev_i32_e32 v23, 31, v22
	global_store_dword v[6:7], v1, off
	v_lshlrev_b64 v[6:7], 2, v[22:23]
	v_mov_b32_e32 v1, s7
	v_add_co_u32_e64 v22, s[0:1], s6, v6
	v_addc_co_u32_e64 v23, s[0:1], v1, v7, s[0:1]
	v_mov_b32_e32 v1, 0xff800000
	v_cmp_ne_u32_e64 s[0:1], 3, v5
	v_cndmask_b32_e64 v3, v1, v3, s[0:1]
	v_cmp_ne_u32_e64 s[0:1], 2, v5
	v_cndmask_b32_e64 v2, v1, v2, s[0:1]
	;; [unrolled: 2-line block ×3, first 2 shown]
	v_cmp_ne_u32_e64 s[0:1], 0, v5
	s_cmp_eq_u32 s8, 1
	v_cndmask_b32_e64 v8, v1, v8, s[0:1]
	global_store_dword v[14:15], v17, off
	global_store_dword v[22:23], v20, off
	s_cbranch_scc1 .LBB135_8
; %bb.6:
	v_mov_b32_e32 v5, s7
	v_add_co_u32_e64 v6, s[0:1], s6, v6
	v_addc_co_u32_e64 v5, s[0:1], v7, v5, s[0:1]
	v_add_co_u32_e64 v6, s[0:1], 4, v6
	v_addc_co_u32_e64 v7, s[0:1], 0, v5, s[0:1]
	v_mov_b32_e32 v5, s5
	v_add_co_u32_e64 v10, s[0:1], s4, v10
	v_addc_co_u32_e64 v5, s[0:1], v11, v5, s[0:1]
	v_add_co_u32_e64 v10, s[0:1], 4, v10
	v_addc_co_u32_e64 v11, s[0:1], 0, v5, s[0:1]
	v_mov_b32_e32 v5, s13
	v_addc_co_u32_e32 v5, vcc, v13, v5, vcc
	v_add_co_u32_e32 v12, vcc, 4, v14
	s_add_i32 s23, s23, s22
	v_addc_co_u32_e32 v13, vcc, 0, v5, vcc
	s_add_i32 s4, s8, -1
	v_add3_u32 v5, s23, v19, v18
	s_mov_b32 s5, 0x3fb8aa3b
	s_mov_b32 s6, 0xc2ce8ed0
	;; [unrolled: 1-line block ×3, first 2 shown]
	v_mov_b32_e32 v14, 0x7f800000
.LBB135_7:                              ; =>This Inner Loop Header: Depth=1
	v_cmp_gt_f32_e32 vcc, v9, v8
	v_cndmask_b32_e32 v15, v8, v9, vcc
	v_cmp_gt_f32_e64 s[0:1], v2, v15
	v_cndmask_b32_e64 v15, v15, v2, s[0:1]
	v_cndmask_b32_e64 v18, 0, 1, vcc
	v_cmp_gt_f32_e32 vcc, v3, v15
	v_cndmask_b32_e64 v18, v18, 2, s[0:1]
	v_cndmask_b32_e64 v18, v18, 3, vcc
	v_cndmask_b32_e32 v15, v15, v3, vcc
	v_cmp_ne_u32_e64 s[2:3], 3, v18
	v_sub_f32_e32 v15, v15, v4
	v_cndmask_b32_e64 v3, v1, v3, s[2:3]
	v_cmp_ne_u32_e64 s[2:3], 2, v18
	v_cmp_le_i32_e32 vcc, s9, v18
	v_cmp_gt_i32_e64 s[0:1], s10, v18
	v_mul_f32_e32 v19, 0x3fb8aa3b, v15
	v_cndmask_b32_e64 v2, v1, v2, s[2:3]
	v_cmp_ne_u32_e64 s[2:3], 1, v18
	v_subrev_u32_e32 v20, s9, v18
	v_cndmask_b32_e64 v9, v1, v9, s[2:3]
	v_cmp_ne_u32_e64 s[2:3], 0, v18
	s_and_b64 s[0:1], vcc, s[0:1]
	v_fma_f32 v18, v15, s5, -v19
	v_rndne_f32_e32 v21, v19
	v_fmac_f32_e32 v18, 0x32a5705f, v15
	v_sub_f32_e32 v19, v19, v21
	s_and_b64 vcc, s[14:15], s[0:1]
	v_cndmask_b32_e32 v20, 4, v20, vcc
	v_add_f32_e32 v18, v19, v18
	v_cvt_i32_f32_e32 v21, v21
	global_store_dword v[10:11], v20, off
	global_store_dword v[6:7], v5, off
	v_add_co_u32_e32 v6, vcc, 4, v6
	v_exp_f32_e32 v18, v18
	v_addc_co_u32_e32 v7, vcc, 0, v7, vcc
	v_add_co_u32_e32 v10, vcc, 4, v10
	v_addc_co_u32_e32 v11, vcc, 0, v11, vcc
	v_ldexp_f32 v18, v18, v21
	v_cmp_ngt_f32_e32 vcc, s6, v15
	v_cndmask_b32_e32 v18, 0, v18, vcc
	v_cmp_nlt_f32_e32 vcc, s7, v15
	v_cndmask_b32_e32 v15, v14, v18, vcc
	s_add_i32 s4, s4, -1
	global_store_dword v[12:13], v15, off
	v_add_co_u32_e32 v12, vcc, 4, v12
	v_cndmask_b32_e64 v8, v1, v8, s[2:3]
	v_add_u32_e32 v5, s22, v5
	s_cmp_eq_u32 s4, 0
	v_add_f32_e32 v17, v17, v15
	v_addc_co_u32_e32 v13, vcc, 0, v13, vcc
	s_cbranch_scc0 .LBB135_7
.LBB135_8:
	v_pk_add_f32 v[6:7], v[8:9], v[4:5] op_sel_hi:[1,0] neg_lo:[0,1] neg_hi:[0,1]
	v_mul_f32_e32 v1, 0x3fb8aa3b, v7
	v_fma_f32 v5, v7, s20, -v1
	v_rndne_f32_e32 v8, v1
	v_fmac_f32_e32 v5, 0x32a5705f, v7
	v_sub_f32_e32 v1, v1, v8
	v_add_f32_e32 v1, v1, v5
	v_cvt_i32_f32_e32 v5, v8
	v_exp_f32_e32 v1, v1
	v_cmp_ngt_f32_e32 vcc, s17, v7
	v_sub_f32_e32 v2, v2, v4
	v_sub_f32_e32 v3, v3, v4
	v_ldexp_f32 v1, v1, v5
	v_mul_f32_e32 v5, 0x3fb8aa3b, v6
	v_fma_f32 v8, v6, s20, -v5
	v_rndne_f32_e32 v9, v5
	v_fmac_f32_e32 v8, 0x32a5705f, v6
	v_sub_f32_e32 v5, v5, v9
	v_add_f32_e32 v5, v5, v8
	v_exp_f32_e32 v5, v5
	v_cvt_i32_f32_e32 v8, v9
	v_cndmask_b32_e32 v1, 0, v1, vcc
	v_cmp_nlt_f32_e32 vcc, s21, v7
	v_mul_f32_e32 v7, 0x3fb8aa3b, v2
	v_ldexp_f32 v5, v5, v8
	v_fma_f32 v8, v2, s20, -v7
	v_rndne_f32_e32 v9, v7
	v_fmac_f32_e32 v8, 0x32a5705f, v2
	v_sub_f32_e32 v7, v7, v9
	v_add_f32_e32 v7, v7, v8
	v_exp_f32_e32 v7, v7
	v_cvt_i32_f32_e32 v8, v9
	v_cndmask_b32_e32 v1, v16, v1, vcc
	v_cmp_ngt_f32_e32 vcc, s17, v6
	v_cndmask_b32_e32 v5, 0, v5, vcc
	v_cmp_nlt_f32_e32 vcc, s21, v6
	v_cndmask_b32_e32 v5, v16, v5, vcc
	v_mul_f32_e32 v4, 0x3fb8aa3b, v3
	v_add_f32_e32 v1, v5, v1
	v_ldexp_f32 v5, v7, v8
	v_fma_f32 v6, v3, s20, -v4
	v_rndne_f32_e32 v7, v4
	v_fmac_f32_e32 v6, 0x32a5705f, v3
	v_sub_f32_e32 v4, v4, v7
	v_add_f32_e32 v4, v4, v6
	v_exp_f32_e32 v4, v4
	v_cvt_i32_f32_e32 v6, v7
	v_cmp_ngt_f32_e32 vcc, s17, v2
	v_cndmask_b32_e32 v5, 0, v5, vcc
	v_cmp_nlt_f32_e32 vcc, s21, v2
	v_cndmask_b32_e32 v2, v16, v5, vcc
	v_add_f32_e32 v1, v1, v2
	v_ldexp_f32 v2, v4, v6
	v_cmp_ngt_f32_e32 vcc, s17, v3
	v_cndmask_b32_e32 v2, 0, v2, vcc
	v_cmp_nlt_f32_e32 vcc, s21, v3
	v_cndmask_b32_e32 v2, v16, v2, vcc
	v_add_f32_e32 v1, v1, v2
	v_add_f32_e32 v1, v17, v1
	v_cmp_neq_f32_e32 vcc, 0, v1
	s_and_b64 exec, exec, vcc
	s_cbranch_execz .LBB135_19
; %bb.9:
	s_andn2_b64 vcc, exec, s[18:19]
	s_cbranch_vccnz .LBB135_19
; %bb.10:
	v_div_scale_f32 v2, s[0:1], v1, v1, 1.0
	v_rcp_f32_e32 v3, v2
	v_div_scale_f32 v4, vcc, 1.0, v1, 1.0
	s_cmp_gt_u32 s8, 3
	v_fma_f32 v5, -v2, v3, 1.0
	v_fmac_f32_e32 v3, v5, v3
	v_mul_f32_e32 v5, v4, v3
	v_fma_f32 v6, -v2, v5, v4
	v_fmac_f32_e32 v5, v6, v3
	v_fma_f32 v2, -v2, v5, v4
	v_div_fmas_f32 v2, v2, v3, v5
	v_div_fixup_f32 v2, v2, v1, 1.0
	v_ashrrev_i32_e32 v1, 31, v0
	s_cbranch_scc0 .LBB135_14
; %bb.11:
	v_lshlrev_b64 v[4:5], 2, v[0:1]
	v_mov_b32_e32 v6, s13
	v_add_co_u32_e32 v4, vcc, s12, v4
	v_addc_co_u32_e32 v5, vcc, v5, v6, vcc
	s_and_b32 s4, s8, 0x7ffffffc
	v_add_co_u32_e32 v4, vcc, 8, v4
	v_mov_b32_e32 v3, v2
	v_addc_co_u32_e32 v5, vcc, 0, v5, vcc
	s_mov_b32 s0, s4
.LBB135_12:                             ; =>This Inner Loop Header: Depth=1
	global_load_dwordx4 v[6:9], v[4:5], off offset:-8
	s_add_i32 s0, s0, -4
	s_cmp_lg_u32 s0, 0
	s_waitcnt vmcnt(0)
	v_pk_mul_f32 v[6:7], v[2:3], v[6:7]
	v_pk_mul_f32 v[8:9], v[2:3], v[8:9]
	global_store_dwordx4 v[4:5], v[6:9], off offset:-8
	v_add_co_u32_e32 v4, vcc, 16, v4
	v_addc_co_u32_e32 v5, vcc, 0, v5, vcc
	s_cbranch_scc1 .LBB135_12
; %bb.13:
	s_cmp_lg_u32 s4, s8
	s_cselect_b64 s[0:1], -1, 0
	s_branch .LBB135_16
.LBB135_14:
	s_mov_b64 s[0:1], 0
                                        ; implicit-def: $sgpr4
	s_cbranch_execz .LBB135_16
; %bb.15:
	s_mov_b64 s[0:1], -1
	s_mov_b32 s4, 0
.LBB135_16:
	s_andn2_b64 vcc, exec, s[0:1]
	s_cbranch_vccnz .LBB135_19
; %bb.17:
	v_add_co_u32_e32 v0, vcc, s4, v0
	v_addc_co_u32_e32 v1, vcc, 0, v1, vcc
	v_lshlrev_b64 v[0:1], 2, v[0:1]
	v_mov_b32_e32 v3, s13
	v_add_co_u32_e32 v0, vcc, s12, v0
	s_sub_i32 s0, s8, s4
	v_addc_co_u32_e32 v1, vcc, v3, v1, vcc
.LBB135_18:                             ; =>This Inner Loop Header: Depth=1
	global_load_dword v3, v[0:1], off
	s_add_i32 s0, s0, -1
	s_cmp_lg_u32 s0, 0
	s_waitcnt vmcnt(0)
	v_mul_f32_e32 v3, v2, v3
	global_store_dword v[0:1], v3, off
	v_add_co_u32_e32 v0, vcc, 4, v0
	v_addc_co_u32_e32 v1, vcc, 0, v1, vcc
	s_cbranch_scc1 .LBB135_18
.LBB135_19:
	s_endpgm
	.section	.rodata,"a",@progbits
	.p2align	6, 0x0
	.amdhsa_kernel _ZN4vllm3moe17topkGatingSoftmaxIDF16_Li4ELi4ELi8ELi8ELb0ELi8ELNS0_23SharedExpertScoringFuncE1EEEvPKT_PKbPfiPiS9_iiiiii
		.amdhsa_group_segment_fixed_size 0
		.amdhsa_private_segment_fixed_size 0
		.amdhsa_kernarg_size 72
		.amdhsa_user_sgpr_count 6
		.amdhsa_user_sgpr_private_segment_buffer 1
		.amdhsa_user_sgpr_dispatch_ptr 0
		.amdhsa_user_sgpr_queue_ptr 0
		.amdhsa_user_sgpr_kernarg_segment_ptr 1
		.amdhsa_user_sgpr_dispatch_id 0
		.amdhsa_user_sgpr_flat_scratch_init 0
		.amdhsa_user_sgpr_kernarg_preload_length 0
		.amdhsa_user_sgpr_kernarg_preload_offset 0
		.amdhsa_user_sgpr_private_segment_size 0
		.amdhsa_uses_dynamic_stack 0
		.amdhsa_system_sgpr_private_segment_wavefront_offset 0
		.amdhsa_system_sgpr_workgroup_id_x 1
		.amdhsa_system_sgpr_workgroup_id_y 0
		.amdhsa_system_sgpr_workgroup_id_z 0
		.amdhsa_system_sgpr_workgroup_info 0
		.amdhsa_system_vgpr_workitem_id 1
		.amdhsa_next_free_vgpr 33
		.amdhsa_next_free_sgpr 24
		.amdhsa_accum_offset 36
		.amdhsa_reserve_vcc 1
		.amdhsa_reserve_flat_scratch 0
		.amdhsa_float_round_mode_32 0
		.amdhsa_float_round_mode_16_64 0
		.amdhsa_float_denorm_mode_32 3
		.amdhsa_float_denorm_mode_16_64 3
		.amdhsa_dx10_clamp 1
		.amdhsa_ieee_mode 1
		.amdhsa_fp16_overflow 0
		.amdhsa_tg_split 0
		.amdhsa_exception_fp_ieee_invalid_op 0
		.amdhsa_exception_fp_denorm_src 0
		.amdhsa_exception_fp_ieee_div_zero 0
		.amdhsa_exception_fp_ieee_overflow 0
		.amdhsa_exception_fp_ieee_underflow 0
		.amdhsa_exception_fp_ieee_inexact 0
		.amdhsa_exception_int_div_zero 0
	.end_amdhsa_kernel
	.section	.text._ZN4vllm3moe17topkGatingSoftmaxIDF16_Li4ELi4ELi8ELi8ELb0ELi8ELNS0_23SharedExpertScoringFuncE1EEEvPKT_PKbPfiPiS9_iiiiii,"axG",@progbits,_ZN4vllm3moe17topkGatingSoftmaxIDF16_Li4ELi4ELi8ELi8ELb0ELi8ELNS0_23SharedExpertScoringFuncE1EEEvPKT_PKbPfiPiS9_iiiiii,comdat
.Lfunc_end135:
	.size	_ZN4vllm3moe17topkGatingSoftmaxIDF16_Li4ELi4ELi8ELi8ELb0ELi8ELNS0_23SharedExpertScoringFuncE1EEEvPKT_PKbPfiPiS9_iiiiii, .Lfunc_end135-_ZN4vllm3moe17topkGatingSoftmaxIDF16_Li4ELi4ELi8ELi8ELb0ELi8ELNS0_23SharedExpertScoringFuncE1EEEvPKT_PKbPfiPiS9_iiiiii
                                        ; -- End function
	.section	.AMDGPU.csdata,"",@progbits
; Kernel info:
; codeLenInByte = 3076
; NumSgprs: 28
; NumVgprs: 33
; NumAgprs: 0
; TotalNumVgprs: 33
; ScratchSize: 0
; MemoryBound: 0
; FloatMode: 240
; IeeeMode: 1
; LDSByteSize: 0 bytes/workgroup (compile time only)
; SGPRBlocks: 3
; VGPRBlocks: 4
; NumSGPRsForWavesPerEU: 28
; NumVGPRsForWavesPerEU: 33
; AccumOffset: 36
; Occupancy: 8
; WaveLimiterHint : 0
; COMPUTE_PGM_RSRC2:SCRATCH_EN: 0
; COMPUTE_PGM_RSRC2:USER_SGPR: 6
; COMPUTE_PGM_RSRC2:TRAP_HANDLER: 0
; COMPUTE_PGM_RSRC2:TGID_X_EN: 1
; COMPUTE_PGM_RSRC2:TGID_Y_EN: 0
; COMPUTE_PGM_RSRC2:TGID_Z_EN: 0
; COMPUTE_PGM_RSRC2:TIDIG_COMP_CNT: 1
; COMPUTE_PGM_RSRC3_GFX90A:ACCUM_OFFSET: 8
; COMPUTE_PGM_RSRC3_GFX90A:TG_SPLIT: 0
	.section	.text._ZN4vllm3moe17topkGatingSoftmaxIDF16_Li8ELi8ELi8ELi16ELb1ELi0ELNS0_23SharedExpertScoringFuncE0EEEvPKT_PKbPfiPiS9_iiiiii,"axG",@progbits,_ZN4vllm3moe17topkGatingSoftmaxIDF16_Li8ELi8ELi8ELi16ELb1ELi0ELNS0_23SharedExpertScoringFuncE0EEEvPKT_PKbPfiPiS9_iiiiii,comdat
	.protected	_ZN4vllm3moe17topkGatingSoftmaxIDF16_Li8ELi8ELi8ELi16ELb1ELi0ELNS0_23SharedExpertScoringFuncE0EEEvPKT_PKbPfiPiS9_iiiiii ; -- Begin function _ZN4vllm3moe17topkGatingSoftmaxIDF16_Li8ELi8ELi8ELi16ELb1ELi0ELNS0_23SharedExpertScoringFuncE0EEEvPKT_PKbPfiPiS9_iiiiii
	.globl	_ZN4vllm3moe17topkGatingSoftmaxIDF16_Li8ELi8ELi8ELi16ELb1ELi0ELNS0_23SharedExpertScoringFuncE0EEEvPKT_PKbPfiPiS9_iiiiii
	.p2align	8
	.type	_ZN4vllm3moe17topkGatingSoftmaxIDF16_Li8ELi8ELi8ELi16ELb1ELi0ELNS0_23SharedExpertScoringFuncE0EEEvPKT_PKbPfiPiS9_iiiiii,@function
_ZN4vllm3moe17topkGatingSoftmaxIDF16_Li8ELi8ELi8ELi16ELb1ELi0ELNS0_23SharedExpertScoringFuncE0EEEvPKT_PKbPfiPiS9_iiiiii: ; @_ZN4vllm3moe17topkGatingSoftmaxIDF16_Li8ELi8ELi8ELi16ELb1ELi0ELNS0_23SharedExpertScoringFuncE0EEEvPKT_PKbPfiPiS9_iiiiii
; %bb.0:
	s_load_dword s28, s[4:5], 0x18
	v_bfe_u32 v1, v0, 10, 10
	s_lshl_b32 s8, s6, 9
	v_lshlrev_b32_e32 v16, 6, v1
	v_and_b32_e32 v17, 0x3ff, v0
	v_add3_u32 v14, v16, v17, s8
	s_waitcnt lgkmcnt(0)
	v_cmp_gt_i32_e32 vcc, s28, v14
	s_and_saveexec_b64 s[0:1], vcc
	s_cbranch_execz .LBB136_20
; %bb.1:
	s_load_dwordx4 s[0:3], s[4:5], 0x0
	s_load_dwordx2 s[18:19], s[4:5], 0x10
	s_waitcnt lgkmcnt(0)
	s_cmp_eq_u64 s[2:3], 0
	s_cbranch_scc1 .LBB136_3
; %bb.2:
	v_ashrrev_i32_e32 v1, 31, v14
	v_mov_b32_e32 v2, s3
	v_add_co_u32_e32 v0, vcc, s2, v14
	v_addc_co_u32_e32 v1, vcc, v2, v1, vcc
	global_load_ubyte v0, v[0:1], off
	s_waitcnt vmcnt(0)
	v_and_b32_e32 v0, 1, v0
	v_cmp_eq_u32_e32 vcc, 1, v0
	s_xor_b64 s[2:3], vcc, -1
	s_orn2_b64 s[26:27], s[2:3], exec
	s_branch .LBB136_4
.LBB136_3:
	s_mov_b64 s[26:27], -1
.LBB136_4:
	s_load_dwordx4 s[20:23], s[4:5], 0x30
	s_waitcnt lgkmcnt(0)
	s_cmp_gt_i32 s20, 0
	s_cselect_b64 s[24:25], -1, 0
	s_cmp_lt_i32 s20, 1
	s_cbranch_scc1 .LBB136_9
; %bb.5:
	s_load_dwordx2 s[2:3], s[4:5], 0x40
	v_mov_b32_e32 v2, s1
	s_load_dwordx4 s[4:7], s[4:5], 0x20
	v_mov_b32_e32 v4, s19
	s_mov_b32 s29, 0x3fb8aa3b
	s_waitcnt lgkmcnt(0)
	v_mul_lo_u32 v0, v14, s3
	v_ashrrev_i32_e32 v1, 31, v0
	v_lshlrev_b64 v[0:1], 1, v[0:1]
	v_add_co_u32_e32 v0, vcc, s0, v0
	v_addc_co_u32_e32 v1, vcc, v2, v1, vcc
	global_load_dwordx4 v[24:27], v[0:1], off
	v_mul_lo_u32 v0, v14, s23
	v_mul_lo_u32 v2, v14, s20
	v_ashrrev_i32_e32 v1, 31, v0
	v_ashrrev_i32_e32 v3, 31, v2
	v_lshlrev_b64 v[0:1], 2, v[0:1]
	v_lshlrev_b64 v[8:9], 2, v[2:3]
	v_add_co_u32_e32 v2, vcc, s18, v0
	v_addc_co_u32_e64 v3, s[0:1], v4, v1, vcc
	v_mul_lo_u32 v4, v14, s2
	v_mov_b32_e32 v6, s7
	v_ashrrev_i32_e32 v5, 31, v4
	v_add_co_u32_e64 v28, s[0:1], s6, v8
	v_addc_co_u32_e64 v29, s[0:1], v6, v9, s[0:1]
	v_lshlrev_b64 v[10:11], 2, v[4:5]
	v_mov_b32_e32 v0, s5
	v_add_co_u32_e64 v30, s[0:1], s4, v10
	v_addc_co_u32_e64 v31, s[0:1], v0, v11, s[0:1]
	s_mov_b32 s30, 0xc2ce8ed0
	s_mov_b32 s31, 0x42b17218
	v_mov_b32_e32 v15, 0x7f800000
	s_waitcnt vmcnt(0)
	v_cvt_f32_f16_e32 v0, v24
	v_cvt_f32_f16_sdwa v21, v24 dst_sel:DWORD dst_unused:UNUSED_PAD src0_sel:WORD_1
	v_cvt_f32_f16_e32 v22, v25
	v_cvt_f32_f16_sdwa v12, v25 dst_sel:DWORD dst_unused:UNUSED_PAD src0_sel:WORD_1
	v_cmp_lt_f16_sdwa s[0:1], v24, v24 src0_sel:DWORD src1_sel:WORD_1
	v_cndmask_b32_e64 v18, v0, v21, s[0:1]
	v_cvt_f32_f16_e32 v4, v26
	v_cndmask_b32_e64 v13, 0, 1, s[0:1]
	v_cmp_lt_f32_e64 s[0:1], v18, v22
	v_cndmask_b32_e64 v18, v18, v22, s[0:1]
	v_cvt_f32_f16_sdwa v5, v26 dst_sel:DWORD dst_unused:UNUSED_PAD src0_sel:WORD_1
	v_cndmask_b32_e64 v13, v13, 2, s[0:1]
	v_cmp_lt_f32_e64 s[0:1], v18, v12
	v_cndmask_b32_e64 v18, v18, v12, s[0:1]
	v_cvt_f32_f16_e32 v6, v27
	v_cndmask_b32_e64 v13, v13, 3, s[0:1]
	v_cmp_lt_f32_e64 s[0:1], v18, v4
	v_cndmask_b32_e64 v18, v18, v4, s[0:1]
	v_cvt_f32_f16_sdwa v7, v27 dst_sel:DWORD dst_unused:UNUSED_PAD src0_sel:WORD_1
	v_cndmask_b32_e64 v13, v13, 4, s[0:1]
	v_cmp_lt_f32_e64 s[0:1], v18, v5
	v_cndmask_b32_e64 v18, v18, v5, s[0:1]
	v_cndmask_b32_e64 v13, v13, 5, s[0:1]
	v_cmp_lt_f32_e64 s[0:1], v18, v6
	v_cndmask_b32_e64 v18, v18, v6, s[0:1]
	;; [unrolled: 3-line block ×3, first 2 shown]
	v_sub_f32_e32 v18, v19, v19
	v_mul_f32_e32 v20, 0x3fb8aa3b, v18
	v_fma_f32 v24, v18, s29, -v20
	v_rndne_f32_e32 v25, v20
	v_fmac_f32_e32 v24, 0x32a5705f, v18
	v_sub_f32_e32 v20, v20, v25
	v_cndmask_b32_e64 v23, v13, 7, s[0:1]
	v_add_f32_e32 v20, v20, v24
	v_cmp_le_i32_e64 s[0:1], s21, v23
	v_cmp_gt_i32_e64 s[2:3], s22, v23
	v_cvt_i32_f32_e32 v25, v25
	v_exp_f32_e32 v20, v20
	s_and_b64 s[0:1], s[0:1], s[2:3]
	v_subrev_u32_e32 v13, s21, v23
	s_and_b64 s[0:1], s[26:27], s[0:1]
	v_cndmask_b32_e64 v13, 8, v13, s[0:1]
	global_store_dword v[30:31], v13, off
	v_ldexp_f32 v13, v20, v25
	v_cmp_ngt_f32_e64 s[0:1], s30, v18
	v_cndmask_b32_e64 v13, 0, v13, s[0:1]
	v_cmp_nlt_f32_e64 s[0:1], s31, v18
	s_cmp_eq_u32 s20, 1
	v_cndmask_b32_e64 v18, v15, v13, s[0:1]
	global_store_dword v[2:3], v18, off
	global_store_dword v[28:29], v14, off
	s_cbranch_scc1 .LBB136_8
; %bb.6:
	v_mov_b32_e32 v20, 0xff800000
	v_cmp_ne_u32_e64 s[0:1], 7, v23
	v_cndmask_b32_e64 v7, v20, v7, s[0:1]
	v_cmp_ne_u32_e64 s[0:1], 6, v23
	v_cndmask_b32_e64 v6, v20, v6, s[0:1]
	;; [unrolled: 2-line block ×5, first 2 shown]
	v_mov_b32_e32 v12, s7
	v_add_co_u32_e64 v8, s[0:1], s6, v8
	v_addc_co_u32_e64 v9, s[0:1], v9, v12, s[0:1]
	v_add_co_u32_e64 v8, s[0:1], 4, v8
	v_addc_co_u32_e64 v9, s[0:1], 0, v9, s[0:1]
	v_mov_b32_e32 v12, s5
	v_add_co_u32_e64 v10, s[0:1], s4, v10
	v_addc_co_u32_e64 v11, s[0:1], v11, v12, s[0:1]
	v_mov_b32_e32 v12, s19
	v_addc_co_u32_e32 v1, vcc, v1, v12, vcc
	v_add_co_u32_e32 v12, vcc, 4, v2
	v_add_co_u32_e64 v10, s[0:1], 4, v10
	v_addc_co_u32_e32 v13, vcc, 0, v1, vcc
	v_addc_co_u32_e64 v11, s[0:1], 0, v11, s[0:1]
	v_cmp_ne_u32_e32 vcc, 2, v23
	v_cndmask_b32_e32 v2, v20, v22, vcc
	v_cmp_ne_u32_e32 vcc, 0, v23
	s_add_i32 s8, s8, s28
	v_cmp_ne_u32_e64 s[0:1], 1, v23
	s_add_i32 s33, s20, -1
	v_add3_u32 v16, s8, v17, v16
	v_cndmask_b32_e64 v1, v20, v21, s[0:1]
	v_cndmask_b32_e32 v0, v20, v0, vcc
.LBB136_7:                              ; =>This Inner Loop Header: Depth=1
	v_cmp_gt_f32_e32 vcc, v1, v0
	v_cndmask_b32_e32 v17, v0, v1, vcc
	v_cmp_gt_f32_e64 s[0:1], v2, v17
	v_cndmask_b32_e64 v17, v17, v2, s[0:1]
	v_cmp_gt_f32_e64 s[2:3], v3, v17
	v_cndmask_b32_e64 v17, v17, v3, s[2:3]
	;; [unrolled: 2-line block ×6, first 2 shown]
	v_sub_f32_e32 v17, v17, v19
	v_mul_f32_e32 v21, 0x3fb8aa3b, v17
	v_fma_f32 v22, v17, s29, -v21
	v_rndne_f32_e32 v23, v21
	v_fmac_f32_e32 v22, 0x32a5705f, v17
	v_sub_f32_e32 v21, v21, v23
	v_add_f32_e32 v21, v21, v22
	v_cndmask_b32_e64 v22, 0, 1, vcc
	v_cndmask_b32_e64 v22, v22, 2, s[0:1]
	v_cndmask_b32_e64 v22, v22, 3, s[2:3]
	;; [unrolled: 1-line block ×6, first 2 shown]
	v_cmp_le_i32_e32 vcc, s21, v22
	v_cmp_gt_i32_e64 s[0:1], s22, v22
	s_and_b64 s[0:1], vcc, s[0:1]
	v_cmp_ne_u32_e64 s[2:3], 7, v22
	v_cmp_ne_u32_e64 s[4:5], 6, v22
	;; [unrolled: 1-line block ×8, first 2 shown]
	v_subrev_u32_e32 v22, s21, v22
	s_and_b64 vcc, s[26:27], s[0:1]
	v_cndmask_b32_e32 v22, 8, v22, vcc
	global_store_dword v[10:11], v22, off
	v_cvt_i32_f32_e32 v22, v23
	v_exp_f32_e32 v21, v21
	v_cmp_ngt_f32_e32 vcc, s30, v17
	global_store_dword v[8:9], v16, off
	s_add_i32 s33, s33, -1
	v_ldexp_f32 v21, v21, v22
	v_cndmask_b32_e32 v21, 0, v21, vcc
	v_cmp_nlt_f32_e32 vcc, s31, v17
	v_cndmask_b32_e32 v17, v15, v21, vcc
	v_add_co_u32_e32 v8, vcc, 4, v8
	v_addc_co_u32_e32 v9, vcc, 0, v9, vcc
	v_add_co_u32_e32 v10, vcc, 4, v10
	v_addc_co_u32_e32 v11, vcc, 0, v11, vcc
	global_store_dword v[12:13], v17, off
	v_add_co_u32_e32 v12, vcc, 4, v12
	v_add_f32_e32 v18, v18, v17
	v_cndmask_b32_e64 v7, v20, v7, s[2:3]
	v_cndmask_b32_e64 v6, v20, v6, s[4:5]
	;; [unrolled: 1-line block ×8, first 2 shown]
	v_add_u32_e32 v16, s28, v16
	s_cmp_eq_u32 s33, 0
	v_addc_co_u32_e32 v13, vcc, 0, v13, vcc
	s_cbranch_scc0 .LBB136_7
.LBB136_8:
	v_cmp_neq_f32_e32 vcc, 0, v18
	s_and_b64 exec, exec, vcc
	s_cbranch_execnz .LBB136_10
	s_branch .LBB136_20
.LBB136_9:
	v_mov_b32_e32 v18, 0
	v_cmp_neq_f32_e32 vcc, 0, v18
	s_and_b64 exec, exec, vcc
	s_cbranch_execz .LBB136_20
.LBB136_10:
	s_andn2_b64 vcc, exec, s[24:25]
	s_cbranch_vccnz .LBB136_20
; %bb.11:
	v_div_scale_f32 v0, s[0:1], v18, v18, 1.0
	v_rcp_f32_e32 v1, v0
	v_div_scale_f32 v2, vcc, 1.0, v18, 1.0
	s_cmp_gt_u32 s20, 3
	v_fma_f32 v3, -v0, v1, 1.0
	v_fmac_f32_e32 v1, v3, v1
	v_mul_f32_e32 v3, v2, v1
	v_fma_f32 v4, -v0, v3, v2
	v_fmac_f32_e32 v3, v4, v1
	v_fma_f32 v0, -v0, v3, v2
	v_div_fmas_f32 v0, v0, v1, v3
	v_mul_lo_u32 v2, v14, s23
	v_div_fixup_f32 v0, v0, v18, 1.0
	v_ashrrev_i32_e32 v3, 31, v2
	s_cbranch_scc0 .LBB136_15
; %bb.12:
	v_lshlrev_b64 v[4:5], 2, v[2:3]
	v_mov_b32_e32 v6, s19
	v_add_co_u32_e32 v4, vcc, s18, v4
	v_addc_co_u32_e32 v5, vcc, v5, v6, vcc
	s_and_b32 s4, s20, 0x7ffffffc
	v_add_co_u32_e32 v4, vcc, 8, v4
	v_mov_b32_e32 v1, v0
	v_addc_co_u32_e32 v5, vcc, 0, v5, vcc
	s_mov_b32 s0, s4
.LBB136_13:                             ; =>This Inner Loop Header: Depth=1
	global_load_dwordx4 v[6:9], v[4:5], off offset:-8
	s_add_i32 s0, s0, -4
	s_cmp_lg_u32 s0, 0
	s_waitcnt vmcnt(0)
	v_pk_mul_f32 v[6:7], v[0:1], v[6:7]
	v_pk_mul_f32 v[8:9], v[0:1], v[8:9]
	global_store_dwordx4 v[4:5], v[6:9], off offset:-8
	v_add_co_u32_e32 v4, vcc, 16, v4
	v_addc_co_u32_e32 v5, vcc, 0, v5, vcc
	s_cbranch_scc1 .LBB136_13
; %bb.14:
	s_cmp_lg_u32 s4, s20
	s_cselect_b64 s[0:1], -1, 0
	s_branch .LBB136_17
.LBB136_15:
	s_mov_b64 s[0:1], 0
                                        ; implicit-def: $sgpr4
	s_cbranch_execz .LBB136_17
; %bb.16:
	s_mov_b64 s[0:1], -1
	s_mov_b32 s4, 0
.LBB136_17:
	s_andn2_b64 vcc, exec, s[0:1]
	s_cbranch_vccnz .LBB136_20
; %bb.18:
	v_add_co_u32_e32 v2, vcc, s4, v2
	v_addc_co_u32_e32 v3, vcc, 0, v3, vcc
	v_lshlrev_b64 v[2:3], 2, v[2:3]
	v_mov_b32_e32 v1, s19
	v_add_co_u32_e32 v2, vcc, s18, v2
	s_sub_i32 s0, s20, s4
	v_addc_co_u32_e32 v3, vcc, v1, v3, vcc
.LBB136_19:                             ; =>This Inner Loop Header: Depth=1
	global_load_dword v1, v[2:3], off
	s_add_i32 s0, s0, -1
	s_cmp_lg_u32 s0, 0
	s_waitcnt vmcnt(0)
	v_mul_f32_e32 v1, v0, v1
	global_store_dword v[2:3], v1, off
	v_add_co_u32_e32 v2, vcc, 4, v2
	v_addc_co_u32_e32 v3, vcc, 0, v3, vcc
	s_cbranch_scc1 .LBB136_19
.LBB136_20:
	s_endpgm
	.section	.rodata,"a",@progbits
	.p2align	6, 0x0
	.amdhsa_kernel _ZN4vllm3moe17topkGatingSoftmaxIDF16_Li8ELi8ELi8ELi16ELb1ELi0ELNS0_23SharedExpertScoringFuncE0EEEvPKT_PKbPfiPiS9_iiiiii
		.amdhsa_group_segment_fixed_size 0
		.amdhsa_private_segment_fixed_size 0
		.amdhsa_kernarg_size 72
		.amdhsa_user_sgpr_count 6
		.amdhsa_user_sgpr_private_segment_buffer 1
		.amdhsa_user_sgpr_dispatch_ptr 0
		.amdhsa_user_sgpr_queue_ptr 0
		.amdhsa_user_sgpr_kernarg_segment_ptr 1
		.amdhsa_user_sgpr_dispatch_id 0
		.amdhsa_user_sgpr_flat_scratch_init 0
		.amdhsa_user_sgpr_kernarg_preload_length 0
		.amdhsa_user_sgpr_kernarg_preload_offset 0
		.amdhsa_user_sgpr_private_segment_size 0
		.amdhsa_uses_dynamic_stack 0
		.amdhsa_system_sgpr_private_segment_wavefront_offset 0
		.amdhsa_system_sgpr_workgroup_id_x 1
		.amdhsa_system_sgpr_workgroup_id_y 0
		.amdhsa_system_sgpr_workgroup_id_z 0
		.amdhsa_system_sgpr_workgroup_info 0
		.amdhsa_system_vgpr_workitem_id 1
		.amdhsa_next_free_vgpr 32
		.amdhsa_next_free_sgpr 34
		.amdhsa_accum_offset 32
		.amdhsa_reserve_vcc 1
		.amdhsa_reserve_flat_scratch 0
		.amdhsa_float_round_mode_32 0
		.amdhsa_float_round_mode_16_64 0
		.amdhsa_float_denorm_mode_32 3
		.amdhsa_float_denorm_mode_16_64 3
		.amdhsa_dx10_clamp 1
		.amdhsa_ieee_mode 1
		.amdhsa_fp16_overflow 0
		.amdhsa_tg_split 0
		.amdhsa_exception_fp_ieee_invalid_op 0
		.amdhsa_exception_fp_denorm_src 0
		.amdhsa_exception_fp_ieee_div_zero 0
		.amdhsa_exception_fp_ieee_overflow 0
		.amdhsa_exception_fp_ieee_underflow 0
		.amdhsa_exception_fp_ieee_inexact 0
		.amdhsa_exception_int_div_zero 0
	.end_amdhsa_kernel
	.section	.text._ZN4vllm3moe17topkGatingSoftmaxIDF16_Li8ELi8ELi8ELi16ELb1ELi0ELNS0_23SharedExpertScoringFuncE0EEEvPKT_PKbPfiPiS9_iiiiii,"axG",@progbits,_ZN4vllm3moe17topkGatingSoftmaxIDF16_Li8ELi8ELi8ELi16ELb1ELi0ELNS0_23SharedExpertScoringFuncE0EEEvPKT_PKbPfiPiS9_iiiiii,comdat
.Lfunc_end136:
	.size	_ZN4vllm3moe17topkGatingSoftmaxIDF16_Li8ELi8ELi8ELi16ELb1ELi0ELNS0_23SharedExpertScoringFuncE0EEEvPKT_PKbPfiPiS9_iiiiii, .Lfunc_end136-_ZN4vllm3moe17topkGatingSoftmaxIDF16_Li8ELi8ELi8ELi16ELb1ELi0ELNS0_23SharedExpertScoringFuncE0EEEvPKT_PKbPfiPiS9_iiiiii
                                        ; -- End function
	.section	.AMDGPU.csdata,"",@progbits
; Kernel info:
; codeLenInByte = 1776
; NumSgprs: 38
; NumVgprs: 32
; NumAgprs: 0
; TotalNumVgprs: 32
; ScratchSize: 0
; MemoryBound: 0
; FloatMode: 240
; IeeeMode: 1
; LDSByteSize: 0 bytes/workgroup (compile time only)
; SGPRBlocks: 4
; VGPRBlocks: 3
; NumSGPRsForWavesPerEU: 38
; NumVGPRsForWavesPerEU: 32
; AccumOffset: 32
; Occupancy: 8
; WaveLimiterHint : 0
; COMPUTE_PGM_RSRC2:SCRATCH_EN: 0
; COMPUTE_PGM_RSRC2:USER_SGPR: 6
; COMPUTE_PGM_RSRC2:TRAP_HANDLER: 0
; COMPUTE_PGM_RSRC2:TGID_X_EN: 1
; COMPUTE_PGM_RSRC2:TGID_Y_EN: 0
; COMPUTE_PGM_RSRC2:TGID_Z_EN: 0
; COMPUTE_PGM_RSRC2:TIDIG_COMP_CNT: 1
; COMPUTE_PGM_RSRC3_GFX90A:ACCUM_OFFSET: 7
; COMPUTE_PGM_RSRC3_GFX90A:TG_SPLIT: 0
	.section	.text._ZN4vllm3moe17topkGatingSoftmaxIDF16_Li8ELi8ELi8ELi16ELb0ELi0ELNS0_23SharedExpertScoringFuncE0EEEvPKT_PKbPfiPiS9_iiiiii,"axG",@progbits,_ZN4vllm3moe17topkGatingSoftmaxIDF16_Li8ELi8ELi8ELi16ELb0ELi0ELNS0_23SharedExpertScoringFuncE0EEEvPKT_PKbPfiPiS9_iiiiii,comdat
	.protected	_ZN4vllm3moe17topkGatingSoftmaxIDF16_Li8ELi8ELi8ELi16ELb0ELi0ELNS0_23SharedExpertScoringFuncE0EEEvPKT_PKbPfiPiS9_iiiiii ; -- Begin function _ZN4vllm3moe17topkGatingSoftmaxIDF16_Li8ELi8ELi8ELi16ELb0ELi0ELNS0_23SharedExpertScoringFuncE0EEEvPKT_PKbPfiPiS9_iiiiii
	.globl	_ZN4vllm3moe17topkGatingSoftmaxIDF16_Li8ELi8ELi8ELi16ELb0ELi0ELNS0_23SharedExpertScoringFuncE0EEEvPKT_PKbPfiPiS9_iiiiii
	.p2align	8
	.type	_ZN4vllm3moe17topkGatingSoftmaxIDF16_Li8ELi8ELi8ELi16ELb0ELi0ELNS0_23SharedExpertScoringFuncE0EEEvPKT_PKbPfiPiS9_iiiiii,@function
_ZN4vllm3moe17topkGatingSoftmaxIDF16_Li8ELi8ELi8ELi16ELb0ELi0ELNS0_23SharedExpertScoringFuncE0EEEvPKT_PKbPfiPiS9_iiiiii: ; @_ZN4vllm3moe17topkGatingSoftmaxIDF16_Li8ELi8ELi8ELi16ELb0ELi0ELNS0_23SharedExpertScoringFuncE0EEEvPKT_PKbPfiPiS9_iiiiii
; %bb.0:
	s_load_dword s33, s[4:5], 0x18
	v_bfe_u32 v1, v0, 10, 10
	s_lshl_b32 s34, s6, 9
	v_lshlrev_b32_e32 v19, 6, v1
	v_and_b32_e32 v20, 0x3ff, v0
	v_add3_u32 v1, v19, v20, s34
	s_waitcnt lgkmcnt(0)
	v_cmp_gt_i32_e32 vcc, s33, v1
	s_and_saveexec_b64 s[0:1], vcc
	s_cbranch_execz .LBB137_20
; %bb.1:
	s_load_dwordx4 s[0:3], s[4:5], 0x0
	s_load_dwordx2 s[18:19], s[4:5], 0x10
	s_waitcnt lgkmcnt(0)
	s_cmp_eq_u64 s[2:3], 0
	s_cbranch_scc1 .LBB137_3
; %bb.2:
	v_ashrrev_i32_e32 v0, 31, v1
	v_mov_b32_e32 v3, s3
	v_add_co_u32_e32 v2, vcc, s2, v1
	v_addc_co_u32_e32 v3, vcc, v3, v0, vcc
	global_load_ubyte v0, v[2:3], off
	s_waitcnt vmcnt(0)
	v_and_b32_e32 v0, 1, v0
	v_cmp_eq_u32_e32 vcc, 1, v0
	s_xor_b64 s[2:3], vcc, -1
	s_orn2_b64 s[30:31], s[2:3], exec
	s_branch .LBB137_4
.LBB137_3:
	s_mov_b64 s[30:31], -1
.LBB137_4:
	s_load_dwordx2 s[14:15], s[4:5], 0x40
	s_load_dwordx4 s[20:23], s[4:5], 0x30
	v_mov_b32_e32 v0, s1
	s_waitcnt lgkmcnt(0)
	v_mul_lo_u32 v2, v1, s15
	v_ashrrev_i32_e32 v3, 31, v2
	v_lshlrev_b64 v[2:3], 1, v[2:3]
	v_add_co_u32_e32 v2, vcc, s0, v2
	v_addc_co_u32_e32 v3, vcc, v0, v3, vcc
	global_load_dwordx4 v[10:13], v[2:3], off
	s_cmp_gt_i32 s20, 0
	s_cselect_b64 s[28:29], -1, 0
	s_cmp_lt_i32 s20, 1
	s_waitcnt vmcnt(0)
	v_cvt_f32_f16_e32 v8, v10
	v_cvt_f32_f16_sdwa v9, v10 dst_sel:DWORD dst_unused:UNUSED_PAD src0_sel:WORD_1
	v_cvt_f32_f16_e32 v2, v11
	v_cvt_f32_f16_sdwa v3, v11 dst_sel:DWORD dst_unused:UNUSED_PAD src0_sel:WORD_1
	v_cmp_lt_f16_sdwa vcc, v10, v10 src0_sel:DWORD src1_sel:WORD_1
	v_cndmask_b32_e32 v0, v8, v9, vcc
	v_cvt_f32_f16_e32 v4, v12
	v_cmp_lt_f32_e64 s[0:1], v0, v2
	v_cndmask_b32_e64 v0, v0, v2, s[0:1]
	v_cvt_f32_f16_sdwa v5, v12 dst_sel:DWORD dst_unused:UNUSED_PAD src0_sel:WORD_1
	v_cmp_lt_f32_e64 s[2:3], v0, v3
	v_cndmask_b32_e64 v0, v0, v3, s[2:3]
	v_cvt_f32_f16_e32 v6, v13
	v_cmp_lt_f32_e64 s[6:7], v0, v4
	v_cndmask_b32_e64 v0, v0, v4, s[6:7]
	v_cvt_f32_f16_sdwa v7, v13 dst_sel:DWORD dst_unused:UNUSED_PAD src0_sel:WORD_1
	v_cmp_lt_f32_e64 s[8:9], v0, v5
	v_cndmask_b32_e64 v0, v0, v5, s[8:9]
	v_cmp_lt_f32_e64 s[10:11], v0, v6
	v_cndmask_b32_e64 v0, v0, v6, s[10:11]
	;; [unrolled: 2-line block ×3, first 2 shown]
	s_cbranch_scc1 .LBB137_8
; %bb.5:
	v_cndmask_b32_e64 v10, 0, 1, vcc
	v_cndmask_b32_e64 v10, v10, 2, s[0:1]
	v_cndmask_b32_e64 v10, v10, 3, s[2:3]
	;; [unrolled: 1-line block ×6, first 2 shown]
	s_load_dwordx4 s[24:27], s[4:5], 0x20
	v_cmp_le_i32_e32 vcc, s21, v18
	v_cmp_gt_i32_e64 s[0:1], s22, v18
	s_and_b64 s[0:1], vcc, s[0:1]
	v_mul_lo_u32 v10, v1, s14
	v_subrev_u32_e32 v11, s21, v18
	s_and_b64 vcc, s[30:31], s[0:1]
	v_cndmask_b32_e32 v14, 8, v11, vcc
	v_ashrrev_i32_e32 v11, 31, v10
	v_lshlrev_b64 v[12:13], 2, v[10:11]
	s_waitcnt lgkmcnt(0)
	v_mov_b32_e32 v11, s25
	v_add_co_u32_e32 v10, vcc, s24, v12
	v_addc_co_u32_e32 v11, vcc, v11, v13, vcc
	global_store_dword v[10:11], v14, off
	v_mul_lo_u32 v10, v1, s20
	v_ashrrev_i32_e32 v11, 31, v10
	v_lshlrev_b64 v[10:11], 2, v[10:11]
	v_mov_b32_e32 v15, s27
	v_add_co_u32_e32 v14, vcc, s26, v10
	v_addc_co_u32_e32 v15, vcc, v15, v11, vcc
	v_sub_f32_e32 v23, v0, v0
	global_store_dword v[14:15], v1, off
	v_mul_f32_e32 v14, 0x3fb8aa3b, v23
	s_mov_b32 s35, 0x3fb8aa3b
	v_rndne_f32_e32 v15, v14
	v_sub_f32_e32 v16, v14, v15
	v_fma_f32 v14, v23, s35, -v14
	v_fmac_f32_e32 v14, 0x32a5705f, v23
	v_add_f32_e32 v14, v16, v14
	v_exp_f32_e32 v14, v14
	v_cvt_i32_f32_e32 v15, v15
	v_mov_b32_e32 v17, s19
	s_mov_b32 s36, 0xc2ce8ed0
	v_cmp_ngt_f32_e64 s[16:17], s36, v23
	v_ldexp_f32 v22, v14, v15
	v_mul_lo_u32 v14, v1, s23
	v_ashrrev_i32_e32 v15, 31, v14
	v_lshlrev_b64 v[14:15], 2, v[14:15]
	v_add_co_u32_e32 v16, vcc, s18, v14
	v_addc_co_u32_e64 v17, s[0:1], v17, v15, vcc
	s_mov_b32 s37, 0x42b17218
	v_mov_b32_e32 v21, 0xff800000
	v_cmp_ne_u32_e64 s[0:1], 7, v18
	v_cmp_ne_u32_e64 s[2:3], 6, v18
	;; [unrolled: 1-line block ×8, first 2 shown]
	v_cndmask_b32_e64 v14, 0, v22, s[16:17]
	v_mov_b32_e32 v22, 0x7f800000
	v_cmp_nlt_f32_e64 s[16:17], s37, v23
	v_cndmask_b32_e64 v18, v22, v14, s[16:17]
	v_cndmask_b32_e64 v7, v21, v7, s[0:1]
	;; [unrolled: 1-line block ×8, first 2 shown]
	s_cmp_eq_u32 s20, 1
	v_cndmask_b32_e64 v8, v21, v8, s[14:15]
	global_store_dword v[16:17], v18, off
	s_cbranch_scc1 .LBB137_9
; %bb.6:
	v_mov_b32_e32 v14, s27
	v_add_co_u32_e64 v10, s[0:1], s26, v10
	v_addc_co_u32_e64 v11, s[0:1], v11, v14, s[0:1]
	v_add_co_u32_e64 v10, s[0:1], 4, v10
	v_addc_co_u32_e64 v11, s[0:1], 0, v11, s[0:1]
	v_mov_b32_e32 v14, s25
	v_add_co_u32_e64 v12, s[0:1], s24, v12
	v_addc_co_u32_e64 v13, s[0:1], v13, v14, s[0:1]
	v_mov_b32_e32 v14, s19
	v_addc_co_u32_e32 v15, vcc, v15, v14, vcc
	v_add_co_u32_e64 v12, s[0:1], 4, v12
	v_add_co_u32_e32 v14, vcc, 4, v16
	s_add_i32 s34, s34, s33
	v_addc_co_u32_e64 v13, s[0:1], 0, v13, s[0:1]
	v_addc_co_u32_e32 v15, vcc, 0, v15, vcc
	s_add_i32 s24, s20, -1
	v_add3_u32 v16, s34, v20, v19
.LBB137_7:                              ; =>This Inner Loop Header: Depth=1
	v_cmp_gt_f32_e32 vcc, v9, v8
	v_cndmask_b32_e32 v17, v8, v9, vcc
	v_cmp_gt_f32_e64 s[0:1], v2, v17
	v_cndmask_b32_e64 v17, v17, v2, s[0:1]
	v_cmp_gt_f32_e64 s[2:3], v3, v17
	v_cndmask_b32_e64 v17, v17, v3, s[2:3]
	;; [unrolled: 2-line block ×6, first 2 shown]
	v_sub_f32_e32 v17, v17, v0
	v_mul_f32_e32 v19, 0x3fb8aa3b, v17
	v_fma_f32 v20, v17, s35, -v19
	v_rndne_f32_e32 v23, v19
	v_fmac_f32_e32 v20, 0x32a5705f, v17
	v_sub_f32_e32 v19, v19, v23
	v_add_f32_e32 v19, v19, v20
	v_cndmask_b32_e64 v20, 0, 1, vcc
	v_cndmask_b32_e64 v20, v20, 2, s[0:1]
	v_cndmask_b32_e64 v20, v20, 3, s[2:3]
	;; [unrolled: 1-line block ×6, first 2 shown]
	v_cmp_le_i32_e32 vcc, s21, v20
	v_cmp_gt_i32_e64 s[0:1], s22, v20
	s_and_b64 s[0:1], vcc, s[0:1]
	v_cmp_ne_u32_e64 s[2:3], 7, v20
	v_cmp_ne_u32_e64 s[4:5], 6, v20
	;; [unrolled: 1-line block ×8, first 2 shown]
	v_subrev_u32_e32 v20, s21, v20
	s_and_b64 vcc, s[30:31], s[0:1]
	v_cndmask_b32_e32 v20, 8, v20, vcc
	global_store_dword v[12:13], v20, off
	v_cvt_i32_f32_e32 v20, v23
	v_exp_f32_e32 v19, v19
	v_cmp_ngt_f32_e32 vcc, s36, v17
	global_store_dword v[10:11], v16, off
	s_add_i32 s24, s24, -1
	v_ldexp_f32 v19, v19, v20
	v_cndmask_b32_e32 v19, 0, v19, vcc
	v_cmp_nlt_f32_e32 vcc, s37, v17
	v_cndmask_b32_e32 v17, v22, v19, vcc
	v_add_co_u32_e32 v10, vcc, 4, v10
	v_addc_co_u32_e32 v11, vcc, 0, v11, vcc
	v_add_co_u32_e32 v12, vcc, 4, v12
	v_addc_co_u32_e32 v13, vcc, 0, v13, vcc
	global_store_dword v[14:15], v17, off
	v_add_co_u32_e32 v14, vcc, 4, v14
	v_add_f32_e32 v18, v18, v17
	v_cndmask_b32_e64 v7, v21, v7, s[2:3]
	v_cndmask_b32_e64 v6, v21, v6, s[4:5]
	;; [unrolled: 1-line block ×8, first 2 shown]
	v_add_u32_e32 v16, s33, v16
	s_cmp_eq_u32 s24, 0
	v_addc_co_u32_e32 v15, vcc, 0, v15, vcc
	s_cbranch_scc0 .LBB137_7
	s_branch .LBB137_9
.LBB137_8:
	v_mov_b32_e32 v18, 0
.LBB137_9:
	v_pk_add_f32 v[8:9], v[8:9], v[0:1] op_sel_hi:[1,0] neg_lo:[0,1] neg_hi:[0,1]
	s_mov_b32 s0, 0x3fb8aa3b
	v_mul_f32_e32 v10, 0x3fb8aa3b, v9
	v_fma_f32 v11, v9, s0, -v10
	v_rndne_f32_e32 v12, v10
	v_fmac_f32_e32 v11, 0x32a5705f, v9
	v_sub_f32_e32 v10, v10, v12
	v_add_f32_e32 v10, v10, v11
	v_exp_f32_e32 v10, v10
	v_cvt_i32_f32_e32 v11, v12
	s_mov_b32 s1, 0xc2ce8ed0
	v_cmp_ngt_f32_e32 vcc, s1, v9
	s_mov_b32 s2, 0x42b17218
	v_ldexp_f32 v10, v10, v11
	v_mul_f32_e32 v11, 0x3fb8aa3b, v8
	v_fma_f32 v12, v8, s0, -v11
	v_rndne_f32_e32 v13, v11
	v_fmac_f32_e32 v12, 0x32a5705f, v8
	v_sub_f32_e32 v11, v11, v13
	v_add_f32_e32 v11, v11, v12
	v_exp_f32_e32 v11, v11
	v_cvt_i32_f32_e32 v12, v13
	v_cndmask_b32_e32 v10, 0, v10, vcc
	v_mov_b32_e32 v13, 0x7f800000
	v_cmp_nlt_f32_e32 vcc, s2, v9
	v_sub_f32_e32 v2, v2, v0
	v_cndmask_b32_e32 v9, v13, v10, vcc
	v_ldexp_f32 v10, v11, v12
	v_mul_f32_e32 v11, 0x3fb8aa3b, v2
	v_fma_f32 v12, v2, s0, -v11
	v_rndne_f32_e32 v14, v11
	v_fmac_f32_e32 v12, 0x32a5705f, v2
	v_sub_f32_e32 v11, v11, v14
	v_add_f32_e32 v11, v11, v12
	v_exp_f32_e32 v11, v11
	v_cvt_i32_f32_e32 v12, v14
	v_cmp_ngt_f32_e32 vcc, s1, v8
	v_cndmask_b32_e32 v10, 0, v10, vcc
	v_cmp_nlt_f32_e32 vcc, s2, v8
	v_sub_f32_e32 v3, v3, v0
	v_cndmask_b32_e32 v8, v13, v10, vcc
	v_mul_f32_e32 v10, 0x3fb8aa3b, v3
	v_add_f32_e32 v8, v8, v9
	v_ldexp_f32 v9, v11, v12
	v_fma_f32 v11, v3, s0, -v10
	v_rndne_f32_e32 v12, v10
	v_fmac_f32_e32 v11, 0x32a5705f, v3
	v_sub_f32_e32 v10, v10, v12
	v_add_f32_e32 v10, v10, v11
	v_exp_f32_e32 v10, v10
	v_cvt_i32_f32_e32 v11, v12
	v_cmp_ngt_f32_e32 vcc, s1, v2
	v_cndmask_b32_e32 v9, 0, v9, vcc
	v_cmp_nlt_f32_e32 vcc, s2, v2
	v_sub_f32_e32 v4, v4, v0
	v_cndmask_b32_e32 v2, v13, v9, vcc
	v_mul_f32_e32 v9, 0x3fb8aa3b, v4
	v_add_f32_e32 v2, v8, v2
	v_ldexp_f32 v8, v10, v11
	;; [unrolled: 15-line block ×5, first 2 shown]
	v_fma_f32 v6, v0, s0, -v5
	v_rndne_f32_e32 v7, v5
	v_fmac_f32_e32 v6, 0x32a5705f, v0
	v_sub_f32_e32 v5, v5, v7
	v_add_f32_e32 v5, v5, v6
	v_exp_f32_e32 v5, v5
	v_cvt_i32_f32_e32 v6, v7
	v_cmp_ngt_f32_e32 vcc, s1, v4
	v_cndmask_b32_e32 v3, 0, v3, vcc
	v_cmp_nlt_f32_e32 vcc, s2, v4
	v_cndmask_b32_e32 v3, v13, v3, vcc
	v_add_f32_e32 v2, v2, v3
	v_ldexp_f32 v3, v5, v6
	v_cmp_ngt_f32_e32 vcc, s1, v0
	v_cndmask_b32_e32 v3, 0, v3, vcc
	v_cmp_nlt_f32_e32 vcc, s2, v0
	v_cndmask_b32_e32 v0, v13, v3, vcc
	v_add_f32_e32 v0, v2, v0
	v_add_f32_e32 v0, v18, v0
	v_cmp_neq_f32_e32 vcc, 0, v0
	s_and_b64 exec, exec, vcc
	s_cbranch_execz .LBB137_20
; %bb.10:
	s_andn2_b64 vcc, exec, s[28:29]
	s_cbranch_vccnz .LBB137_20
; %bb.11:
	v_div_scale_f32 v2, s[0:1], v0, v0, 1.0
	v_rcp_f32_e32 v3, v2
	v_div_scale_f32 v4, vcc, 1.0, v0, 1.0
	s_cmp_gt_u32 s20, 3
	v_fma_f32 v5, -v2, v3, 1.0
	v_fmac_f32_e32 v3, v5, v3
	v_mul_f32_e32 v5, v4, v3
	v_fma_f32 v6, -v2, v5, v4
	v_fmac_f32_e32 v5, v6, v3
	v_fma_f32 v2, -v2, v5, v4
	v_div_fmas_f32 v2, v2, v3, v5
	v_div_fixup_f32 v0, v2, v0, 1.0
	v_mul_lo_u32 v2, v1, s23
	v_ashrrev_i32_e32 v3, 31, v2
	s_cbranch_scc0 .LBB137_15
; %bb.12:
	v_lshlrev_b64 v[4:5], 2, v[2:3]
	v_mov_b32_e32 v6, s19
	v_add_co_u32_e32 v4, vcc, s18, v4
	v_addc_co_u32_e32 v5, vcc, v5, v6, vcc
	s_and_b32 s4, s20, 0x7ffffffc
	v_add_co_u32_e32 v4, vcc, 8, v4
	v_mov_b32_e32 v1, v0
	v_addc_co_u32_e32 v5, vcc, 0, v5, vcc
	s_mov_b32 s0, s4
.LBB137_13:                             ; =>This Inner Loop Header: Depth=1
	global_load_dwordx4 v[6:9], v[4:5], off offset:-8
	s_add_i32 s0, s0, -4
	s_cmp_lg_u32 s0, 0
	s_waitcnt vmcnt(0)
	v_pk_mul_f32 v[6:7], v[0:1], v[6:7]
	v_pk_mul_f32 v[8:9], v[0:1], v[8:9]
	global_store_dwordx4 v[4:5], v[6:9], off offset:-8
	v_add_co_u32_e32 v4, vcc, 16, v4
	v_addc_co_u32_e32 v5, vcc, 0, v5, vcc
	s_cbranch_scc1 .LBB137_13
; %bb.14:
	s_cmp_lg_u32 s4, s20
	s_cselect_b64 s[0:1], -1, 0
	s_branch .LBB137_17
.LBB137_15:
	s_mov_b64 s[0:1], 0
                                        ; implicit-def: $sgpr4
	s_cbranch_execz .LBB137_17
; %bb.16:
	s_mov_b64 s[0:1], -1
	s_mov_b32 s4, 0
.LBB137_17:
	s_andn2_b64 vcc, exec, s[0:1]
	s_cbranch_vccnz .LBB137_20
; %bb.18:
	v_add_co_u32_e32 v2, vcc, s4, v2
	v_addc_co_u32_e32 v3, vcc, 0, v3, vcc
	v_lshlrev_b64 v[2:3], 2, v[2:3]
	v_mov_b32_e32 v1, s19
	v_add_co_u32_e32 v2, vcc, s18, v2
	s_sub_i32 s0, s20, s4
	v_addc_co_u32_e32 v3, vcc, v1, v3, vcc
.LBB137_19:                             ; =>This Inner Loop Header: Depth=1
	global_load_dword v1, v[2:3], off
	s_add_i32 s0, s0, -1
	s_cmp_lg_u32 s0, 0
	s_waitcnt vmcnt(0)
	v_mul_f32_e32 v1, v0, v1
	global_store_dword v[2:3], v1, off
	v_add_co_u32_e32 v2, vcc, 4, v2
	v_addc_co_u32_e32 v3, vcc, 0, v3, vcc
	s_cbranch_scc1 .LBB137_19
.LBB137_20:
	s_endpgm
	.section	.rodata,"a",@progbits
	.p2align	6, 0x0
	.amdhsa_kernel _ZN4vllm3moe17topkGatingSoftmaxIDF16_Li8ELi8ELi8ELi16ELb0ELi0ELNS0_23SharedExpertScoringFuncE0EEEvPKT_PKbPfiPiS9_iiiiii
		.amdhsa_group_segment_fixed_size 0
		.amdhsa_private_segment_fixed_size 0
		.amdhsa_kernarg_size 72
		.amdhsa_user_sgpr_count 6
		.amdhsa_user_sgpr_private_segment_buffer 1
		.amdhsa_user_sgpr_dispatch_ptr 0
		.amdhsa_user_sgpr_queue_ptr 0
		.amdhsa_user_sgpr_kernarg_segment_ptr 1
		.amdhsa_user_sgpr_dispatch_id 0
		.amdhsa_user_sgpr_flat_scratch_init 0
		.amdhsa_user_sgpr_kernarg_preload_length 0
		.amdhsa_user_sgpr_kernarg_preload_offset 0
		.amdhsa_user_sgpr_private_segment_size 0
		.amdhsa_uses_dynamic_stack 0
		.amdhsa_system_sgpr_private_segment_wavefront_offset 0
		.amdhsa_system_sgpr_workgroup_id_x 1
		.amdhsa_system_sgpr_workgroup_id_y 0
		.amdhsa_system_sgpr_workgroup_id_z 0
		.amdhsa_system_sgpr_workgroup_info 0
		.amdhsa_system_vgpr_workitem_id 1
		.amdhsa_next_free_vgpr 24
		.amdhsa_next_free_sgpr 38
		.amdhsa_accum_offset 24
		.amdhsa_reserve_vcc 1
		.amdhsa_reserve_flat_scratch 0
		.amdhsa_float_round_mode_32 0
		.amdhsa_float_round_mode_16_64 0
		.amdhsa_float_denorm_mode_32 3
		.amdhsa_float_denorm_mode_16_64 3
		.amdhsa_dx10_clamp 1
		.amdhsa_ieee_mode 1
		.amdhsa_fp16_overflow 0
		.amdhsa_tg_split 0
		.amdhsa_exception_fp_ieee_invalid_op 0
		.amdhsa_exception_fp_denorm_src 0
		.amdhsa_exception_fp_ieee_div_zero 0
		.amdhsa_exception_fp_ieee_overflow 0
		.amdhsa_exception_fp_ieee_underflow 0
		.amdhsa_exception_fp_ieee_inexact 0
		.amdhsa_exception_int_div_zero 0
	.end_amdhsa_kernel
	.section	.text._ZN4vllm3moe17topkGatingSoftmaxIDF16_Li8ELi8ELi8ELi16ELb0ELi0ELNS0_23SharedExpertScoringFuncE0EEEvPKT_PKbPfiPiS9_iiiiii,"axG",@progbits,_ZN4vllm3moe17topkGatingSoftmaxIDF16_Li8ELi8ELi8ELi16ELb0ELi0ELNS0_23SharedExpertScoringFuncE0EEEvPKT_PKbPfiPiS9_iiiiii,comdat
.Lfunc_end137:
	.size	_ZN4vllm3moe17topkGatingSoftmaxIDF16_Li8ELi8ELi8ELi16ELb0ELi0ELNS0_23SharedExpertScoringFuncE0EEEvPKT_PKbPfiPiS9_iiiiii, .Lfunc_end137-_ZN4vllm3moe17topkGatingSoftmaxIDF16_Li8ELi8ELi8ELi16ELb0ELi0ELNS0_23SharedExpertScoringFuncE0EEEvPKT_PKbPfiPiS9_iiiiii
                                        ; -- End function
	.section	.AMDGPU.csdata,"",@progbits
; Kernel info:
; codeLenInByte = 2392
; NumSgprs: 42
; NumVgprs: 24
; NumAgprs: 0
; TotalNumVgprs: 24
; ScratchSize: 0
; MemoryBound: 0
; FloatMode: 240
; IeeeMode: 1
; LDSByteSize: 0 bytes/workgroup (compile time only)
; SGPRBlocks: 5
; VGPRBlocks: 2
; NumSGPRsForWavesPerEU: 42
; NumVGPRsForWavesPerEU: 24
; AccumOffset: 24
; Occupancy: 8
; WaveLimiterHint : 0
; COMPUTE_PGM_RSRC2:SCRATCH_EN: 0
; COMPUTE_PGM_RSRC2:USER_SGPR: 6
; COMPUTE_PGM_RSRC2:TRAP_HANDLER: 0
; COMPUTE_PGM_RSRC2:TGID_X_EN: 1
; COMPUTE_PGM_RSRC2:TGID_Y_EN: 0
; COMPUTE_PGM_RSRC2:TGID_Z_EN: 0
; COMPUTE_PGM_RSRC2:TIDIG_COMP_CNT: 1
; COMPUTE_PGM_RSRC3_GFX90A:ACCUM_OFFSET: 5
; COMPUTE_PGM_RSRC3_GFX90A:TG_SPLIT: 0
	.section	.text._ZN4vllm3moe17topkGatingSoftmaxIDF16_Li8ELi8ELi8ELi16ELb1ELi1ELNS0_23SharedExpertScoringFuncE1EEEvPKT_PKbPfiPiS9_iiiiii,"axG",@progbits,_ZN4vllm3moe17topkGatingSoftmaxIDF16_Li8ELi8ELi8ELi16ELb1ELi1ELNS0_23SharedExpertScoringFuncE1EEEvPKT_PKbPfiPiS9_iiiiii,comdat
	.protected	_ZN4vllm3moe17topkGatingSoftmaxIDF16_Li8ELi8ELi8ELi16ELb1ELi1ELNS0_23SharedExpertScoringFuncE1EEEvPKT_PKbPfiPiS9_iiiiii ; -- Begin function _ZN4vllm3moe17topkGatingSoftmaxIDF16_Li8ELi8ELi8ELi16ELb1ELi1ELNS0_23SharedExpertScoringFuncE1EEEvPKT_PKbPfiPiS9_iiiiii
	.globl	_ZN4vllm3moe17topkGatingSoftmaxIDF16_Li8ELi8ELi8ELi16ELb1ELi1ELNS0_23SharedExpertScoringFuncE1EEEvPKT_PKbPfiPiS9_iiiiii
	.p2align	8
	.type	_ZN4vllm3moe17topkGatingSoftmaxIDF16_Li8ELi8ELi8ELi16ELb1ELi1ELNS0_23SharedExpertScoringFuncE1EEEvPKT_PKbPfiPiS9_iiiiii,@function
_ZN4vllm3moe17topkGatingSoftmaxIDF16_Li8ELi8ELi8ELi16ELb1ELi1ELNS0_23SharedExpertScoringFuncE1EEEvPKT_PKbPfiPiS9_iiiiii: ; @_ZN4vllm3moe17topkGatingSoftmaxIDF16_Li8ELi8ELi8ELi16ELb1ELi1ELNS0_23SharedExpertScoringFuncE1EEEvPKT_PKbPfiPiS9_iiiiii
; %bb.0:
	s_load_dword s28, s[4:5], 0x18
	v_bfe_u32 v1, v0, 10, 10
	s_lshl_b32 s8, s6, 9
	v_lshlrev_b32_e32 v17, 6, v1
	v_and_b32_e32 v18, 0x3ff, v0
	v_add3_u32 v4, v17, v18, s8
	s_waitcnt lgkmcnt(0)
	v_cmp_gt_i32_e32 vcc, s28, v4
	s_and_saveexec_b64 s[0:1], vcc
	s_cbranch_execz .LBB138_19
; %bb.1:
	s_load_dwordx4 s[0:3], s[4:5], 0x0
	s_load_dwordx2 s[18:19], s[4:5], 0x10
	s_waitcnt lgkmcnt(0)
	s_cmp_eq_u64 s[2:3], 0
	s_cbranch_scc1 .LBB138_3
; %bb.2:
	v_ashrrev_i32_e32 v1, 31, v4
	v_mov_b32_e32 v2, s3
	v_add_co_u32_e32 v0, vcc, s2, v4
	v_addc_co_u32_e32 v1, vcc, v2, v1, vcc
	global_load_ubyte v0, v[0:1], off
	s_waitcnt vmcnt(0)
	v_and_b32_e32 v0, 1, v0
	v_cmp_eq_u32_e32 vcc, 1, v0
	s_xor_b64 s[2:3], vcc, -1
	s_orn2_b64 s[24:25], s[2:3], exec
	s_branch .LBB138_4
.LBB138_3:
	s_mov_b64 s[24:25], -1
.LBB138_4:
	s_load_dwordx2 s[2:3], s[4:5], 0x40
	s_load_dwordx4 s[20:23], s[4:5], 0x30
	v_mov_b32_e32 v2, s1
	s_mov_b32 s1, 0x32a5705f
	s_mov_b32 s9, 0x42b17218
	s_waitcnt lgkmcnt(0)
	v_mul_lo_u32 v0, v4, s3
	v_ashrrev_i32_e32 v1, 31, v0
	v_lshlrev_b64 v[0:1], 1, v[0:1]
	v_add_co_u32_e32 v6, vcc, s0, v0
	v_addc_co_u32_e32 v7, vcc, v2, v1, vcc
	global_load_ushort v9, v[6:7], off offset:16
	global_load_dwordx4 v[0:3], v[6:7], off
	s_mov_b32 s0, 0x3fb8aa3b
	s_mov_b32 s3, 0xc2ce8ed0
	v_mov_b32_e32 v5, 0x7f800000
	v_mul_lo_u32 v8, v4, s23
	v_add_u32_e32 v6, s20, v8
	v_mov_b32_e32 v10, s19
	s_cmp_gt_i32 s20, 0
	v_mov_b32_e32 v16, 0
	s_cselect_b64 s[26:27], -1, 0
	s_cmp_lt_i32 s20, 1
	s_waitcnt vmcnt(1)
	v_cvt_f32_f16_e64 v11, -v9
	v_mul_f32_e32 v7, 0x3fb8aa3b, v11
	v_fma_mix_f32 v12, -v9, s0, -v7 op_sel_hi:[1,0,0]
	v_rndne_f32_e32 v13, v7
	v_fma_mix_f32 v9, -v9, s1, v12 op_sel_hi:[1,0,0]
	v_sub_f32_e32 v7, v7, v13
	v_add_f32_e32 v7, v7, v9
	v_cvt_i32_f32_e32 v12, v13
	v_exp_f32_e32 v9, v7
	v_cmp_ngt_f32_e32 vcc, s3, v11
	v_ashrrev_i32_e32 v7, 31, v6
	v_lshlrev_b64 v[6:7], 2, v[6:7]
	v_ldexp_f32 v9, v9, v12
	v_cndmask_b32_e32 v9, 0, v9, vcc
	v_cmp_nlt_f32_e32 vcc, s9, v11
	v_cndmask_b32_e32 v9, v5, v9, vcc
	v_add_f32_e32 v9, 1.0, v9
	v_div_scale_f32 v11, s[6:7], v9, v9, 1.0
	v_rcp_f32_e32 v12, v11
	v_add_co_u32_e32 v6, vcc, s18, v6
	v_addc_co_u32_e32 v7, vcc, v10, v7, vcc
	v_fma_f32 v13, -v11, v12, 1.0
	v_div_scale_f32 v10, vcc, 1.0, v9, 1.0
	v_fmac_f32_e32 v12, v13, v12
	v_mul_f32_e32 v13, v10, v12
	v_fma_f32 v14, -v11, v13, v10
	v_fmac_f32_e32 v13, v14, v12
	v_fma_f32 v10, -v11, v13, v10
	v_div_fmas_f32 v10, v10, v12, v13
	v_div_fixup_f32 v9, v10, v9, 1.0
	global_store_dword v[6:7], v9, off
	s_cbranch_scc1 .LBB138_8
; %bb.5:
	s_waitcnt vmcnt(1)
	v_cvt_f32_f16_e32 v20, v0
	v_cvt_f32_f16_sdwa v21, v0 dst_sel:DWORD dst_unused:UNUSED_PAD src0_sel:WORD_1
	v_cvt_f32_f16_e32 v22, v1
	v_cvt_f32_f16_sdwa v14, v1 dst_sel:DWORD dst_unused:UNUSED_PAD src0_sel:WORD_1
	v_cmp_lt_f16_sdwa vcc, v0, v0 src0_sel:DWORD src1_sel:WORD_1
	v_cndmask_b32_e32 v1, v20, v21, vcc
	v_cvt_f32_f16_e32 v15, v2
	v_cndmask_b32_e64 v0, 0, 1, vcc
	v_cmp_lt_f32_e32 vcc, v1, v22
	v_cndmask_b32_e32 v1, v1, v22, vcc
	v_cvt_f32_f16_sdwa v24, v2 dst_sel:DWORD dst_unused:UNUSED_PAD src0_sel:WORD_1
	v_cndmask_b32_e64 v0, v0, 2, vcc
	v_cmp_lt_f32_e32 vcc, v1, v14
	v_cndmask_b32_e32 v1, v1, v14, vcc
	v_cvt_f32_f16_e32 v6, v3
	v_cndmask_b32_e64 v0, v0, 3, vcc
	v_cmp_lt_f32_e32 vcc, v1, v15
	v_cndmask_b32_e32 v1, v1, v15, vcc
	v_cvt_f32_f16_sdwa v7, v3 dst_sel:DWORD dst_unused:UNUSED_PAD src0_sel:WORD_1
	v_cndmask_b32_e64 v0, v0, 4, vcc
	v_cmp_lt_f32_e32 vcc, v1, v24
	v_cndmask_b32_e32 v1, v1, v24, vcc
	v_cndmask_b32_e64 v0, v0, 5, vcc
	v_cmp_lt_f32_e32 vcc, v1, v6
	v_cndmask_b32_e32 v1, v1, v6, vcc
	;; [unrolled: 3-line block ×3, first 2 shown]
	v_cndmask_b32_e64 v23, v0, 7, vcc
	v_sub_f32_e32 v0, v19, v19
	v_mul_f32_e32 v1, 0x3fb8aa3b, v0
	v_fma_f32 v2, v0, s0, -v1
	v_rndne_f32_e32 v3, v1
	v_fmac_f32_e32 v2, 0x32a5705f, v0
	v_sub_f32_e32 v1, v1, v3
	v_add_f32_e32 v1, v1, v2
	v_exp_f32_e32 v1, v1
	v_cvt_i32_f32_e32 v2, v3
	v_cmp_le_i32_e32 vcc, s21, v23
	v_cmp_gt_i32_e64 s[0:1], s22, v23
	s_and_b64 s[10:11], vcc, s[0:1]
	v_ldexp_f32 v1, v1, v2
	v_cmp_ngt_f32_e32 vcc, s3, v0
	s_load_dwordx4 s[4:7], s[4:5], 0x20
	v_cndmask_b32_e32 v1, 0, v1, vcc
	v_cmp_nlt_f32_e32 vcc, s9, v0
	v_ashrrev_i32_e32 v9, 31, v8
	v_cndmask_b32_e32 v16, v5, v1, vcc
	v_lshlrev_b64 v[0:1], 2, v[8:9]
	v_mul_lo_u32 v10, v4, s2
	v_mov_b32_e32 v3, s19
	v_add_co_u32_e32 v2, vcc, s18, v0
	v_addc_co_u32_e64 v3, s[0:1], v3, v1, vcc
	v_ashrrev_i32_e32 v11, 31, v10
	v_subrev_u32_e32 v0, s21, v23
	s_and_b64 s[0:1], s[24:25], s[10:11]
	v_lshlrev_b64 v[12:13], 2, v[10:11]
	v_mul_lo_u32 v26, v4, s20
	global_store_dword v[2:3], v16, off
	v_cndmask_b32_e64 v0, 8, v0, s[0:1]
	s_waitcnt lgkmcnt(0)
	v_mov_b32_e32 v3, s5
	v_add_co_u32_e64 v10, s[0:1], s4, v12
	v_addc_co_u32_e64 v11, s[0:1], v3, v13, s[0:1]
	v_ashrrev_i32_e32 v27, 31, v26
	global_store_dword v[10:11], v0, off
	v_lshlrev_b64 v[10:11], 2, v[26:27]
	v_mov_b32_e32 v0, s7
	v_add_co_u32_e64 v26, s[0:1], s6, v10
	v_addc_co_u32_e64 v27, s[0:1], v0, v11, s[0:1]
	s_cmp_eq_u32 s20, 1
	global_store_dword v[26:27], v4, off
	s_cbranch_scc1 .LBB138_8
; %bb.6:
	v_mov_b32_e32 v9, 0xff800000
	v_cmp_ne_u32_e64 s[0:1], 7, v23
	v_cndmask_b32_e64 v7, v9, v7, s[0:1]
	v_cmp_ne_u32_e64 s[0:1], 6, v23
	v_cndmask_b32_e64 v6, v9, v6, s[0:1]
	;; [unrolled: 2-line block ×5, first 2 shown]
	v_mov_b32_e32 v0, s7
	v_add_co_u32_e64 v10, s[0:1], s6, v10
	v_addc_co_u32_e64 v0, s[0:1], v11, v0, s[0:1]
	v_add_co_u32_e64 v10, s[0:1], 4, v10
	v_addc_co_u32_e64 v11, s[0:1], 0, v0, s[0:1]
	v_mov_b32_e32 v0, s5
	v_add_co_u32_e64 v12, s[0:1], s4, v12
	v_addc_co_u32_e64 v0, s[0:1], v13, v0, s[0:1]
	v_add_co_u32_e64 v12, s[0:1], 4, v12
	v_addc_co_u32_e64 v13, s[0:1], 0, v0, s[0:1]
	v_mov_b32_e32 v0, s19
	v_addc_co_u32_e32 v0, vcc, v1, v0, vcc
	v_add_co_u32_e32 v14, vcc, 4, v2
	v_addc_co_u32_e32 v15, vcc, 0, v0, vcc
	v_cmp_ne_u32_e32 vcc, 2, v23
	v_cndmask_b32_e32 v2, v9, v22, vcc
	v_cmp_ne_u32_e32 vcc, 0, v23
	s_add_i32 s8, s8, s28
	v_cmp_ne_u32_e64 s[0:1], 1, v23
	s_add_i32 s23, s20, -1
	v_add3_u32 v17, s8, v18, v17
	s_mov_b32 s29, 0x3fb8aa3b
	s_mov_b32 s30, 0xc2ce8ed0
	;; [unrolled: 1-line block ×3, first 2 shown]
	v_mov_b32_e32 v18, 0x7f800000
	v_cndmask_b32_e64 v1, v9, v21, s[0:1]
	v_cndmask_b32_e32 v0, v9, v20, vcc
.LBB138_7:                              ; =>This Inner Loop Header: Depth=1
	v_cmp_gt_f32_e32 vcc, v1, v0
	v_cndmask_b32_e32 v20, v0, v1, vcc
	v_cmp_gt_f32_e64 s[0:1], v2, v20
	v_cndmask_b32_e64 v20, v20, v2, s[0:1]
	v_cmp_gt_f32_e64 s[2:3], v3, v20
	v_cndmask_b32_e64 v20, v20, v3, s[2:3]
	;; [unrolled: 2-line block ×6, first 2 shown]
	v_sub_f32_e32 v20, v20, v19
	v_mul_f32_e32 v21, 0x3fb8aa3b, v20
	v_fma_f32 v22, v20, s29, -v21
	v_rndne_f32_e32 v23, v21
	v_fmac_f32_e32 v22, 0x32a5705f, v20
	v_sub_f32_e32 v21, v21, v23
	v_add_f32_e32 v21, v21, v22
	v_cndmask_b32_e64 v22, 0, 1, vcc
	v_cndmask_b32_e64 v22, v22, 2, s[0:1]
	v_cndmask_b32_e64 v22, v22, 3, s[2:3]
	;; [unrolled: 1-line block ×6, first 2 shown]
	v_cmp_le_i32_e32 vcc, s21, v22
	v_cmp_gt_i32_e64 s[0:1], s22, v22
	s_and_b64 s[0:1], vcc, s[0:1]
	v_cmp_ne_u32_e64 s[2:3], 7, v22
	v_cmp_ne_u32_e64 s[4:5], 6, v22
	;; [unrolled: 1-line block ×8, first 2 shown]
	v_subrev_u32_e32 v22, s21, v22
	s_and_b64 vcc, s[24:25], s[0:1]
	v_cndmask_b32_e32 v22, 8, v22, vcc
	global_store_dword v[12:13], v22, off
	v_cvt_i32_f32_e32 v22, v23
	v_exp_f32_e32 v21, v21
	v_cmp_ngt_f32_e32 vcc, s30, v20
	global_store_dword v[10:11], v17, off
	s_add_i32 s23, s23, -1
	v_ldexp_f32 v21, v21, v22
	v_cndmask_b32_e32 v21, 0, v21, vcc
	v_cmp_nlt_f32_e32 vcc, s31, v20
	v_cndmask_b32_e32 v20, v18, v21, vcc
	v_add_co_u32_e32 v10, vcc, 4, v10
	v_addc_co_u32_e32 v11, vcc, 0, v11, vcc
	v_add_co_u32_e32 v12, vcc, 4, v12
	v_addc_co_u32_e32 v13, vcc, 0, v13, vcc
	global_store_dword v[14:15], v20, off
	v_add_co_u32_e32 v14, vcc, 4, v14
	v_add_f32_e32 v16, v16, v20
	v_cndmask_b32_e64 v7, v9, v7, s[2:3]
	v_cndmask_b32_e64 v6, v9, v6, s[4:5]
	;; [unrolled: 1-line block ×8, first 2 shown]
	v_add_u32_e32 v17, s28, v17
	s_cmp_eq_u32 s23, 0
	v_addc_co_u32_e32 v15, vcc, 0, v15, vcc
	s_cbranch_scc0 .LBB138_7
.LBB138_8:
	v_cmp_neq_f32_e32 vcc, 0, v16
	s_and_b64 exec, exec, vcc
	s_cbranch_execz .LBB138_19
; %bb.9:
	s_andn2_b64 vcc, exec, s[26:27]
	s_cbranch_vccnz .LBB138_19
; %bb.10:
	s_waitcnt vmcnt(1)
	v_div_scale_f32 v0, s[0:1], v16, v16, 1.0
	v_rcp_f32_e32 v1, v0
	v_div_scale_f32 v2, vcc, 1.0, v16, 1.0
	s_cmp_gt_u32 s20, 3
	v_fma_f32 v3, -v0, v1, 1.0
	v_fmac_f32_e32 v1, v3, v1
	v_mul_f32_e32 v3, v2, v1
	v_fma_f32 v4, -v0, v3, v2
	v_fmac_f32_e32 v3, v4, v1
	v_fma_f32 v0, -v0, v3, v2
	v_div_fmas_f32 v0, v0, v1, v3
	v_div_fixup_f32 v0, v0, v16, 1.0
	v_ashrrev_i32_e32 v9, 31, v8
	s_cbranch_scc0 .LBB138_14
; %bb.11:
	v_lshlrev_b64 v[2:3], 2, v[8:9]
	v_mov_b32_e32 v4, s19
	v_add_co_u32_e32 v2, vcc, s18, v2
	v_addc_co_u32_e32 v3, vcc, v3, v4, vcc
	s_and_b32 s4, s20, 0x7ffffffc
	v_add_co_u32_e32 v2, vcc, 8, v2
	v_mov_b32_e32 v1, v0
	v_addc_co_u32_e32 v3, vcc, 0, v3, vcc
	s_mov_b32 s0, s4
.LBB138_12:                             ; =>This Inner Loop Header: Depth=1
	global_load_dwordx4 v[4:7], v[2:3], off offset:-8
	s_add_i32 s0, s0, -4
	s_cmp_lg_u32 s0, 0
	s_waitcnt vmcnt(0)
	v_pk_mul_f32 v[4:5], v[0:1], v[4:5]
	v_pk_mul_f32 v[6:7], v[0:1], v[6:7]
	global_store_dwordx4 v[2:3], v[4:7], off offset:-8
	v_add_co_u32_e32 v2, vcc, 16, v2
	v_addc_co_u32_e32 v3, vcc, 0, v3, vcc
	s_cbranch_scc1 .LBB138_12
; %bb.13:
	s_cmp_lg_u32 s4, s20
	s_cselect_b64 s[0:1], -1, 0
	s_branch .LBB138_16
.LBB138_14:
	s_mov_b64 s[0:1], 0
                                        ; implicit-def: $sgpr4
	s_cbranch_execz .LBB138_16
; %bb.15:
	s_mov_b64 s[0:1], -1
	s_mov_b32 s4, 0
.LBB138_16:
	s_andn2_b64 vcc, exec, s[0:1]
	s_cbranch_vccnz .LBB138_19
; %bb.17:
	v_add_co_u32_e32 v2, vcc, s4, v8
	v_addc_co_u32_e32 v3, vcc, 0, v9, vcc
	v_lshlrev_b64 v[2:3], 2, v[2:3]
	v_mov_b32_e32 v1, s19
	v_add_co_u32_e32 v2, vcc, s18, v2
	s_sub_i32 s0, s20, s4
	v_addc_co_u32_e32 v3, vcc, v1, v3, vcc
.LBB138_18:                             ; =>This Inner Loop Header: Depth=1
	global_load_dword v1, v[2:3], off
	s_add_i32 s0, s0, -1
	s_cmp_lg_u32 s0, 0
	s_waitcnt vmcnt(0)
	v_mul_f32_e32 v1, v0, v1
	global_store_dword v[2:3], v1, off
	v_add_co_u32_e32 v2, vcc, 4, v2
	v_addc_co_u32_e32 v3, vcc, 0, v3, vcc
	s_cbranch_scc1 .LBB138_18
.LBB138_19:
	s_endpgm
	.section	.rodata,"a",@progbits
	.p2align	6, 0x0
	.amdhsa_kernel _ZN4vllm3moe17topkGatingSoftmaxIDF16_Li8ELi8ELi8ELi16ELb1ELi1ELNS0_23SharedExpertScoringFuncE1EEEvPKT_PKbPfiPiS9_iiiiii
		.amdhsa_group_segment_fixed_size 0
		.amdhsa_private_segment_fixed_size 0
		.amdhsa_kernarg_size 72
		.amdhsa_user_sgpr_count 6
		.amdhsa_user_sgpr_private_segment_buffer 1
		.amdhsa_user_sgpr_dispatch_ptr 0
		.amdhsa_user_sgpr_queue_ptr 0
		.amdhsa_user_sgpr_kernarg_segment_ptr 1
		.amdhsa_user_sgpr_dispatch_id 0
		.amdhsa_user_sgpr_flat_scratch_init 0
		.amdhsa_user_sgpr_kernarg_preload_length 0
		.amdhsa_user_sgpr_kernarg_preload_offset 0
		.amdhsa_user_sgpr_private_segment_size 0
		.amdhsa_uses_dynamic_stack 0
		.amdhsa_system_sgpr_private_segment_wavefront_offset 0
		.amdhsa_system_sgpr_workgroup_id_x 1
		.amdhsa_system_sgpr_workgroup_id_y 0
		.amdhsa_system_sgpr_workgroup_id_z 0
		.amdhsa_system_sgpr_workgroup_info 0
		.amdhsa_system_vgpr_workitem_id 1
		.amdhsa_next_free_vgpr 28
		.amdhsa_next_free_sgpr 32
		.amdhsa_accum_offset 28
		.amdhsa_reserve_vcc 1
		.amdhsa_reserve_flat_scratch 0
		.amdhsa_float_round_mode_32 0
		.amdhsa_float_round_mode_16_64 0
		.amdhsa_float_denorm_mode_32 3
		.amdhsa_float_denorm_mode_16_64 3
		.amdhsa_dx10_clamp 1
		.amdhsa_ieee_mode 1
		.amdhsa_fp16_overflow 0
		.amdhsa_tg_split 0
		.amdhsa_exception_fp_ieee_invalid_op 0
		.amdhsa_exception_fp_denorm_src 0
		.amdhsa_exception_fp_ieee_div_zero 0
		.amdhsa_exception_fp_ieee_overflow 0
		.amdhsa_exception_fp_ieee_underflow 0
		.amdhsa_exception_fp_ieee_inexact 0
		.amdhsa_exception_int_div_zero 0
	.end_amdhsa_kernel
	.section	.text._ZN4vllm3moe17topkGatingSoftmaxIDF16_Li8ELi8ELi8ELi16ELb1ELi1ELNS0_23SharedExpertScoringFuncE1EEEvPKT_PKbPfiPiS9_iiiiii,"axG",@progbits,_ZN4vllm3moe17topkGatingSoftmaxIDF16_Li8ELi8ELi8ELi16ELb1ELi1ELNS0_23SharedExpertScoringFuncE1EEEvPKT_PKbPfiPiS9_iiiiii,comdat
.Lfunc_end138:
	.size	_ZN4vllm3moe17topkGatingSoftmaxIDF16_Li8ELi8ELi8ELi16ELb1ELi1ELNS0_23SharedExpertScoringFuncE1EEEvPKT_PKbPfiPiS9_iiiiii, .Lfunc_end138-_ZN4vllm3moe17topkGatingSoftmaxIDF16_Li8ELi8ELi8ELi16ELb1ELi1ELNS0_23SharedExpertScoringFuncE1EEEvPKT_PKbPfiPiS9_iiiiii
                                        ; -- End function
	.section	.AMDGPU.csdata,"",@progbits
; Kernel info:
; codeLenInByte = 1924
; NumSgprs: 36
; NumVgprs: 28
; NumAgprs: 0
; TotalNumVgprs: 28
; ScratchSize: 0
; MemoryBound: 0
; FloatMode: 240
; IeeeMode: 1
; LDSByteSize: 0 bytes/workgroup (compile time only)
; SGPRBlocks: 4
; VGPRBlocks: 3
; NumSGPRsForWavesPerEU: 36
; NumVGPRsForWavesPerEU: 28
; AccumOffset: 28
; Occupancy: 8
; WaveLimiterHint : 0
; COMPUTE_PGM_RSRC2:SCRATCH_EN: 0
; COMPUTE_PGM_RSRC2:USER_SGPR: 6
; COMPUTE_PGM_RSRC2:TRAP_HANDLER: 0
; COMPUTE_PGM_RSRC2:TGID_X_EN: 1
; COMPUTE_PGM_RSRC2:TGID_Y_EN: 0
; COMPUTE_PGM_RSRC2:TGID_Z_EN: 0
; COMPUTE_PGM_RSRC2:TIDIG_COMP_CNT: 1
; COMPUTE_PGM_RSRC3_GFX90A:ACCUM_OFFSET: 6
; COMPUTE_PGM_RSRC3_GFX90A:TG_SPLIT: 0
	.section	.text._ZN4vllm3moe17topkGatingSoftmaxIDF16_Li8ELi8ELi8ELi16ELb0ELi1ELNS0_23SharedExpertScoringFuncE1EEEvPKT_PKbPfiPiS9_iiiiii,"axG",@progbits,_ZN4vllm3moe17topkGatingSoftmaxIDF16_Li8ELi8ELi8ELi16ELb0ELi1ELNS0_23SharedExpertScoringFuncE1EEEvPKT_PKbPfiPiS9_iiiiii,comdat
	.protected	_ZN4vllm3moe17topkGatingSoftmaxIDF16_Li8ELi8ELi8ELi16ELb0ELi1ELNS0_23SharedExpertScoringFuncE1EEEvPKT_PKbPfiPiS9_iiiiii ; -- Begin function _ZN4vllm3moe17topkGatingSoftmaxIDF16_Li8ELi8ELi8ELi16ELb0ELi1ELNS0_23SharedExpertScoringFuncE1EEEvPKT_PKbPfiPiS9_iiiiii
	.globl	_ZN4vllm3moe17topkGatingSoftmaxIDF16_Li8ELi8ELi8ELi16ELb0ELi1ELNS0_23SharedExpertScoringFuncE1EEEvPKT_PKbPfiPiS9_iiiiii
	.p2align	8
	.type	_ZN4vllm3moe17topkGatingSoftmaxIDF16_Li8ELi8ELi8ELi16ELb0ELi1ELNS0_23SharedExpertScoringFuncE1EEEvPKT_PKbPfiPiS9_iiiiii,@function
_ZN4vllm3moe17topkGatingSoftmaxIDF16_Li8ELi8ELi8ELi16ELb0ELi1ELNS0_23SharedExpertScoringFuncE1EEEvPKT_PKbPfiPiS9_iiiiii: ; @_ZN4vllm3moe17topkGatingSoftmaxIDF16_Li8ELi8ELi8ELi16ELb0ELi1ELNS0_23SharedExpertScoringFuncE1EEEvPKT_PKbPfiPiS9_iiiiii
; %bb.0:
	s_load_dword s36, s[4:5], 0x18
	v_bfe_u32 v1, v0, 10, 10
	s_lshl_b32 s37, s6, 9
	v_lshlrev_b32_e32 v20, 6, v1
	v_and_b32_e32 v21, 0x3ff, v0
	v_add3_u32 v16, v20, v21, s37
	s_waitcnt lgkmcnt(0)
	v_cmp_gt_i32_e32 vcc, s36, v16
	s_and_saveexec_b64 s[0:1], vcc
	s_cbranch_execz .LBB139_19
; %bb.1:
	s_load_dwordx4 s[0:3], s[4:5], 0x0
	s_load_dwordx2 s[18:19], s[4:5], 0x10
	s_waitcnt lgkmcnt(0)
	s_cmp_eq_u64 s[2:3], 0
	s_cbranch_scc1 .LBB139_3
; %bb.2:
	v_ashrrev_i32_e32 v1, 31, v16
	v_mov_b32_e32 v2, s3
	v_add_co_u32_e32 v0, vcc, s2, v16
	v_addc_co_u32_e32 v1, vcc, v2, v1, vcc
	global_load_ubyte v0, v[0:1], off
	s_waitcnt vmcnt(0)
	v_and_b32_e32 v0, 1, v0
	v_cmp_eq_u32_e32 vcc, 1, v0
	s_xor_b64 s[2:3], vcc, -1
	s_orn2_b64 s[30:31], s[2:3], exec
	s_branch .LBB139_4
.LBB139_3:
	s_mov_b64 s[30:31], -1
.LBB139_4:
	s_load_dwordx2 s[14:15], s[4:5], 0x40
	s_load_dwordx4 s[20:23], s[4:5], 0x30
	v_mov_b32_e32 v2, s1
	v_mov_b32_e32 v5, s19
	s_mov_b32 s34, 0x3fb8aa3b
	s_waitcnt lgkmcnt(0)
	v_mul_lo_u32 v0, v16, s15
	v_ashrrev_i32_e32 v1, 31, v0
	v_lshlrev_b64 v[0:1], 1, v[0:1]
	v_add_co_u32_e32 v0, vcc, s0, v0
	v_addc_co_u32_e32 v1, vcc, v2, v1, vcc
	global_load_ushort v4, v[0:1], off offset:16
	global_load_dwordx4 v[12:15], v[0:1], off
	v_mul_lo_u32 v0, v16, s23
	v_add_u32_e32 v2, s20, v0
	v_ashrrev_i32_e32 v3, 31, v2
	v_lshlrev_b64 v[2:3], 2, v[2:3]
	v_add_co_u32_e32 v18, vcc, s18, v2
	v_addc_co_u32_e32 v19, vcc, v5, v3, vcc
	s_mov_b32 s0, 0x32a5705f
	s_mov_b32 s33, 0xc2ce8ed0
	;; [unrolled: 1-line block ×3, first 2 shown]
	v_mov_b32_e32 v9, 0x7f800000
	s_cmp_gt_i32 s20, 0
	v_mov_b32_e32 v1, 0
	s_cselect_b64 s[28:29], -1, 0
	s_cmp_lt_i32 s20, 1
	s_waitcnt vmcnt(1)
	v_cvt_f32_f16_e64 v6, -v4
	s_waitcnt vmcnt(0)
	v_cvt_f32_f16_e32 v2, v13
	v_cvt_f32_f16_e32 v10, v12
	v_cvt_f32_f16_sdwa v11, v12 dst_sel:DWORD dst_unused:UNUSED_PAD src0_sel:WORD_1
	v_mul_f32_e32 v3, 0x3fb8aa3b, v6
	v_fma_mix_f32 v5, -v4, s34, -v3 op_sel_hi:[1,0,0]
	v_rndne_f32_e32 v7, v3
	v_fma_mix_f32 v4, -v4, s0, v5 op_sel_hi:[1,0,0]
	v_sub_f32_e32 v3, v3, v7
	v_add_f32_e32 v3, v3, v4
	v_cvt_i32_f32_e32 v7, v7
	v_exp_f32_e32 v8, v3
	v_cmp_ngt_f32_e32 vcc, s33, v6
	v_cvt_f32_f16_sdwa v3, v13 dst_sel:DWORD dst_unused:UNUSED_PAD src0_sel:WORD_1
	v_cvt_f32_f16_e32 v4, v14
	v_ldexp_f32 v7, v8, v7
	v_cndmask_b32_e32 v7, 0, v7, vcc
	v_cmp_nlt_f32_e32 vcc, s35, v6
	v_cndmask_b32_e32 v6, v9, v7, vcc
	v_add_f32_e32 v8, 1.0, v6
	v_div_scale_f32 v7, s[0:1], v8, v8, 1.0
	v_rcp_f32_e32 v13, v7
	v_cvt_f32_f16_sdwa v5, v14 dst_sel:DWORD dst_unused:UNUSED_PAD src0_sel:WORD_1
	v_div_scale_f32 v14, vcc, 1.0, v8, 1.0
	v_fma_f32 v17, -v7, v13, 1.0
	v_fmac_f32_e32 v13, v17, v13
	v_mul_f32_e32 v17, v14, v13
	v_fma_f32 v22, -v7, v17, v14
	v_fmac_f32_e32 v17, v22, v13
	v_fma_f32 v7, -v7, v17, v14
	v_div_fmas_f32 v13, v7, v13, v17
	v_cmp_lt_f16_sdwa vcc, v12, v12 src0_sel:DWORD src1_sel:WORD_1
	v_cndmask_b32_e32 v12, v10, v11, vcc
	v_cmp_lt_f32_e64 s[0:1], v12, v2
	v_cndmask_b32_e64 v12, v12, v2, s[0:1]
	v_cmp_lt_f32_e64 s[2:3], v12, v3
	v_cndmask_b32_e64 v12, v12, v3, s[2:3]
	v_cvt_f32_f16_e32 v6, v15
	v_cmp_lt_f32_e64 s[6:7], v12, v4
	v_cndmask_b32_e64 v12, v12, v4, s[6:7]
	v_cvt_f32_f16_sdwa v7, v15 dst_sel:DWORD dst_unused:UNUSED_PAD src0_sel:WORD_1
	v_cmp_lt_f32_e64 s[8:9], v12, v5
	v_cndmask_b32_e64 v12, v12, v5, s[8:9]
	v_cmp_lt_f32_e64 s[10:11], v12, v6
	v_cndmask_b32_e64 v12, v12, v6, s[10:11]
	v_div_fixup_f32 v8, v13, v8, 1.0
	v_cmp_lt_f32_e64 s[12:13], v12, v7
	global_store_dword v[18:19], v8, off
	v_cndmask_b32_e64 v8, v12, v7, s[12:13]
	s_cbranch_scc1 .LBB139_8
; %bb.5:
	s_load_dwordx4 s[24:27], s[4:5], 0x20
	v_mul_lo_u32 v12, v16, s14
	v_ashrrev_i32_e32 v13, 31, v12
	v_lshlrev_b64 v[14:15], 2, v[12:13]
	v_sub_f32_e32 v24, v8, v8
	s_waitcnt lgkmcnt(0)
	v_mov_b32_e32 v1, s25
	v_add_co_u32_e64 v12, s[4:5], s24, v14
	v_addc_co_u32_e64 v13, s[4:5], v1, v15, s[4:5]
	v_cndmask_b32_e64 v1, 0, 1, vcc
	v_cndmask_b32_e64 v1, v1, 2, s[0:1]
	v_cndmask_b32_e64 v1, v1, 3, s[2:3]
	;; [unrolled: 1-line block ×6, first 2 shown]
	v_cmp_le_i32_e32 vcc, s21, v23
	v_cmp_gt_i32_e64 s[0:1], s22, v23
	s_and_b64 s[0:1], vcc, s[0:1]
	v_subrev_u32_e32 v1, s21, v23
	s_and_b64 vcc, s[30:31], s[0:1]
	v_cndmask_b32_e32 v1, 8, v1, vcc
	global_store_dword v[12:13], v1, off
	v_mul_lo_u32 v12, v16, s20
	v_ashrrev_i32_e32 v13, 31, v12
	v_lshlrev_b64 v[12:13], 2, v[12:13]
	v_mov_b32_e32 v1, s27
	v_add_co_u32_e32 v18, vcc, s26, v12
	v_addc_co_u32_e32 v19, vcc, v1, v13, vcc
	v_mul_f32_e32 v1, 0x3fb8aa3b, v24
	global_store_dword v[18:19], v16, off
	v_rndne_f32_e32 v16, v1
	v_sub_f32_e32 v17, v1, v16
	v_fma_f32 v1, v24, s34, -v1
	v_fmac_f32_e32 v1, 0x32a5705f, v24
	v_add_f32_e32 v1, v17, v1
	v_exp_f32_e32 v1, v1
	v_cvt_i32_f32_e32 v16, v16
	v_mov_b32_e32 v19, s19
	v_cmp_ngt_f32_e64 s[16:17], s33, v24
	v_mov_b32_e32 v22, 0xff800000
	v_ldexp_f32 v25, v1, v16
	v_ashrrev_i32_e32 v1, 31, v0
	v_lshlrev_b64 v[16:17], 2, v[0:1]
	v_add_co_u32_e32 v18, vcc, s18, v16
	v_addc_co_u32_e64 v19, s[0:1], v19, v17, vcc
	v_cmp_ne_u32_e64 s[0:1], 7, v23
	v_cmp_ne_u32_e64 s[2:3], 6, v23
	;; [unrolled: 1-line block ×8, first 2 shown]
	v_cndmask_b32_e64 v1, 0, v25, s[16:17]
	v_cmp_nlt_f32_e64 s[16:17], s35, v24
	v_cndmask_b32_e64 v1, v9, v1, s[16:17]
	v_cndmask_b32_e64 v7, v22, v7, s[0:1]
	v_cndmask_b32_e64 v6, v22, v6, s[2:3]
	v_cndmask_b32_e64 v5, v22, v5, s[4:5]
	v_cndmask_b32_e64 v4, v22, v4, s[6:7]
	v_cndmask_b32_e64 v3, v22, v3, s[8:9]
	v_cndmask_b32_e64 v2, v22, v2, s[10:11]
	v_cndmask_b32_e64 v11, v22, v11, s[12:13]
	s_cmp_eq_u32 s20, 1
	v_cndmask_b32_e64 v10, v22, v10, s[14:15]
	global_store_dword v[18:19], v1, off
	s_cbranch_scc1 .LBB139_8
; %bb.6:
	v_mov_b32_e32 v16, s27
	v_add_co_u32_e64 v12, s[0:1], s26, v12
	v_addc_co_u32_e64 v13, s[0:1], v13, v16, s[0:1]
	v_add_co_u32_e64 v12, s[0:1], 4, v12
	v_addc_co_u32_e64 v13, s[0:1], 0, v13, s[0:1]
	v_mov_b32_e32 v16, s25
	v_add_co_u32_e64 v14, s[0:1], s24, v14
	v_addc_co_u32_e64 v15, s[0:1], v15, v16, s[0:1]
	v_mov_b32_e32 v16, s19
	v_addc_co_u32_e32 v17, vcc, v17, v16, vcc
	v_add_co_u32_e64 v14, s[0:1], 4, v14
	v_add_co_u32_e32 v16, vcc, 4, v18
	s_add_i32 s37, s37, s36
	v_addc_co_u32_e64 v15, s[0:1], 0, v15, s[0:1]
	v_addc_co_u32_e32 v17, vcc, 0, v17, vcc
	s_add_i32 s23, s20, -1
	v_add3_u32 v18, s37, v21, v20
	s_mov_b32 s24, 0x3fb8aa3b
	s_mov_b32 s25, 0xc2ce8ed0
	s_mov_b32 s26, 0x42b17218
	v_mov_b32_e32 v19, 0x7f800000
.LBB139_7:                              ; =>This Inner Loop Header: Depth=1
	v_cmp_gt_f32_e32 vcc, v11, v10
	v_cndmask_b32_e32 v20, v10, v11, vcc
	v_cmp_gt_f32_e64 s[0:1], v2, v20
	v_cndmask_b32_e64 v20, v20, v2, s[0:1]
	v_cmp_gt_f32_e64 s[2:3], v3, v20
	v_cndmask_b32_e64 v20, v20, v3, s[2:3]
	;; [unrolled: 2-line block ×6, first 2 shown]
	v_sub_f32_e32 v20, v20, v8
	v_mul_f32_e32 v21, 0x3fb8aa3b, v20
	v_fma_f32 v23, v20, s24, -v21
	v_rndne_f32_e32 v24, v21
	v_fmac_f32_e32 v23, 0x32a5705f, v20
	v_sub_f32_e32 v21, v21, v24
	v_add_f32_e32 v21, v21, v23
	v_cndmask_b32_e64 v23, 0, 1, vcc
	v_cndmask_b32_e64 v23, v23, 2, s[0:1]
	v_cndmask_b32_e64 v23, v23, 3, s[2:3]
	;; [unrolled: 1-line block ×6, first 2 shown]
	v_cmp_le_i32_e32 vcc, s21, v23
	v_cmp_gt_i32_e64 s[0:1], s22, v23
	s_and_b64 s[0:1], vcc, s[0:1]
	v_cmp_ne_u32_e64 s[2:3], 7, v23
	v_cmp_ne_u32_e64 s[4:5], 6, v23
	;; [unrolled: 1-line block ×8, first 2 shown]
	v_subrev_u32_e32 v23, s21, v23
	s_and_b64 vcc, s[30:31], s[0:1]
	v_cndmask_b32_e32 v23, 8, v23, vcc
	global_store_dword v[14:15], v23, off
	v_cvt_i32_f32_e32 v23, v24
	v_exp_f32_e32 v21, v21
	v_cmp_ngt_f32_e32 vcc, s25, v20
	global_store_dword v[12:13], v18, off
	s_add_i32 s23, s23, -1
	v_ldexp_f32 v21, v21, v23
	v_cndmask_b32_e32 v21, 0, v21, vcc
	v_cmp_nlt_f32_e32 vcc, s26, v20
	v_cndmask_b32_e32 v20, v19, v21, vcc
	v_add_co_u32_e32 v12, vcc, 4, v12
	v_addc_co_u32_e32 v13, vcc, 0, v13, vcc
	v_add_co_u32_e32 v14, vcc, 4, v14
	v_addc_co_u32_e32 v15, vcc, 0, v15, vcc
	global_store_dword v[16:17], v20, off
	v_add_co_u32_e32 v16, vcc, 4, v16
	v_add_f32_e32 v1, v1, v20
	v_cndmask_b32_e64 v7, v22, v7, s[2:3]
	v_cndmask_b32_e64 v6, v22, v6, s[4:5]
	v_cndmask_b32_e64 v5, v22, v5, s[6:7]
	v_cndmask_b32_e64 v4, v22, v4, s[8:9]
	v_cndmask_b32_e64 v3, v22, v3, s[10:11]
	v_cndmask_b32_e64 v2, v22, v2, s[12:13]
	v_cndmask_b32_e64 v11, v22, v11, s[14:15]
	v_cndmask_b32_e64 v10, v22, v10, s[16:17]
	v_add_u32_e32 v18, s36, v18
	s_cmp_eq_u32 s23, 0
	v_addc_co_u32_e32 v17, vcc, 0, v17, vcc
	s_cbranch_scc0 .LBB139_7
.LBB139_8:
	v_pk_add_f32 v[10:11], v[10:11], v[8:9] op_sel_hi:[1,0] neg_lo:[0,1] neg_hi:[0,1]
	v_mul_f32_e32 v12, 0x3fb8aa3b, v11
	v_fma_f32 v13, v11, s34, -v12
	v_rndne_f32_e32 v14, v12
	v_fmac_f32_e32 v13, 0x32a5705f, v11
	v_sub_f32_e32 v12, v12, v14
	v_add_f32_e32 v12, v12, v13
	v_cvt_i32_f32_e32 v13, v14
	v_exp_f32_e32 v12, v12
	v_cmp_ngt_f32_e32 vcc, s33, v11
	v_sub_f32_e32 v2, v2, v8
	v_sub_f32_e32 v3, v3, v8
	v_ldexp_f32 v12, v12, v13
	v_mul_f32_e32 v13, 0x3fb8aa3b, v10
	v_fma_f32 v14, v10, s34, -v13
	v_rndne_f32_e32 v15, v13
	v_fmac_f32_e32 v14, 0x32a5705f, v10
	v_sub_f32_e32 v13, v13, v15
	v_add_f32_e32 v13, v13, v14
	v_exp_f32_e32 v13, v13
	v_cvt_i32_f32_e32 v14, v15
	v_cndmask_b32_e32 v12, 0, v12, vcc
	v_cmp_nlt_f32_e32 vcc, s35, v11
	v_cndmask_b32_e32 v11, v9, v12, vcc
	v_ldexp_f32 v12, v13, v14
	v_mul_f32_e32 v13, 0x3fb8aa3b, v2
	v_fma_f32 v14, v2, s34, -v13
	v_rndne_f32_e32 v15, v13
	v_fmac_f32_e32 v14, 0x32a5705f, v2
	v_sub_f32_e32 v13, v13, v15
	v_add_f32_e32 v13, v13, v14
	v_exp_f32_e32 v13, v13
	v_cvt_i32_f32_e32 v14, v15
	v_cmp_ngt_f32_e32 vcc, s33, v10
	v_cndmask_b32_e32 v12, 0, v12, vcc
	v_cmp_nlt_f32_e32 vcc, s35, v10
	v_cndmask_b32_e32 v10, v9, v12, vcc
	v_mul_f32_e32 v12, 0x3fb8aa3b, v3
	v_add_f32_e32 v10, v10, v11
	v_ldexp_f32 v11, v13, v14
	v_fma_f32 v13, v3, s34, -v12
	v_rndne_f32_e32 v14, v12
	v_fmac_f32_e32 v13, 0x32a5705f, v3
	v_sub_f32_e32 v12, v12, v14
	v_add_f32_e32 v12, v12, v13
	v_exp_f32_e32 v12, v12
	v_cvt_i32_f32_e32 v13, v14
	v_cmp_ngt_f32_e32 vcc, s33, v2
	v_cndmask_b32_e32 v11, 0, v11, vcc
	v_cmp_nlt_f32_e32 vcc, s35, v2
	v_sub_f32_e32 v4, v4, v8
	v_cndmask_b32_e32 v2, v9, v11, vcc
	v_mul_f32_e32 v11, 0x3fb8aa3b, v4
	v_add_f32_e32 v2, v10, v2
	v_ldexp_f32 v10, v12, v13
	v_fma_f32 v12, v4, s34, -v11
	v_rndne_f32_e32 v13, v11
	v_fmac_f32_e32 v12, 0x32a5705f, v4
	v_sub_f32_e32 v11, v11, v13
	v_add_f32_e32 v11, v11, v12
	v_exp_f32_e32 v11, v11
	v_cvt_i32_f32_e32 v12, v13
	v_cmp_ngt_f32_e32 vcc, s33, v3
	v_cndmask_b32_e32 v10, 0, v10, vcc
	v_cmp_nlt_f32_e32 vcc, s35, v3
	v_sub_f32_e32 v5, v5, v8
	;; [unrolled: 15-line block ×3, first 2 shown]
	v_cndmask_b32_e32 v3, v9, v3, vcc
	v_mul_f32_e32 v6, 0x3fb8aa3b, v4
	v_add_f32_e32 v2, v2, v3
	v_ldexp_f32 v3, v10, v11
	v_fma_f32 v10, v4, s34, -v6
	v_rndne_f32_e32 v11, v6
	v_fmac_f32_e32 v10, 0x32a5705f, v4
	v_sub_f32_e32 v6, v6, v11
	v_add_f32_e32 v6, v6, v10
	v_exp_f32_e32 v6, v6
	v_cvt_i32_f32_e32 v10, v11
	v_cmp_ngt_f32_e32 vcc, s33, v5
	v_cndmask_b32_e32 v3, 0, v3, vcc
	v_cmp_nlt_f32_e32 vcc, s35, v5
	v_cndmask_b32_e32 v3, v9, v3, vcc
	v_sub_f32_e32 v5, v7, v8
	v_add_f32_e32 v2, v2, v3
	v_ldexp_f32 v3, v6, v10
	v_mul_f32_e32 v6, 0x3fb8aa3b, v5
	v_fma_f32 v7, v5, s34, -v6
	v_rndne_f32_e32 v8, v6
	v_fmac_f32_e32 v7, 0x32a5705f, v5
	v_sub_f32_e32 v6, v6, v8
	v_add_f32_e32 v6, v6, v7
	v_exp_f32_e32 v6, v6
	v_cvt_i32_f32_e32 v7, v8
	v_cmp_ngt_f32_e32 vcc, s33, v4
	v_cndmask_b32_e32 v3, 0, v3, vcc
	v_cmp_nlt_f32_e32 vcc, s35, v4
	v_cndmask_b32_e32 v3, v9, v3, vcc
	v_add_f32_e32 v2, v2, v3
	v_ldexp_f32 v3, v6, v7
	v_cmp_ngt_f32_e32 vcc, s33, v5
	v_cndmask_b32_e32 v3, 0, v3, vcc
	v_cmp_nlt_f32_e32 vcc, s35, v5
	v_cndmask_b32_e32 v3, v9, v3, vcc
	v_add_f32_e32 v2, v2, v3
	v_add_f32_e32 v1, v1, v2
	v_cmp_neq_f32_e32 vcc, 0, v1
	s_and_b64 exec, exec, vcc
	s_cbranch_execz .LBB139_19
; %bb.9:
	s_andn2_b64 vcc, exec, s[28:29]
	s_cbranch_vccnz .LBB139_19
; %bb.10:
	v_div_scale_f32 v2, s[0:1], v1, v1, 1.0
	v_rcp_f32_e32 v3, v2
	v_div_scale_f32 v4, vcc, 1.0, v1, 1.0
	s_cmp_gt_u32 s20, 3
	v_fma_f32 v5, -v2, v3, 1.0
	v_fmac_f32_e32 v3, v5, v3
	v_mul_f32_e32 v5, v4, v3
	v_fma_f32 v6, -v2, v5, v4
	v_fmac_f32_e32 v5, v6, v3
	v_fma_f32 v2, -v2, v5, v4
	v_div_fmas_f32 v2, v2, v3, v5
	v_div_fixup_f32 v2, v2, v1, 1.0
	v_ashrrev_i32_e32 v1, 31, v0
	s_cbranch_scc0 .LBB139_14
; %bb.11:
	v_lshlrev_b64 v[4:5], 2, v[0:1]
	v_mov_b32_e32 v6, s19
	v_add_co_u32_e32 v4, vcc, s18, v4
	v_addc_co_u32_e32 v5, vcc, v5, v6, vcc
	s_and_b32 s4, s20, 0x7ffffffc
	v_add_co_u32_e32 v4, vcc, 8, v4
	v_mov_b32_e32 v3, v2
	v_addc_co_u32_e32 v5, vcc, 0, v5, vcc
	s_mov_b32 s0, s4
.LBB139_12:                             ; =>This Inner Loop Header: Depth=1
	global_load_dwordx4 v[6:9], v[4:5], off offset:-8
	s_add_i32 s0, s0, -4
	s_cmp_lg_u32 s0, 0
	s_waitcnt vmcnt(0)
	v_pk_mul_f32 v[6:7], v[2:3], v[6:7]
	v_pk_mul_f32 v[8:9], v[2:3], v[8:9]
	global_store_dwordx4 v[4:5], v[6:9], off offset:-8
	v_add_co_u32_e32 v4, vcc, 16, v4
	v_addc_co_u32_e32 v5, vcc, 0, v5, vcc
	s_cbranch_scc1 .LBB139_12
; %bb.13:
	s_cmp_lg_u32 s4, s20
	s_cselect_b64 s[0:1], -1, 0
	s_branch .LBB139_16
.LBB139_14:
	s_mov_b64 s[0:1], 0
                                        ; implicit-def: $sgpr4
	s_cbranch_execz .LBB139_16
; %bb.15:
	s_mov_b64 s[0:1], -1
	s_mov_b32 s4, 0
.LBB139_16:
	s_andn2_b64 vcc, exec, s[0:1]
	s_cbranch_vccnz .LBB139_19
; %bb.17:
	v_add_co_u32_e32 v0, vcc, s4, v0
	v_addc_co_u32_e32 v1, vcc, 0, v1, vcc
	v_lshlrev_b64 v[0:1], 2, v[0:1]
	v_mov_b32_e32 v3, s19
	v_add_co_u32_e32 v0, vcc, s18, v0
	s_sub_i32 s0, s20, s4
	v_addc_co_u32_e32 v1, vcc, v3, v1, vcc
.LBB139_18:                             ; =>This Inner Loop Header: Depth=1
	global_load_dword v3, v[0:1], off
	s_add_i32 s0, s0, -1
	s_cmp_lg_u32 s0, 0
	s_waitcnt vmcnt(0)
	v_mul_f32_e32 v3, v2, v3
	global_store_dword v[0:1], v3, off
	v_add_co_u32_e32 v0, vcc, 4, v0
	v_addc_co_u32_e32 v1, vcc, 0, v1, vcc
	s_cbranch_scc1 .LBB139_18
.LBB139_19:
	s_endpgm
	.section	.rodata,"a",@progbits
	.p2align	6, 0x0
	.amdhsa_kernel _ZN4vllm3moe17topkGatingSoftmaxIDF16_Li8ELi8ELi8ELi16ELb0ELi1ELNS0_23SharedExpertScoringFuncE1EEEvPKT_PKbPfiPiS9_iiiiii
		.amdhsa_group_segment_fixed_size 0
		.amdhsa_private_segment_fixed_size 0
		.amdhsa_kernarg_size 72
		.amdhsa_user_sgpr_count 6
		.amdhsa_user_sgpr_private_segment_buffer 1
		.amdhsa_user_sgpr_dispatch_ptr 0
		.amdhsa_user_sgpr_queue_ptr 0
		.amdhsa_user_sgpr_kernarg_segment_ptr 1
		.amdhsa_user_sgpr_dispatch_id 0
		.amdhsa_user_sgpr_flat_scratch_init 0
		.amdhsa_user_sgpr_kernarg_preload_length 0
		.amdhsa_user_sgpr_kernarg_preload_offset 0
		.amdhsa_user_sgpr_private_segment_size 0
		.amdhsa_uses_dynamic_stack 0
		.amdhsa_system_sgpr_private_segment_wavefront_offset 0
		.amdhsa_system_sgpr_workgroup_id_x 1
		.amdhsa_system_sgpr_workgroup_id_y 0
		.amdhsa_system_sgpr_workgroup_id_z 0
		.amdhsa_system_sgpr_workgroup_info 0
		.amdhsa_system_vgpr_workitem_id 1
		.amdhsa_next_free_vgpr 26
		.amdhsa_next_free_sgpr 38
		.amdhsa_accum_offset 28
		.amdhsa_reserve_vcc 1
		.amdhsa_reserve_flat_scratch 0
		.amdhsa_float_round_mode_32 0
		.amdhsa_float_round_mode_16_64 0
		.amdhsa_float_denorm_mode_32 3
		.amdhsa_float_denorm_mode_16_64 3
		.amdhsa_dx10_clamp 1
		.amdhsa_ieee_mode 1
		.amdhsa_fp16_overflow 0
		.amdhsa_tg_split 0
		.amdhsa_exception_fp_ieee_invalid_op 0
		.amdhsa_exception_fp_denorm_src 0
		.amdhsa_exception_fp_ieee_div_zero 0
		.amdhsa_exception_fp_ieee_overflow 0
		.amdhsa_exception_fp_ieee_underflow 0
		.amdhsa_exception_fp_ieee_inexact 0
		.amdhsa_exception_int_div_zero 0
	.end_amdhsa_kernel
	.section	.text._ZN4vllm3moe17topkGatingSoftmaxIDF16_Li8ELi8ELi8ELi16ELb0ELi1ELNS0_23SharedExpertScoringFuncE1EEEvPKT_PKbPfiPiS9_iiiiii,"axG",@progbits,_ZN4vllm3moe17topkGatingSoftmaxIDF16_Li8ELi8ELi8ELi16ELb0ELi1ELNS0_23SharedExpertScoringFuncE1EEEvPKT_PKbPfiPiS9_iiiiii,comdat
.Lfunc_end139:
	.size	_ZN4vllm3moe17topkGatingSoftmaxIDF16_Li8ELi8ELi8ELi16ELb0ELi1ELNS0_23SharedExpertScoringFuncE1EEEvPKT_PKbPfiPiS9_iiiiii, .Lfunc_end139-_ZN4vllm3moe17topkGatingSoftmaxIDF16_Li8ELi8ELi8ELi16ELb0ELi1ELNS0_23SharedExpertScoringFuncE1EEEvPKT_PKbPfiPiS9_iiiiii
                                        ; -- End function
	.section	.AMDGPU.csdata,"",@progbits
; Kernel info:
; codeLenInByte = 2596
; NumSgprs: 42
; NumVgprs: 26
; NumAgprs: 0
; TotalNumVgprs: 26
; ScratchSize: 0
; MemoryBound: 0
; FloatMode: 240
; IeeeMode: 1
; LDSByteSize: 0 bytes/workgroup (compile time only)
; SGPRBlocks: 5
; VGPRBlocks: 3
; NumSGPRsForWavesPerEU: 42
; NumVGPRsForWavesPerEU: 26
; AccumOffset: 28
; Occupancy: 8
; WaveLimiterHint : 0
; COMPUTE_PGM_RSRC2:SCRATCH_EN: 0
; COMPUTE_PGM_RSRC2:USER_SGPR: 6
; COMPUTE_PGM_RSRC2:TRAP_HANDLER: 0
; COMPUTE_PGM_RSRC2:TGID_X_EN: 1
; COMPUTE_PGM_RSRC2:TGID_Y_EN: 0
; COMPUTE_PGM_RSRC2:TGID_Z_EN: 0
; COMPUTE_PGM_RSRC2:TIDIG_COMP_CNT: 1
; COMPUTE_PGM_RSRC3_GFX90A:ACCUM_OFFSET: 6
; COMPUTE_PGM_RSRC3_GFX90A:TG_SPLIT: 0
	.section	.text._ZN4vllm3moe17topkGatingSoftmaxIDF16_Li8ELi8ELi8ELi16ELb1ELi2ELNS0_23SharedExpertScoringFuncE1EEEvPKT_PKbPfiPiS9_iiiiii,"axG",@progbits,_ZN4vllm3moe17topkGatingSoftmaxIDF16_Li8ELi8ELi8ELi16ELb1ELi2ELNS0_23SharedExpertScoringFuncE1EEEvPKT_PKbPfiPiS9_iiiiii,comdat
	.protected	_ZN4vllm3moe17topkGatingSoftmaxIDF16_Li8ELi8ELi8ELi16ELb1ELi2ELNS0_23SharedExpertScoringFuncE1EEEvPKT_PKbPfiPiS9_iiiiii ; -- Begin function _ZN4vllm3moe17topkGatingSoftmaxIDF16_Li8ELi8ELi8ELi16ELb1ELi2ELNS0_23SharedExpertScoringFuncE1EEEvPKT_PKbPfiPiS9_iiiiii
	.globl	_ZN4vllm3moe17topkGatingSoftmaxIDF16_Li8ELi8ELi8ELi16ELb1ELi2ELNS0_23SharedExpertScoringFuncE1EEEvPKT_PKbPfiPiS9_iiiiii
	.p2align	8
	.type	_ZN4vllm3moe17topkGatingSoftmaxIDF16_Li8ELi8ELi8ELi16ELb1ELi2ELNS0_23SharedExpertScoringFuncE1EEEvPKT_PKbPfiPiS9_iiiiii,@function
_ZN4vllm3moe17topkGatingSoftmaxIDF16_Li8ELi8ELi8ELi16ELb1ELi2ELNS0_23SharedExpertScoringFuncE1EEEvPKT_PKbPfiPiS9_iiiiii: ; @_ZN4vllm3moe17topkGatingSoftmaxIDF16_Li8ELi8ELi8ELi16ELb1ELi2ELNS0_23SharedExpertScoringFuncE1EEEvPKT_PKbPfiPiS9_iiiiii
; %bb.0:
	s_load_dword s28, s[4:5], 0x18
	v_bfe_u32 v1, v0, 10, 10
	s_lshl_b32 s8, s6, 9
	v_lshlrev_b32_e32 v17, 6, v1
	v_and_b32_e32 v18, 0x3ff, v0
	v_add3_u32 v4, v17, v18, s8
	s_waitcnt lgkmcnt(0)
	v_cmp_gt_i32_e32 vcc, s28, v4
	s_and_saveexec_b64 s[0:1], vcc
	s_cbranch_execz .LBB140_19
; %bb.1:
	s_load_dwordx4 s[0:3], s[4:5], 0x0
	s_load_dwordx2 s[18:19], s[4:5], 0x10
	s_waitcnt lgkmcnt(0)
	s_cmp_eq_u64 s[2:3], 0
	s_cbranch_scc1 .LBB140_3
; %bb.2:
	v_ashrrev_i32_e32 v1, 31, v4
	v_mov_b32_e32 v2, s3
	v_add_co_u32_e32 v0, vcc, s2, v4
	v_addc_co_u32_e32 v1, vcc, v2, v1, vcc
	global_load_ubyte v0, v[0:1], off
	s_waitcnt vmcnt(0)
	v_and_b32_e32 v0, 1, v0
	v_cmp_eq_u32_e32 vcc, 1, v0
	s_xor_b64 s[2:3], vcc, -1
	s_orn2_b64 s[24:25], s[2:3], exec
	s_branch .LBB140_4
.LBB140_3:
	s_mov_b64 s[24:25], -1
.LBB140_4:
	s_load_dwordx2 s[2:3], s[4:5], 0x40
	s_load_dwordx4 s[20:23], s[4:5], 0x30
	v_mov_b32_e32 v2, s1
	s_mov_b32 s9, 0x3fb8aa3b
	v_mov_b32_e32 v10, s19
	s_waitcnt lgkmcnt(0)
	v_mul_lo_u32 v0, v4, s3
	v_ashrrev_i32_e32 v1, 31, v0
	v_lshlrev_b64 v[0:1], 1, v[0:1]
	v_add_co_u32_e32 v6, vcc, s0, v0
	v_addc_co_u32_e32 v7, vcc, v2, v1, vcc
	global_load_dword v9, v[6:7], off offset:16
	global_load_dwordx4 v[0:3], v[6:7], off
	s_mov_b32 s0, 0x32a5705f
	v_mul_lo_u32 v8, v4, s23
	v_add_u32_e32 v6, s20, v8
	v_ashrrev_i32_e32 v7, 31, v6
	v_lshlrev_b64 v[6:7], 2, v[6:7]
	v_add_co_u32_e32 v6, vcc, s18, v6
	s_mov_b32 s3, 0xc2ce8ed0
	v_addc_co_u32_e32 v7, vcc, v10, v7, vcc
	s_mov_b32 s10, 0x42b17218
	v_mov_b32_e32 v5, 0x7f800000
	s_cmp_gt_i32 s20, 0
	v_mov_b32_e32 v16, 0
	s_cselect_b64 s[26:27], -1, 0
	s_cmp_lt_i32 s20, 1
	s_waitcnt vmcnt(1)
	v_cvt_f32_f16_e64 v11, -v9
	v_cvt_f32_f16_sdwa v12, -v9 dst_sel:DWORD dst_unused:UNUSED_PAD src0_sel:WORD_1
	v_mul_f32_e32 v13, 0x3fb8aa3b, v11
	v_mul_f32_e32 v14, 0x3fb8aa3b, v12
	v_fma_mix_f32 v15, -v9, s9, -v13 op_sel_hi:[1,0,0]
	v_rndne_f32_e32 v19, v13
	v_fma_mix_f32 v20, -v9, s9, -v14 op_sel:[1,0,0] op_sel_hi:[1,0,0]
	v_rndne_f32_e32 v21, v14
	v_fma_mix_f32 v15, -v9, s0, v15 op_sel_hi:[1,0,0]
	v_sub_f32_e32 v13, v13, v19
	v_fma_mix_f32 v9, -v9, s0, v20 op_sel:[1,0,0] op_sel_hi:[1,0,0]
	v_sub_f32_e32 v14, v14, v21
	v_add_f32_e32 v13, v13, v15
	v_cvt_i32_f32_e32 v19, v19
	v_add_f32_e32 v9, v14, v9
	v_exp_f32_e32 v13, v13
	v_cvt_i32_f32_e32 v20, v21
	v_exp_f32_e32 v9, v9
	v_cmp_ngt_f32_e32 vcc, s3, v11
	v_ldexp_f32 v10, v13, v19
	v_cndmask_b32_e32 v10, 0, v10, vcc
	v_ldexp_f32 v9, v9, v20
	v_cmp_ngt_f32_e32 vcc, s3, v12
	v_cndmask_b32_e32 v9, 0, v9, vcc
	v_cmp_nlt_f32_e32 vcc, s10, v11
	v_cndmask_b32_e32 v10, v5, v10, vcc
	v_cmp_nlt_f32_e32 vcc, s10, v12
	v_cndmask_b32_e32 v11, v5, v9, vcc
	v_pk_add_f32 v[10:11], v[10:11], 1.0 op_sel_hi:[1,0]
	v_div_scale_f32 v9, s[0:1], v11, v11, 1.0
	v_div_scale_f32 v13, s[0:1], v10, v10, 1.0
	v_rcp_f32_e32 v14, v9
	v_rcp_f32_e32 v15, v13
	v_div_scale_f32 v12, vcc, 1.0, v11, 1.0
	v_fma_f32 v20, -v9, v14, 1.0
	v_fma_f32 v21, -v13, v15, 1.0
	v_fmac_f32_e32 v14, v20, v14
	v_div_scale_f32 v19, s[0:1], 1.0, v10, 1.0
	v_fmac_f32_e32 v15, v21, v15
	v_mul_f32_e32 v20, v12, v14
	v_mul_f32_e32 v21, v19, v15
	v_fma_f32 v22, -v9, v20, v12
	v_fma_f32 v23, -v13, v21, v19
	v_fmac_f32_e32 v20, v22, v14
	v_fmac_f32_e32 v21, v23, v15
	v_fma_f32 v9, -v9, v20, v12
	v_fma_f32 v12, -v13, v21, v19
	v_div_fmas_f32 v9, v9, v14, v20
	s_mov_b64 vcc, s[0:1]
	v_div_fixup_f32 v11, v9, v11, 1.0
	v_div_fmas_f32 v9, v12, v15, v21
	v_div_fixup_f32 v10, v9, v10, 1.0
	global_store_dwordx2 v[6:7], v[10:11], off
	s_cbranch_scc1 .LBB140_8
; %bb.5:
	s_waitcnt vmcnt(1)
	v_cvt_f32_f16_e32 v20, v0
	v_cvt_f32_f16_sdwa v21, v0 dst_sel:DWORD dst_unused:UNUSED_PAD src0_sel:WORD_1
	v_cvt_f32_f16_e32 v22, v1
	v_cvt_f32_f16_sdwa v14, v1 dst_sel:DWORD dst_unused:UNUSED_PAD src0_sel:WORD_1
	v_cmp_lt_f16_sdwa vcc, v0, v0 src0_sel:DWORD src1_sel:WORD_1
	v_cndmask_b32_e32 v1, v20, v21, vcc
	v_cvt_f32_f16_e32 v15, v2
	v_cndmask_b32_e64 v0, 0, 1, vcc
	v_cmp_lt_f32_e32 vcc, v1, v22
	v_cndmask_b32_e32 v1, v1, v22, vcc
	v_cvt_f32_f16_sdwa v24, v2 dst_sel:DWORD dst_unused:UNUSED_PAD src0_sel:WORD_1
	v_cndmask_b32_e64 v0, v0, 2, vcc
	v_cmp_lt_f32_e32 vcc, v1, v14
	v_cndmask_b32_e32 v1, v1, v14, vcc
	v_cvt_f32_f16_e32 v6, v3
	v_cndmask_b32_e64 v0, v0, 3, vcc
	v_cmp_lt_f32_e32 vcc, v1, v15
	v_cndmask_b32_e32 v1, v1, v15, vcc
	v_cvt_f32_f16_sdwa v7, v3 dst_sel:DWORD dst_unused:UNUSED_PAD src0_sel:WORD_1
	v_cndmask_b32_e64 v0, v0, 4, vcc
	v_cmp_lt_f32_e32 vcc, v1, v24
	v_cndmask_b32_e32 v1, v1, v24, vcc
	v_cndmask_b32_e64 v0, v0, 5, vcc
	v_cmp_lt_f32_e32 vcc, v1, v6
	v_cndmask_b32_e32 v1, v1, v6, vcc
	;; [unrolled: 3-line block ×3, first 2 shown]
	v_cndmask_b32_e64 v23, v0, 7, vcc
	v_sub_f32_e32 v0, v19, v19
	v_mul_f32_e32 v1, 0x3fb8aa3b, v0
	v_fma_f32 v2, v0, s9, -v1
	v_rndne_f32_e32 v3, v1
	v_fmac_f32_e32 v2, 0x32a5705f, v0
	v_sub_f32_e32 v1, v1, v3
	v_add_f32_e32 v1, v1, v2
	v_exp_f32_e32 v1, v1
	v_cvt_i32_f32_e32 v2, v3
	v_cmp_le_i32_e32 vcc, s21, v23
	v_cmp_gt_i32_e64 s[0:1], s22, v23
	s_and_b64 s[12:13], vcc, s[0:1]
	v_ldexp_f32 v1, v1, v2
	v_cmp_ngt_f32_e32 vcc, s3, v0
	s_load_dwordx4 s[4:7], s[4:5], 0x20
	v_cndmask_b32_e32 v1, 0, v1, vcc
	v_cmp_nlt_f32_e32 vcc, s10, v0
	v_ashrrev_i32_e32 v9, 31, v8
	v_cndmask_b32_e32 v16, v5, v1, vcc
	v_lshlrev_b64 v[0:1], 2, v[8:9]
	v_mul_lo_u32 v10, v4, s2
	v_mov_b32_e32 v3, s19
	v_add_co_u32_e32 v2, vcc, s18, v0
	v_addc_co_u32_e64 v3, s[0:1], v3, v1, vcc
	v_ashrrev_i32_e32 v11, 31, v10
	v_subrev_u32_e32 v0, s21, v23
	s_and_b64 s[0:1], s[24:25], s[12:13]
	v_lshlrev_b64 v[12:13], 2, v[10:11]
	v_mul_lo_u32 v26, v4, s20
	global_store_dword v[2:3], v16, off
	v_cndmask_b32_e64 v0, 8, v0, s[0:1]
	s_waitcnt lgkmcnt(0)
	v_mov_b32_e32 v3, s5
	v_add_co_u32_e64 v10, s[0:1], s4, v12
	v_addc_co_u32_e64 v11, s[0:1], v3, v13, s[0:1]
	v_ashrrev_i32_e32 v27, 31, v26
	global_store_dword v[10:11], v0, off
	v_lshlrev_b64 v[10:11], 2, v[26:27]
	v_mov_b32_e32 v0, s7
	v_add_co_u32_e64 v26, s[0:1], s6, v10
	v_addc_co_u32_e64 v27, s[0:1], v0, v11, s[0:1]
	s_cmp_eq_u32 s20, 1
	global_store_dword v[26:27], v4, off
	s_cbranch_scc1 .LBB140_8
; %bb.6:
	v_mov_b32_e32 v9, 0xff800000
	v_cmp_ne_u32_e64 s[0:1], 7, v23
	v_cndmask_b32_e64 v7, v9, v7, s[0:1]
	v_cmp_ne_u32_e64 s[0:1], 6, v23
	v_cndmask_b32_e64 v6, v9, v6, s[0:1]
	;; [unrolled: 2-line block ×5, first 2 shown]
	v_mov_b32_e32 v0, s7
	v_add_co_u32_e64 v10, s[0:1], s6, v10
	v_addc_co_u32_e64 v0, s[0:1], v11, v0, s[0:1]
	v_add_co_u32_e64 v10, s[0:1], 4, v10
	v_addc_co_u32_e64 v11, s[0:1], 0, v0, s[0:1]
	v_mov_b32_e32 v0, s5
	v_add_co_u32_e64 v12, s[0:1], s4, v12
	v_addc_co_u32_e64 v0, s[0:1], v13, v0, s[0:1]
	v_add_co_u32_e64 v12, s[0:1], 4, v12
	v_addc_co_u32_e64 v13, s[0:1], 0, v0, s[0:1]
	v_mov_b32_e32 v0, s19
	v_addc_co_u32_e32 v0, vcc, v1, v0, vcc
	v_add_co_u32_e32 v14, vcc, 4, v2
	v_addc_co_u32_e32 v15, vcc, 0, v0, vcc
	v_cmp_ne_u32_e32 vcc, 2, v23
	v_cndmask_b32_e32 v2, v9, v22, vcc
	v_cmp_ne_u32_e32 vcc, 0, v23
	s_add_i32 s8, s8, s28
	v_cmp_ne_u32_e64 s[0:1], 1, v23
	s_add_i32 s23, s20, -1
	v_add3_u32 v17, s8, v18, v17
	s_mov_b32 s29, 0x3fb8aa3b
	s_mov_b32 s30, 0xc2ce8ed0
	;; [unrolled: 1-line block ×3, first 2 shown]
	v_mov_b32_e32 v18, 0x7f800000
	v_cndmask_b32_e64 v1, v9, v21, s[0:1]
	v_cndmask_b32_e32 v0, v9, v20, vcc
.LBB140_7:                              ; =>This Inner Loop Header: Depth=1
	v_cmp_gt_f32_e32 vcc, v1, v0
	v_cndmask_b32_e32 v20, v0, v1, vcc
	v_cmp_gt_f32_e64 s[0:1], v2, v20
	v_cndmask_b32_e64 v20, v20, v2, s[0:1]
	v_cmp_gt_f32_e64 s[2:3], v3, v20
	v_cndmask_b32_e64 v20, v20, v3, s[2:3]
	;; [unrolled: 2-line block ×6, first 2 shown]
	v_sub_f32_e32 v20, v20, v19
	v_mul_f32_e32 v21, 0x3fb8aa3b, v20
	v_fma_f32 v22, v20, s29, -v21
	v_rndne_f32_e32 v23, v21
	v_fmac_f32_e32 v22, 0x32a5705f, v20
	v_sub_f32_e32 v21, v21, v23
	v_add_f32_e32 v21, v21, v22
	v_cndmask_b32_e64 v22, 0, 1, vcc
	v_cndmask_b32_e64 v22, v22, 2, s[0:1]
	v_cndmask_b32_e64 v22, v22, 3, s[2:3]
	;; [unrolled: 1-line block ×6, first 2 shown]
	v_cmp_le_i32_e32 vcc, s21, v22
	v_cmp_gt_i32_e64 s[0:1], s22, v22
	s_and_b64 s[0:1], vcc, s[0:1]
	v_cmp_ne_u32_e64 s[2:3], 7, v22
	v_cmp_ne_u32_e64 s[4:5], 6, v22
	;; [unrolled: 1-line block ×8, first 2 shown]
	v_subrev_u32_e32 v22, s21, v22
	s_and_b64 vcc, s[24:25], s[0:1]
	v_cndmask_b32_e32 v22, 8, v22, vcc
	global_store_dword v[12:13], v22, off
	v_cvt_i32_f32_e32 v22, v23
	v_exp_f32_e32 v21, v21
	v_cmp_ngt_f32_e32 vcc, s30, v20
	global_store_dword v[10:11], v17, off
	s_add_i32 s23, s23, -1
	v_ldexp_f32 v21, v21, v22
	v_cndmask_b32_e32 v21, 0, v21, vcc
	v_cmp_nlt_f32_e32 vcc, s31, v20
	v_cndmask_b32_e32 v20, v18, v21, vcc
	v_add_co_u32_e32 v10, vcc, 4, v10
	v_addc_co_u32_e32 v11, vcc, 0, v11, vcc
	v_add_co_u32_e32 v12, vcc, 4, v12
	v_addc_co_u32_e32 v13, vcc, 0, v13, vcc
	global_store_dword v[14:15], v20, off
	v_add_co_u32_e32 v14, vcc, 4, v14
	v_add_f32_e32 v16, v16, v20
	v_cndmask_b32_e64 v7, v9, v7, s[2:3]
	v_cndmask_b32_e64 v6, v9, v6, s[4:5]
	;; [unrolled: 1-line block ×8, first 2 shown]
	v_add_u32_e32 v17, s28, v17
	s_cmp_eq_u32 s23, 0
	v_addc_co_u32_e32 v15, vcc, 0, v15, vcc
	s_cbranch_scc0 .LBB140_7
.LBB140_8:
	v_cmp_neq_f32_e32 vcc, 0, v16
	s_and_b64 exec, exec, vcc
	s_cbranch_execz .LBB140_19
; %bb.9:
	s_andn2_b64 vcc, exec, s[26:27]
	s_cbranch_vccnz .LBB140_19
; %bb.10:
	s_waitcnt vmcnt(1)
	v_div_scale_f32 v0, s[0:1], v16, v16, 1.0
	v_rcp_f32_e32 v1, v0
	v_div_scale_f32 v2, vcc, 1.0, v16, 1.0
	s_cmp_gt_u32 s20, 3
	v_fma_f32 v3, -v0, v1, 1.0
	v_fmac_f32_e32 v1, v3, v1
	v_mul_f32_e32 v3, v2, v1
	v_fma_f32 v4, -v0, v3, v2
	v_fmac_f32_e32 v3, v4, v1
	v_fma_f32 v0, -v0, v3, v2
	v_div_fmas_f32 v0, v0, v1, v3
	v_div_fixup_f32 v0, v0, v16, 1.0
	v_ashrrev_i32_e32 v9, 31, v8
	s_cbranch_scc0 .LBB140_14
; %bb.11:
	v_lshlrev_b64 v[2:3], 2, v[8:9]
	v_mov_b32_e32 v4, s19
	v_add_co_u32_e32 v2, vcc, s18, v2
	v_addc_co_u32_e32 v3, vcc, v3, v4, vcc
	s_and_b32 s4, s20, 0x7ffffffc
	v_add_co_u32_e32 v2, vcc, 8, v2
	v_mov_b32_e32 v1, v0
	v_addc_co_u32_e32 v3, vcc, 0, v3, vcc
	s_mov_b32 s0, s4
.LBB140_12:                             ; =>This Inner Loop Header: Depth=1
	global_load_dwordx4 v[4:7], v[2:3], off offset:-8
	s_add_i32 s0, s0, -4
	s_cmp_lg_u32 s0, 0
	s_waitcnt vmcnt(0)
	v_pk_mul_f32 v[4:5], v[0:1], v[4:5]
	v_pk_mul_f32 v[6:7], v[0:1], v[6:7]
	global_store_dwordx4 v[2:3], v[4:7], off offset:-8
	v_add_co_u32_e32 v2, vcc, 16, v2
	v_addc_co_u32_e32 v3, vcc, 0, v3, vcc
	s_cbranch_scc1 .LBB140_12
; %bb.13:
	s_cmp_lg_u32 s4, s20
	s_cselect_b64 s[0:1], -1, 0
	s_branch .LBB140_16
.LBB140_14:
	s_mov_b64 s[0:1], 0
                                        ; implicit-def: $sgpr4
	s_cbranch_execz .LBB140_16
; %bb.15:
	s_mov_b64 s[0:1], -1
	s_mov_b32 s4, 0
.LBB140_16:
	s_andn2_b64 vcc, exec, s[0:1]
	s_cbranch_vccnz .LBB140_19
; %bb.17:
	v_add_co_u32_e32 v2, vcc, s4, v8
	v_addc_co_u32_e32 v3, vcc, 0, v9, vcc
	v_lshlrev_b64 v[2:3], 2, v[2:3]
	v_mov_b32_e32 v1, s19
	v_add_co_u32_e32 v2, vcc, s18, v2
	s_sub_i32 s0, s20, s4
	v_addc_co_u32_e32 v3, vcc, v1, v3, vcc
.LBB140_18:                             ; =>This Inner Loop Header: Depth=1
	global_load_dword v1, v[2:3], off
	s_add_i32 s0, s0, -1
	s_cmp_lg_u32 s0, 0
	s_waitcnt vmcnt(0)
	v_mul_f32_e32 v1, v0, v1
	global_store_dword v[2:3], v1, off
	v_add_co_u32_e32 v2, vcc, 4, v2
	v_addc_co_u32_e32 v3, vcc, 0, v3, vcc
	s_cbranch_scc1 .LBB140_18
.LBB140_19:
	s_endpgm
	.section	.rodata,"a",@progbits
	.p2align	6, 0x0
	.amdhsa_kernel _ZN4vllm3moe17topkGatingSoftmaxIDF16_Li8ELi8ELi8ELi16ELb1ELi2ELNS0_23SharedExpertScoringFuncE1EEEvPKT_PKbPfiPiS9_iiiiii
		.amdhsa_group_segment_fixed_size 0
		.amdhsa_private_segment_fixed_size 0
		.amdhsa_kernarg_size 72
		.amdhsa_user_sgpr_count 6
		.amdhsa_user_sgpr_private_segment_buffer 1
		.amdhsa_user_sgpr_dispatch_ptr 0
		.amdhsa_user_sgpr_queue_ptr 0
		.amdhsa_user_sgpr_kernarg_segment_ptr 1
		.amdhsa_user_sgpr_dispatch_id 0
		.amdhsa_user_sgpr_flat_scratch_init 0
		.amdhsa_user_sgpr_kernarg_preload_length 0
		.amdhsa_user_sgpr_kernarg_preload_offset 0
		.amdhsa_user_sgpr_private_segment_size 0
		.amdhsa_uses_dynamic_stack 0
		.amdhsa_system_sgpr_private_segment_wavefront_offset 0
		.amdhsa_system_sgpr_workgroup_id_x 1
		.amdhsa_system_sgpr_workgroup_id_y 0
		.amdhsa_system_sgpr_workgroup_id_z 0
		.amdhsa_system_sgpr_workgroup_info 0
		.amdhsa_system_vgpr_workitem_id 1
		.amdhsa_next_free_vgpr 28
		.amdhsa_next_free_sgpr 32
		.amdhsa_accum_offset 28
		.amdhsa_reserve_vcc 1
		.amdhsa_reserve_flat_scratch 0
		.amdhsa_float_round_mode_32 0
		.amdhsa_float_round_mode_16_64 0
		.amdhsa_float_denorm_mode_32 3
		.amdhsa_float_denorm_mode_16_64 3
		.amdhsa_dx10_clamp 1
		.amdhsa_ieee_mode 1
		.amdhsa_fp16_overflow 0
		.amdhsa_tg_split 0
		.amdhsa_exception_fp_ieee_invalid_op 0
		.amdhsa_exception_fp_denorm_src 0
		.amdhsa_exception_fp_ieee_div_zero 0
		.amdhsa_exception_fp_ieee_overflow 0
		.amdhsa_exception_fp_ieee_underflow 0
		.amdhsa_exception_fp_ieee_inexact 0
		.amdhsa_exception_int_div_zero 0
	.end_amdhsa_kernel
	.section	.text._ZN4vllm3moe17topkGatingSoftmaxIDF16_Li8ELi8ELi8ELi16ELb1ELi2ELNS0_23SharedExpertScoringFuncE1EEEvPKT_PKbPfiPiS9_iiiiii,"axG",@progbits,_ZN4vllm3moe17topkGatingSoftmaxIDF16_Li8ELi8ELi8ELi16ELb1ELi2ELNS0_23SharedExpertScoringFuncE1EEEvPKT_PKbPfiPiS9_iiiiii,comdat
.Lfunc_end140:
	.size	_ZN4vllm3moe17topkGatingSoftmaxIDF16_Li8ELi8ELi8ELi16ELb1ELi2ELNS0_23SharedExpertScoringFuncE1EEEvPKT_PKbPfiPiS9_iiiiii, .Lfunc_end140-_ZN4vllm3moe17topkGatingSoftmaxIDF16_Li8ELi8ELi8ELi16ELb1ELi2ELNS0_23SharedExpertScoringFuncE1EEEvPKT_PKbPfiPiS9_iiiiii
                                        ; -- End function
	.section	.AMDGPU.csdata,"",@progbits
; Kernel info:
; codeLenInByte = 2080
; NumSgprs: 36
; NumVgprs: 28
; NumAgprs: 0
; TotalNumVgprs: 28
; ScratchSize: 0
; MemoryBound: 0
; FloatMode: 240
; IeeeMode: 1
; LDSByteSize: 0 bytes/workgroup (compile time only)
; SGPRBlocks: 4
; VGPRBlocks: 3
; NumSGPRsForWavesPerEU: 36
; NumVGPRsForWavesPerEU: 28
; AccumOffset: 28
; Occupancy: 8
; WaveLimiterHint : 0
; COMPUTE_PGM_RSRC2:SCRATCH_EN: 0
; COMPUTE_PGM_RSRC2:USER_SGPR: 6
; COMPUTE_PGM_RSRC2:TRAP_HANDLER: 0
; COMPUTE_PGM_RSRC2:TGID_X_EN: 1
; COMPUTE_PGM_RSRC2:TGID_Y_EN: 0
; COMPUTE_PGM_RSRC2:TGID_Z_EN: 0
; COMPUTE_PGM_RSRC2:TIDIG_COMP_CNT: 1
; COMPUTE_PGM_RSRC3_GFX90A:ACCUM_OFFSET: 6
; COMPUTE_PGM_RSRC3_GFX90A:TG_SPLIT: 0
	.section	.text._ZN4vllm3moe17topkGatingSoftmaxIDF16_Li8ELi8ELi8ELi16ELb0ELi2ELNS0_23SharedExpertScoringFuncE1EEEvPKT_PKbPfiPiS9_iiiiii,"axG",@progbits,_ZN4vllm3moe17topkGatingSoftmaxIDF16_Li8ELi8ELi8ELi16ELb0ELi2ELNS0_23SharedExpertScoringFuncE1EEEvPKT_PKbPfiPiS9_iiiiii,comdat
	.protected	_ZN4vllm3moe17topkGatingSoftmaxIDF16_Li8ELi8ELi8ELi16ELb0ELi2ELNS0_23SharedExpertScoringFuncE1EEEvPKT_PKbPfiPiS9_iiiiii ; -- Begin function _ZN4vllm3moe17topkGatingSoftmaxIDF16_Li8ELi8ELi8ELi16ELb0ELi2ELNS0_23SharedExpertScoringFuncE1EEEvPKT_PKbPfiPiS9_iiiiii
	.globl	_ZN4vllm3moe17topkGatingSoftmaxIDF16_Li8ELi8ELi8ELi16ELb0ELi2ELNS0_23SharedExpertScoringFuncE1EEEvPKT_PKbPfiPiS9_iiiiii
	.p2align	8
	.type	_ZN4vllm3moe17topkGatingSoftmaxIDF16_Li8ELi8ELi8ELi16ELb0ELi2ELNS0_23SharedExpertScoringFuncE1EEEvPKT_PKbPfiPiS9_iiiiii,@function
_ZN4vllm3moe17topkGatingSoftmaxIDF16_Li8ELi8ELi8ELi16ELb0ELi2ELNS0_23SharedExpertScoringFuncE1EEEvPKT_PKbPfiPiS9_iiiiii: ; @_ZN4vllm3moe17topkGatingSoftmaxIDF16_Li8ELi8ELi8ELi16ELb0ELi2ELNS0_23SharedExpertScoringFuncE1EEEvPKT_PKbPfiPiS9_iiiiii
; %bb.0:
	s_load_dword s36, s[4:5], 0x18
	v_bfe_u32 v1, v0, 10, 10
	s_lshl_b32 s37, s6, 9
	v_lshlrev_b32_e32 v20, 6, v1
	v_and_b32_e32 v21, 0x3ff, v0
	v_add3_u32 v16, v20, v21, s37
	s_waitcnt lgkmcnt(0)
	v_cmp_gt_i32_e32 vcc, s36, v16
	s_and_saveexec_b64 s[0:1], vcc
	s_cbranch_execz .LBB141_19
; %bb.1:
	s_load_dwordx4 s[0:3], s[4:5], 0x0
	s_load_dwordx2 s[18:19], s[4:5], 0x10
	s_waitcnt lgkmcnt(0)
	s_cmp_eq_u64 s[2:3], 0
	s_cbranch_scc1 .LBB141_3
; %bb.2:
	v_ashrrev_i32_e32 v1, 31, v16
	v_mov_b32_e32 v2, s3
	v_add_co_u32_e32 v0, vcc, s2, v16
	v_addc_co_u32_e32 v1, vcc, v2, v1, vcc
	global_load_ubyte v0, v[0:1], off
	s_waitcnt vmcnt(0)
	v_and_b32_e32 v0, 1, v0
	v_cmp_eq_u32_e32 vcc, 1, v0
	s_xor_b64 s[2:3], vcc, -1
	s_orn2_b64 s[30:31], s[2:3], exec
	s_branch .LBB141_4
.LBB141_3:
	s_mov_b64 s[30:31], -1
.LBB141_4:
	s_load_dwordx2 s[14:15], s[4:5], 0x40
	s_load_dwordx4 s[20:23], s[4:5], 0x30
	v_mov_b32_e32 v2, s1
	v_mov_b32_e32 v5, s19
	s_mov_b32 s34, 0x3fb8aa3b
	s_waitcnt lgkmcnt(0)
	v_mul_lo_u32 v0, v16, s15
	v_ashrrev_i32_e32 v1, 31, v0
	v_lshlrev_b64 v[0:1], 1, v[0:1]
	v_add_co_u32_e32 v0, vcc, s0, v0
	v_addc_co_u32_e32 v1, vcc, v2, v1, vcc
	global_load_dwordx4 v[12:15], v[0:1], off
	global_load_dword v4, v[0:1], off offset:16
	v_mul_lo_u32 v0, v16, s23
	v_add_u32_e32 v2, s20, v0
	v_ashrrev_i32_e32 v3, 31, v2
	v_lshlrev_b64 v[2:3], 2, v[2:3]
	v_add_co_u32_e32 v18, vcc, s18, v2
	v_addc_co_u32_e32 v19, vcc, v5, v3, vcc
	s_mov_b32 s0, 0x32a5705f
	s_mov_b32 s33, 0xc2ce8ed0
	;; [unrolled: 1-line block ×3, first 2 shown]
	v_mov_b32_e32 v9, 0x7f800000
	s_cmp_gt_i32 s20, 0
	v_mov_b32_e32 v1, 0
	s_cselect_b64 s[28:29], -1, 0
	s_cmp_lt_i32 s20, 1
	s_waitcnt vmcnt(1)
	v_cvt_f32_f16_e32 v2, v13
	s_waitcnt vmcnt(0)
	v_cvt_f32_f16_e64 v6, -v4
	v_cvt_f32_f16_sdwa v7, -v4 dst_sel:DWORD dst_unused:UNUSED_PAD src0_sel:WORD_1
	v_cvt_f32_f16_sdwa v3, v13 dst_sel:DWORD dst_unused:UNUSED_PAD src0_sel:WORD_1
	v_cvt_f32_f16_e32 v10, v12
	v_mul_f32_e32 v5, 0x3fb8aa3b, v6
	v_mul_f32_e32 v8, 0x3fb8aa3b, v7
	v_fma_mix_f32 v13, -v4, s34, -v5 op_sel_hi:[1,0,0]
	v_rndne_f32_e32 v17, v5
	v_fma_mix_f32 v22, -v4, s34, -v8 op_sel:[1,0,0] op_sel_hi:[1,0,0]
	v_rndne_f32_e32 v23, v8
	v_fma_mix_f32 v13, -v4, s0, v13 op_sel_hi:[1,0,0]
	v_sub_f32_e32 v5, v5, v17
	v_fma_mix_f32 v4, -v4, s0, v22 op_sel:[1,0,0] op_sel_hi:[1,0,0]
	v_sub_f32_e32 v8, v8, v23
	v_add_f32_e32 v5, v5, v13
	v_cvt_i32_f32_e32 v17, v17
	v_add_f32_e32 v4, v8, v4
	v_exp_f32_e32 v8, v5
	v_cvt_i32_f32_e32 v22, v23
	v_exp_f32_e32 v13, v4
	v_cmp_ngt_f32_e32 vcc, s33, v6
	v_ldexp_f32 v8, v8, v17
	v_cndmask_b32_e32 v8, 0, v8, vcc
	v_ldexp_f32 v13, v13, v22
	v_cmp_ngt_f32_e32 vcc, s33, v7
	v_cndmask_b32_e32 v13, 0, v13, vcc
	v_cmp_nlt_f32_e32 vcc, s35, v6
	v_cndmask_b32_e32 v6, v9, v8, vcc
	v_cmp_nlt_f32_e32 vcc, s35, v7
	v_cndmask_b32_e32 v7, v9, v13, vcc
	v_pk_add_f32 v[22:23], v[6:7], 1.0 op_sel_hi:[1,0]
	v_div_scale_f32 v6, s[0:1], v23, v23, 1.0
	v_div_scale_f32 v8, s[0:1], v22, v22, 1.0
	v_rcp_f32_e32 v13, v6
	v_cvt_f32_f16_e32 v4, v14
	v_cvt_f32_f16_sdwa v5, v14 dst_sel:DWORD dst_unused:UNUSED_PAD src0_sel:WORD_1
	v_rcp_f32_e32 v14, v8
	v_fma_f32 v24, -v6, v13, 1.0
	v_div_scale_f32 v7, vcc, 1.0, v23, 1.0
	v_fma_f32 v25, -v8, v14, 1.0
	v_fmac_f32_e32 v13, v24, v13
	v_div_scale_f32 v17, s[0:1], 1.0, v22, 1.0
	v_fmac_f32_e32 v14, v25, v14
	v_mul_f32_e32 v24, v7, v13
	v_mul_f32_e32 v25, v17, v14
	v_fma_f32 v26, -v6, v24, v7
	v_cvt_f32_f16_sdwa v11, v12 dst_sel:DWORD dst_unused:UNUSED_PAD src0_sel:WORD_1
	v_fma_f32 v27, -v8, v25, v17
	v_fmac_f32_e32 v24, v26, v13
	v_fmac_f32_e32 v25, v27, v14
	v_fma_f32 v6, -v6, v24, v7
	v_div_fmas_f32 v7, v6, v13, v24
	v_fma_f32 v8, -v8, v25, v17
	s_mov_b64 vcc, s[0:1]
	v_div_fixup_f32 v23, v7, v23, 1.0
	v_div_fmas_f32 v7, v8, v14, v25
	v_cmp_lt_f16_sdwa vcc, v12, v12 src0_sel:DWORD src1_sel:WORD_1
	v_cndmask_b32_e32 v8, v10, v11, vcc
	v_cmp_lt_f32_e64 s[0:1], v8, v2
	v_cndmask_b32_e64 v8, v8, v2, s[0:1]
	v_cmp_lt_f32_e64 s[2:3], v8, v3
	v_cndmask_b32_e64 v8, v8, v3, s[2:3]
	v_cvt_f32_f16_e32 v6, v15
	v_cmp_lt_f32_e64 s[6:7], v8, v4
	v_cndmask_b32_e64 v8, v8, v4, s[6:7]
	v_div_fixup_f32 v22, v7, v22, 1.0
	v_cvt_f32_f16_sdwa v7, v15 dst_sel:DWORD dst_unused:UNUSED_PAD src0_sel:WORD_1
	v_cmp_lt_f32_e64 s[8:9], v8, v5
	v_cndmask_b32_e64 v8, v8, v5, s[8:9]
	v_cmp_lt_f32_e64 s[10:11], v8, v6
	v_cndmask_b32_e64 v8, v8, v6, s[10:11]
	;; [unrolled: 2-line block ×3, first 2 shown]
	global_store_dwordx2 v[18:19], v[22:23], off
	s_cbranch_scc1 .LBB141_8
; %bb.5:
	s_load_dwordx4 s[24:27], s[4:5], 0x20
	v_mul_lo_u32 v12, v16, s14
	v_ashrrev_i32_e32 v13, 31, v12
	v_lshlrev_b64 v[14:15], 2, v[12:13]
	v_sub_f32_e32 v24, v8, v8
	s_waitcnt lgkmcnt(0)
	v_mov_b32_e32 v1, s25
	v_add_co_u32_e64 v12, s[4:5], s24, v14
	v_addc_co_u32_e64 v13, s[4:5], v1, v15, s[4:5]
	v_cndmask_b32_e64 v1, 0, 1, vcc
	v_cndmask_b32_e64 v1, v1, 2, s[0:1]
	v_cndmask_b32_e64 v1, v1, 3, s[2:3]
	v_cndmask_b32_e64 v1, v1, 4, s[6:7]
	v_cndmask_b32_e64 v1, v1, 5, s[8:9]
	v_cndmask_b32_e64 v1, v1, 6, s[10:11]
	v_cndmask_b32_e64 v23, v1, 7, s[12:13]
	v_cmp_le_i32_e32 vcc, s21, v23
	v_cmp_gt_i32_e64 s[0:1], s22, v23
	s_and_b64 s[0:1], vcc, s[0:1]
	v_subrev_u32_e32 v1, s21, v23
	s_and_b64 vcc, s[30:31], s[0:1]
	v_cndmask_b32_e32 v1, 8, v1, vcc
	global_store_dword v[12:13], v1, off
	v_mul_lo_u32 v12, v16, s20
	v_ashrrev_i32_e32 v13, 31, v12
	v_lshlrev_b64 v[12:13], 2, v[12:13]
	v_mov_b32_e32 v1, s27
	v_add_co_u32_e32 v18, vcc, s26, v12
	v_addc_co_u32_e32 v19, vcc, v1, v13, vcc
	v_mul_f32_e32 v1, 0x3fb8aa3b, v24
	global_store_dword v[18:19], v16, off
	v_rndne_f32_e32 v16, v1
	v_sub_f32_e32 v17, v1, v16
	v_fma_f32 v1, v24, s34, -v1
	v_fmac_f32_e32 v1, 0x32a5705f, v24
	v_add_f32_e32 v1, v17, v1
	v_exp_f32_e32 v1, v1
	v_cvt_i32_f32_e32 v16, v16
	v_mov_b32_e32 v19, s19
	v_cmp_ngt_f32_e64 s[16:17], s33, v24
	v_mov_b32_e32 v22, 0xff800000
	v_ldexp_f32 v25, v1, v16
	v_ashrrev_i32_e32 v1, 31, v0
	v_lshlrev_b64 v[16:17], 2, v[0:1]
	v_add_co_u32_e32 v18, vcc, s18, v16
	v_addc_co_u32_e64 v19, s[0:1], v19, v17, vcc
	v_cmp_ne_u32_e64 s[0:1], 7, v23
	v_cmp_ne_u32_e64 s[2:3], 6, v23
	;; [unrolled: 1-line block ×8, first 2 shown]
	v_cndmask_b32_e64 v1, 0, v25, s[16:17]
	v_cmp_nlt_f32_e64 s[16:17], s35, v24
	v_cndmask_b32_e64 v1, v9, v1, s[16:17]
	v_cndmask_b32_e64 v7, v22, v7, s[0:1]
	;; [unrolled: 1-line block ×8, first 2 shown]
	s_cmp_eq_u32 s20, 1
	v_cndmask_b32_e64 v10, v22, v10, s[14:15]
	global_store_dword v[18:19], v1, off
	s_cbranch_scc1 .LBB141_8
; %bb.6:
	v_mov_b32_e32 v16, s27
	v_add_co_u32_e64 v12, s[0:1], s26, v12
	v_addc_co_u32_e64 v13, s[0:1], v13, v16, s[0:1]
	v_add_co_u32_e64 v12, s[0:1], 4, v12
	v_addc_co_u32_e64 v13, s[0:1], 0, v13, s[0:1]
	v_mov_b32_e32 v16, s25
	v_add_co_u32_e64 v14, s[0:1], s24, v14
	v_addc_co_u32_e64 v15, s[0:1], v15, v16, s[0:1]
	v_mov_b32_e32 v16, s19
	v_addc_co_u32_e32 v17, vcc, v17, v16, vcc
	v_add_co_u32_e64 v14, s[0:1], 4, v14
	v_add_co_u32_e32 v16, vcc, 4, v18
	s_add_i32 s37, s37, s36
	v_addc_co_u32_e64 v15, s[0:1], 0, v15, s[0:1]
	v_addc_co_u32_e32 v17, vcc, 0, v17, vcc
	s_add_i32 s23, s20, -1
	v_add3_u32 v18, s37, v21, v20
	s_mov_b32 s24, 0x3fb8aa3b
	s_mov_b32 s25, 0xc2ce8ed0
	;; [unrolled: 1-line block ×3, first 2 shown]
	v_mov_b32_e32 v19, 0x7f800000
.LBB141_7:                              ; =>This Inner Loop Header: Depth=1
	v_cmp_gt_f32_e32 vcc, v11, v10
	v_cndmask_b32_e32 v20, v10, v11, vcc
	v_cmp_gt_f32_e64 s[0:1], v2, v20
	v_cndmask_b32_e64 v20, v20, v2, s[0:1]
	v_cmp_gt_f32_e64 s[2:3], v3, v20
	v_cndmask_b32_e64 v20, v20, v3, s[2:3]
	;; [unrolled: 2-line block ×6, first 2 shown]
	v_sub_f32_e32 v20, v20, v8
	v_mul_f32_e32 v21, 0x3fb8aa3b, v20
	v_fma_f32 v23, v20, s24, -v21
	v_rndne_f32_e32 v24, v21
	v_fmac_f32_e32 v23, 0x32a5705f, v20
	v_sub_f32_e32 v21, v21, v24
	v_add_f32_e32 v21, v21, v23
	v_cndmask_b32_e64 v23, 0, 1, vcc
	v_cndmask_b32_e64 v23, v23, 2, s[0:1]
	v_cndmask_b32_e64 v23, v23, 3, s[2:3]
	;; [unrolled: 1-line block ×6, first 2 shown]
	v_cmp_le_i32_e32 vcc, s21, v23
	v_cmp_gt_i32_e64 s[0:1], s22, v23
	s_and_b64 s[0:1], vcc, s[0:1]
	v_cmp_ne_u32_e64 s[2:3], 7, v23
	v_cmp_ne_u32_e64 s[4:5], 6, v23
	;; [unrolled: 1-line block ×8, first 2 shown]
	v_subrev_u32_e32 v23, s21, v23
	s_and_b64 vcc, s[30:31], s[0:1]
	v_cndmask_b32_e32 v23, 8, v23, vcc
	global_store_dword v[14:15], v23, off
	v_cvt_i32_f32_e32 v23, v24
	v_exp_f32_e32 v21, v21
	v_cmp_ngt_f32_e32 vcc, s25, v20
	global_store_dword v[12:13], v18, off
	s_add_i32 s23, s23, -1
	v_ldexp_f32 v21, v21, v23
	v_cndmask_b32_e32 v21, 0, v21, vcc
	v_cmp_nlt_f32_e32 vcc, s26, v20
	v_cndmask_b32_e32 v20, v19, v21, vcc
	v_add_co_u32_e32 v12, vcc, 4, v12
	v_addc_co_u32_e32 v13, vcc, 0, v13, vcc
	v_add_co_u32_e32 v14, vcc, 4, v14
	v_addc_co_u32_e32 v15, vcc, 0, v15, vcc
	global_store_dword v[16:17], v20, off
	v_add_co_u32_e32 v16, vcc, 4, v16
	v_add_f32_e32 v1, v1, v20
	v_cndmask_b32_e64 v7, v22, v7, s[2:3]
	v_cndmask_b32_e64 v6, v22, v6, s[4:5]
	;; [unrolled: 1-line block ×8, first 2 shown]
	v_add_u32_e32 v18, s36, v18
	s_cmp_eq_u32 s23, 0
	v_addc_co_u32_e32 v17, vcc, 0, v17, vcc
	s_cbranch_scc0 .LBB141_7
.LBB141_8:
	v_pk_add_f32 v[10:11], v[10:11], v[8:9] op_sel_hi:[1,0] neg_lo:[0,1] neg_hi:[0,1]
	v_mul_f32_e32 v12, 0x3fb8aa3b, v11
	v_fma_f32 v13, v11, s34, -v12
	v_rndne_f32_e32 v14, v12
	v_fmac_f32_e32 v13, 0x32a5705f, v11
	v_sub_f32_e32 v12, v12, v14
	v_add_f32_e32 v12, v12, v13
	v_cvt_i32_f32_e32 v13, v14
	v_exp_f32_e32 v12, v12
	v_cmp_ngt_f32_e32 vcc, s33, v11
	v_sub_f32_e32 v2, v2, v8
	v_sub_f32_e32 v3, v3, v8
	v_ldexp_f32 v12, v12, v13
	v_mul_f32_e32 v13, 0x3fb8aa3b, v10
	v_fma_f32 v14, v10, s34, -v13
	v_rndne_f32_e32 v15, v13
	v_fmac_f32_e32 v14, 0x32a5705f, v10
	v_sub_f32_e32 v13, v13, v15
	v_add_f32_e32 v13, v13, v14
	v_exp_f32_e32 v13, v13
	v_cvt_i32_f32_e32 v14, v15
	v_cndmask_b32_e32 v12, 0, v12, vcc
	v_cmp_nlt_f32_e32 vcc, s35, v11
	v_cndmask_b32_e32 v11, v9, v12, vcc
	v_ldexp_f32 v12, v13, v14
	v_mul_f32_e32 v13, 0x3fb8aa3b, v2
	v_fma_f32 v14, v2, s34, -v13
	v_rndne_f32_e32 v15, v13
	v_fmac_f32_e32 v14, 0x32a5705f, v2
	v_sub_f32_e32 v13, v13, v15
	v_add_f32_e32 v13, v13, v14
	v_exp_f32_e32 v13, v13
	v_cvt_i32_f32_e32 v14, v15
	v_cmp_ngt_f32_e32 vcc, s33, v10
	v_cndmask_b32_e32 v12, 0, v12, vcc
	v_cmp_nlt_f32_e32 vcc, s35, v10
	v_cndmask_b32_e32 v10, v9, v12, vcc
	v_mul_f32_e32 v12, 0x3fb8aa3b, v3
	v_add_f32_e32 v10, v10, v11
	v_ldexp_f32 v11, v13, v14
	v_fma_f32 v13, v3, s34, -v12
	v_rndne_f32_e32 v14, v12
	v_fmac_f32_e32 v13, 0x32a5705f, v3
	v_sub_f32_e32 v12, v12, v14
	v_add_f32_e32 v12, v12, v13
	v_exp_f32_e32 v12, v12
	v_cvt_i32_f32_e32 v13, v14
	v_cmp_ngt_f32_e32 vcc, s33, v2
	v_cndmask_b32_e32 v11, 0, v11, vcc
	v_cmp_nlt_f32_e32 vcc, s35, v2
	v_sub_f32_e32 v4, v4, v8
	v_cndmask_b32_e32 v2, v9, v11, vcc
	v_mul_f32_e32 v11, 0x3fb8aa3b, v4
	v_add_f32_e32 v2, v10, v2
	v_ldexp_f32 v10, v12, v13
	v_fma_f32 v12, v4, s34, -v11
	v_rndne_f32_e32 v13, v11
	v_fmac_f32_e32 v12, 0x32a5705f, v4
	v_sub_f32_e32 v11, v11, v13
	v_add_f32_e32 v11, v11, v12
	v_exp_f32_e32 v11, v11
	v_cvt_i32_f32_e32 v12, v13
	v_cmp_ngt_f32_e32 vcc, s33, v3
	v_cndmask_b32_e32 v10, 0, v10, vcc
	v_cmp_nlt_f32_e32 vcc, s35, v3
	v_sub_f32_e32 v5, v5, v8
	;; [unrolled: 15-line block ×3, first 2 shown]
	v_cndmask_b32_e32 v3, v9, v3, vcc
	v_mul_f32_e32 v6, 0x3fb8aa3b, v4
	v_add_f32_e32 v2, v2, v3
	v_ldexp_f32 v3, v10, v11
	v_fma_f32 v10, v4, s34, -v6
	v_rndne_f32_e32 v11, v6
	v_fmac_f32_e32 v10, 0x32a5705f, v4
	v_sub_f32_e32 v6, v6, v11
	v_add_f32_e32 v6, v6, v10
	v_exp_f32_e32 v6, v6
	v_cvt_i32_f32_e32 v10, v11
	v_cmp_ngt_f32_e32 vcc, s33, v5
	v_cndmask_b32_e32 v3, 0, v3, vcc
	v_cmp_nlt_f32_e32 vcc, s35, v5
	v_cndmask_b32_e32 v3, v9, v3, vcc
	v_sub_f32_e32 v5, v7, v8
	v_add_f32_e32 v2, v2, v3
	v_ldexp_f32 v3, v6, v10
	v_mul_f32_e32 v6, 0x3fb8aa3b, v5
	v_fma_f32 v7, v5, s34, -v6
	v_rndne_f32_e32 v8, v6
	v_fmac_f32_e32 v7, 0x32a5705f, v5
	v_sub_f32_e32 v6, v6, v8
	v_add_f32_e32 v6, v6, v7
	v_exp_f32_e32 v6, v6
	v_cvt_i32_f32_e32 v7, v8
	v_cmp_ngt_f32_e32 vcc, s33, v4
	v_cndmask_b32_e32 v3, 0, v3, vcc
	v_cmp_nlt_f32_e32 vcc, s35, v4
	v_cndmask_b32_e32 v3, v9, v3, vcc
	v_add_f32_e32 v2, v2, v3
	v_ldexp_f32 v3, v6, v7
	v_cmp_ngt_f32_e32 vcc, s33, v5
	v_cndmask_b32_e32 v3, 0, v3, vcc
	v_cmp_nlt_f32_e32 vcc, s35, v5
	v_cndmask_b32_e32 v3, v9, v3, vcc
	v_add_f32_e32 v2, v2, v3
	v_add_f32_e32 v1, v1, v2
	v_cmp_neq_f32_e32 vcc, 0, v1
	s_and_b64 exec, exec, vcc
	s_cbranch_execz .LBB141_19
; %bb.9:
	s_andn2_b64 vcc, exec, s[28:29]
	s_cbranch_vccnz .LBB141_19
; %bb.10:
	v_div_scale_f32 v2, s[0:1], v1, v1, 1.0
	v_rcp_f32_e32 v3, v2
	v_div_scale_f32 v4, vcc, 1.0, v1, 1.0
	s_cmp_gt_u32 s20, 3
	v_fma_f32 v5, -v2, v3, 1.0
	v_fmac_f32_e32 v3, v5, v3
	v_mul_f32_e32 v5, v4, v3
	v_fma_f32 v6, -v2, v5, v4
	v_fmac_f32_e32 v5, v6, v3
	v_fma_f32 v2, -v2, v5, v4
	v_div_fmas_f32 v2, v2, v3, v5
	v_div_fixup_f32 v2, v2, v1, 1.0
	v_ashrrev_i32_e32 v1, 31, v0
	s_cbranch_scc0 .LBB141_14
; %bb.11:
	v_lshlrev_b64 v[4:5], 2, v[0:1]
	v_mov_b32_e32 v6, s19
	v_add_co_u32_e32 v4, vcc, s18, v4
	v_addc_co_u32_e32 v5, vcc, v5, v6, vcc
	s_and_b32 s4, s20, 0x7ffffffc
	v_add_co_u32_e32 v4, vcc, 8, v4
	v_mov_b32_e32 v3, v2
	v_addc_co_u32_e32 v5, vcc, 0, v5, vcc
	s_mov_b32 s0, s4
.LBB141_12:                             ; =>This Inner Loop Header: Depth=1
	global_load_dwordx4 v[6:9], v[4:5], off offset:-8
	s_add_i32 s0, s0, -4
	s_cmp_lg_u32 s0, 0
	s_waitcnt vmcnt(0)
	v_pk_mul_f32 v[6:7], v[2:3], v[6:7]
	v_pk_mul_f32 v[8:9], v[2:3], v[8:9]
	global_store_dwordx4 v[4:5], v[6:9], off offset:-8
	v_add_co_u32_e32 v4, vcc, 16, v4
	v_addc_co_u32_e32 v5, vcc, 0, v5, vcc
	s_cbranch_scc1 .LBB141_12
; %bb.13:
	s_cmp_lg_u32 s4, s20
	s_cselect_b64 s[0:1], -1, 0
	s_branch .LBB141_16
.LBB141_14:
	s_mov_b64 s[0:1], 0
                                        ; implicit-def: $sgpr4
	s_cbranch_execz .LBB141_16
; %bb.15:
	s_mov_b64 s[0:1], -1
	s_mov_b32 s4, 0
.LBB141_16:
	s_andn2_b64 vcc, exec, s[0:1]
	s_cbranch_vccnz .LBB141_19
; %bb.17:
	v_add_co_u32_e32 v0, vcc, s4, v0
	v_addc_co_u32_e32 v1, vcc, 0, v1, vcc
	v_lshlrev_b64 v[0:1], 2, v[0:1]
	v_mov_b32_e32 v3, s19
	v_add_co_u32_e32 v0, vcc, s18, v0
	s_sub_i32 s0, s20, s4
	v_addc_co_u32_e32 v1, vcc, v3, v1, vcc
.LBB141_18:                             ; =>This Inner Loop Header: Depth=1
	global_load_dword v3, v[0:1], off
	s_add_i32 s0, s0, -1
	s_cmp_lg_u32 s0, 0
	s_waitcnt vmcnt(0)
	v_mul_f32_e32 v3, v2, v3
	global_store_dword v[0:1], v3, off
	v_add_co_u32_e32 v0, vcc, 4, v0
	v_addc_co_u32_e32 v1, vcc, 0, v1, vcc
	s_cbranch_scc1 .LBB141_18
.LBB141_19:
	s_endpgm
	.section	.rodata,"a",@progbits
	.p2align	6, 0x0
	.amdhsa_kernel _ZN4vllm3moe17topkGatingSoftmaxIDF16_Li8ELi8ELi8ELi16ELb0ELi2ELNS0_23SharedExpertScoringFuncE1EEEvPKT_PKbPfiPiS9_iiiiii
		.amdhsa_group_segment_fixed_size 0
		.amdhsa_private_segment_fixed_size 0
		.amdhsa_kernarg_size 72
		.amdhsa_user_sgpr_count 6
		.amdhsa_user_sgpr_private_segment_buffer 1
		.amdhsa_user_sgpr_dispatch_ptr 0
		.amdhsa_user_sgpr_queue_ptr 0
		.amdhsa_user_sgpr_kernarg_segment_ptr 1
		.amdhsa_user_sgpr_dispatch_id 0
		.amdhsa_user_sgpr_flat_scratch_init 0
		.amdhsa_user_sgpr_kernarg_preload_length 0
		.amdhsa_user_sgpr_kernarg_preload_offset 0
		.amdhsa_user_sgpr_private_segment_size 0
		.amdhsa_uses_dynamic_stack 0
		.amdhsa_system_sgpr_private_segment_wavefront_offset 0
		.amdhsa_system_sgpr_workgroup_id_x 1
		.amdhsa_system_sgpr_workgroup_id_y 0
		.amdhsa_system_sgpr_workgroup_id_z 0
		.amdhsa_system_sgpr_workgroup_info 0
		.amdhsa_system_vgpr_workitem_id 1
		.amdhsa_next_free_vgpr 28
		.amdhsa_next_free_sgpr 38
		.amdhsa_accum_offset 28
		.amdhsa_reserve_vcc 1
		.amdhsa_reserve_flat_scratch 0
		.amdhsa_float_round_mode_32 0
		.amdhsa_float_round_mode_16_64 0
		.amdhsa_float_denorm_mode_32 3
		.amdhsa_float_denorm_mode_16_64 3
		.amdhsa_dx10_clamp 1
		.amdhsa_ieee_mode 1
		.amdhsa_fp16_overflow 0
		.amdhsa_tg_split 0
		.amdhsa_exception_fp_ieee_invalid_op 0
		.amdhsa_exception_fp_denorm_src 0
		.amdhsa_exception_fp_ieee_div_zero 0
		.amdhsa_exception_fp_ieee_overflow 0
		.amdhsa_exception_fp_ieee_underflow 0
		.amdhsa_exception_fp_ieee_inexact 0
		.amdhsa_exception_int_div_zero 0
	.end_amdhsa_kernel
	.section	.text._ZN4vllm3moe17topkGatingSoftmaxIDF16_Li8ELi8ELi8ELi16ELb0ELi2ELNS0_23SharedExpertScoringFuncE1EEEvPKT_PKbPfiPiS9_iiiiii,"axG",@progbits,_ZN4vllm3moe17topkGatingSoftmaxIDF16_Li8ELi8ELi8ELi16ELb0ELi2ELNS0_23SharedExpertScoringFuncE1EEEvPKT_PKbPfiPiS9_iiiiii,comdat
.Lfunc_end141:
	.size	_ZN4vllm3moe17topkGatingSoftmaxIDF16_Li8ELi8ELi8ELi16ELb0ELi2ELNS0_23SharedExpertScoringFuncE1EEEvPKT_PKbPfiPiS9_iiiiii, .Lfunc_end141-_ZN4vllm3moe17topkGatingSoftmaxIDF16_Li8ELi8ELi8ELi16ELb0ELi2ELNS0_23SharedExpertScoringFuncE1EEEvPKT_PKbPfiPiS9_iiiiii
                                        ; -- End function
	.section	.AMDGPU.csdata,"",@progbits
; Kernel info:
; codeLenInByte = 2752
; NumSgprs: 42
; NumVgprs: 28
; NumAgprs: 0
; TotalNumVgprs: 28
; ScratchSize: 0
; MemoryBound: 0
; FloatMode: 240
; IeeeMode: 1
; LDSByteSize: 0 bytes/workgroup (compile time only)
; SGPRBlocks: 5
; VGPRBlocks: 3
; NumSGPRsForWavesPerEU: 42
; NumVGPRsForWavesPerEU: 28
; AccumOffset: 28
; Occupancy: 8
; WaveLimiterHint : 0
; COMPUTE_PGM_RSRC2:SCRATCH_EN: 0
; COMPUTE_PGM_RSRC2:USER_SGPR: 6
; COMPUTE_PGM_RSRC2:TRAP_HANDLER: 0
; COMPUTE_PGM_RSRC2:TGID_X_EN: 1
; COMPUTE_PGM_RSRC2:TGID_Y_EN: 0
; COMPUTE_PGM_RSRC2:TGID_Z_EN: 0
; COMPUTE_PGM_RSRC2:TIDIG_COMP_CNT: 1
; COMPUTE_PGM_RSRC3_GFX90A:ACCUM_OFFSET: 6
; COMPUTE_PGM_RSRC3_GFX90A:TG_SPLIT: 0
	.section	.text._ZN4vllm3moe17topkGatingSoftmaxIDF16_Li8ELi8ELi8ELi16ELb1ELi4ELNS0_23SharedExpertScoringFuncE1EEEvPKT_PKbPfiPiS9_iiiiii,"axG",@progbits,_ZN4vllm3moe17topkGatingSoftmaxIDF16_Li8ELi8ELi8ELi16ELb1ELi4ELNS0_23SharedExpertScoringFuncE1EEEvPKT_PKbPfiPiS9_iiiiii,comdat
	.protected	_ZN4vllm3moe17topkGatingSoftmaxIDF16_Li8ELi8ELi8ELi16ELb1ELi4ELNS0_23SharedExpertScoringFuncE1EEEvPKT_PKbPfiPiS9_iiiiii ; -- Begin function _ZN4vllm3moe17topkGatingSoftmaxIDF16_Li8ELi8ELi8ELi16ELb1ELi4ELNS0_23SharedExpertScoringFuncE1EEEvPKT_PKbPfiPiS9_iiiiii
	.globl	_ZN4vllm3moe17topkGatingSoftmaxIDF16_Li8ELi8ELi8ELi16ELb1ELi4ELNS0_23SharedExpertScoringFuncE1EEEvPKT_PKbPfiPiS9_iiiiii
	.p2align	8
	.type	_ZN4vllm3moe17topkGatingSoftmaxIDF16_Li8ELi8ELi8ELi16ELb1ELi4ELNS0_23SharedExpertScoringFuncE1EEEvPKT_PKbPfiPiS9_iiiiii,@function
_ZN4vllm3moe17topkGatingSoftmaxIDF16_Li8ELi8ELi8ELi16ELb1ELi4ELNS0_23SharedExpertScoringFuncE1EEEvPKT_PKbPfiPiS9_iiiiii: ; @_ZN4vllm3moe17topkGatingSoftmaxIDF16_Li8ELi8ELi8ELi16ELb1ELi4ELNS0_23SharedExpertScoringFuncE1EEEvPKT_PKbPfiPiS9_iiiiii
; %bb.0:
	s_load_dword s28, s[4:5], 0x18
	v_bfe_u32 v1, v0, 10, 10
	s_lshl_b32 s8, s6, 9
	v_lshlrev_b32_e32 v17, 6, v1
	v_and_b32_e32 v18, 0x3ff, v0
	v_add3_u32 v4, v17, v18, s8
	s_waitcnt lgkmcnt(0)
	v_cmp_gt_i32_e32 vcc, s28, v4
	s_and_saveexec_b64 s[0:1], vcc
	s_cbranch_execz .LBB142_19
; %bb.1:
	s_load_dwordx4 s[0:3], s[4:5], 0x0
	s_load_dwordx2 s[18:19], s[4:5], 0x10
	s_waitcnt lgkmcnt(0)
	s_cmp_eq_u64 s[2:3], 0
	s_cbranch_scc1 .LBB142_3
; %bb.2:
	v_ashrrev_i32_e32 v1, 31, v4
	v_mov_b32_e32 v2, s3
	v_add_co_u32_e32 v0, vcc, s2, v4
	v_addc_co_u32_e32 v1, vcc, v2, v1, vcc
	global_load_ubyte v0, v[0:1], off
	s_waitcnt vmcnt(0)
	v_and_b32_e32 v0, 1, v0
	v_cmp_eq_u32_e32 vcc, 1, v0
	s_xor_b64 s[2:3], vcc, -1
	s_orn2_b64 s[24:25], s[2:3], exec
	s_branch .LBB142_4
.LBB142_3:
	s_mov_b64 s[24:25], -1
.LBB142_4:
	s_load_dwordx2 s[2:3], s[4:5], 0x40
	s_load_dwordx4 s[20:23], s[4:5], 0x30
	v_mov_b32_e32 v2, s1
	v_mov_b32_e32 v9, s19
	s_mov_b32 s9, 0x3fb8aa3b
	s_waitcnt lgkmcnt(0)
	v_mul_lo_u32 v0, v4, s3
	v_ashrrev_i32_e32 v1, 31, v0
	v_lshlrev_b64 v[0:1], 1, v[0:1]
	v_add_co_u32_e32 v0, vcc, s0, v0
	v_addc_co_u32_e32 v1, vcc, v2, v1, vcc
	global_load_dwordx2 v[6:7], v[0:1], off offset:16
	v_mul_lo_u32 v8, v4, s23
	global_load_dwordx4 v[0:3], v[0:1], off
	v_add_u32_e32 v10, s20, v8
	v_ashrrev_i32_e32 v11, 31, v10
	v_lshlrev_b64 v[10:11], 2, v[10:11]
	v_add_co_u32_e32 v14, vcc, s18, v10
	v_addc_co_u32_e32 v15, vcc, v9, v11, vcc
	s_mov_b32 s0, 0x32a5705f
	s_mov_b32 s3, 0xc2ce8ed0
	;; [unrolled: 1-line block ×3, first 2 shown]
	v_mov_b32_e32 v5, 0x7f800000
	s_cmp_gt_i32 s20, 0
	v_mov_b32_e32 v16, 0
	s_cselect_b64 s[26:27], -1, 0
	s_cmp_lt_i32 s20, 1
	s_waitcnt vmcnt(1)
	v_cvt_f32_f16_e64 v9, -v6
	v_cvt_f32_f16_sdwa v10, -v6 dst_sel:DWORD dst_unused:UNUSED_PAD src0_sel:WORD_1
	v_cvt_f32_f16_e64 v11, -v7
	v_cvt_f32_f16_sdwa v12, -v7 dst_sel:DWORD dst_unused:UNUSED_PAD src0_sel:WORD_1
	v_mul_f32_e32 v13, 0x3fb8aa3b, v9
	v_mul_f32_e32 v19, 0x3fb8aa3b, v10
	v_fma_mix_f32 v22, -v6, s9, -v13 op_sel_hi:[1,0,0]
	v_rndne_f32_e32 v23, v13
	v_mul_f32_e32 v20, 0x3fb8aa3b, v11
	v_fma_mix_f32 v24, -v6, s9, -v19 op_sel:[1,0,0] op_sel_hi:[1,0,0]
	v_rndne_f32_e32 v25, v19
	v_fma_mix_f32 v22, -v6, s0, v22 op_sel_hi:[1,0,0]
	v_sub_f32_e32 v13, v13, v23
	v_mul_f32_e32 v21, 0x3fb8aa3b, v12
	v_fma_mix_f32 v26, -v7, s9, -v20 op_sel_hi:[1,0,0]
	v_rndne_f32_e32 v27, v20
	v_fma_mix_f32 v6, -v6, s0, v24 op_sel:[1,0,0] op_sel_hi:[1,0,0]
	v_sub_f32_e32 v19, v19, v25
	v_add_f32_e32 v13, v13, v22
	v_fma_mix_f32 v28, -v7, s9, -v21 op_sel:[1,0,0] op_sel_hi:[1,0,0]
	v_rndne_f32_e32 v29, v21
	v_cvt_i32_f32_e32 v23, v23
	v_cvt_i32_f32_e32 v24, v25
	v_fma_mix_f32 v25, -v7, s0, v26 op_sel_hi:[1,0,0]
	v_sub_f32_e32 v20, v20, v27
	v_add_f32_e32 v6, v19, v6
	v_exp_f32_e32 v13, v13
	v_fma_mix_f32 v7, -v7, s0, v28 op_sel:[1,0,0] op_sel_hi:[1,0,0]
	v_sub_f32_e32 v21, v21, v29
	v_add_f32_e32 v19, v20, v25
	v_exp_f32_e32 v6, v6
	v_cvt_i32_f32_e32 v26, v27
	v_add_f32_e32 v7, v21, v7
	v_exp_f32_e32 v19, v19
	v_cvt_i32_f32_e32 v27, v29
	v_exp_f32_e32 v7, v7
	v_ldexp_f32 v13, v13, v23
	v_cmp_ngt_f32_e32 vcc, s3, v9
	v_ldexp_f32 v6, v6, v24
	v_cndmask_b32_e32 v13, 0, v13, vcc
	v_cmp_ngt_f32_e32 vcc, s3, v10
	v_ldexp_f32 v19, v19, v26
	v_cndmask_b32_e32 v20, 0, v6, vcc
	;; [unrolled: 3-line block ×3, first 2 shown]
	v_cmp_ngt_f32_e32 vcc, s3, v12
	v_cndmask_b32_e32 v21, 0, v7, vcc
	v_cmp_nlt_f32_e32 vcc, s10, v9
	v_cndmask_b32_e32 v6, v5, v13, vcc
	v_cmp_nlt_f32_e32 vcc, s10, v10
	;; [unrolled: 2-line block ×4, first 2 shown]
	v_pk_add_f32 v[6:7], v[6:7], 1.0 op_sel_hi:[1,0]
	v_cndmask_b32_e32 v11, v5, v21, vcc
	v_div_scale_f32 v9, s[0:1], v7, v7, 1.0
	v_pk_add_f32 v[12:13], v[10:11], 1.0 op_sel_hi:[1,0]
	v_div_scale_f32 v11, s[0:1], v6, v6, 1.0
	v_rcp_f32_e32 v20, v9
	v_div_scale_f32 v19, s[0:1], v13, v13, 1.0
	v_rcp_f32_e32 v21, v11
	v_rcp_f32_e32 v22, v19
	v_fma_f32 v24, -v9, v20, 1.0
	v_div_scale_f32 v10, vcc, 1.0, v7, 1.0
	v_fma_f32 v25, -v11, v21, 1.0
	v_fmac_f32_e32 v20, v24, v20
	v_div_scale_f32 v23, s[0:1], 1.0, v6, 1.0
	v_fma_f32 v26, -v19, v22, 1.0
	v_fmac_f32_e32 v21, v25, v21
	v_mul_f32_e32 v24, v10, v20
	v_fmac_f32_e32 v22, v26, v22
	v_mul_f32_e32 v25, v23, v21
	v_fma_f32 v26, -v9, v24, v10
	v_fma_f32 v27, -v11, v25, v23
	v_fmac_f32_e32 v24, v26, v20
	v_fmac_f32_e32 v25, v27, v21
	v_fma_f32 v9, -v9, v24, v10
	v_fma_f32 v10, -v11, v25, v23
	v_div_fmas_f32 v9, v9, v20, v24
	s_mov_b64 vcc, s[0:1]
	v_div_fixup_f32 v11, v9, v7, 1.0
	v_div_fmas_f32 v7, v10, v21, v25
	v_div_fixup_f32 v10, v7, v6, 1.0
	v_div_scale_f32 v6, vcc, 1.0, v13, 1.0
	v_mul_f32_e32 v7, v6, v22
	v_fma_f32 v9, -v19, v7, v6
	v_fmac_f32_e32 v7, v9, v22
	v_div_scale_f32 v9, s[0:1], v12, v12, 1.0
	v_fma_f32 v6, -v19, v7, v6
	v_rcp_f32_e32 v19, v9
	v_div_fmas_f32 v6, v6, v22, v7
	v_div_fixup_f32 v13, v6, v13, 1.0
	v_fma_f32 v6, -v9, v19, 1.0
	v_fmac_f32_e32 v19, v6, v19
	v_div_scale_f32 v6, vcc, 1.0, v12, 1.0
	v_mul_f32_e32 v7, v6, v19
	v_fma_f32 v20, -v9, v7, v6
	v_fmac_f32_e32 v7, v20, v19
	v_fma_f32 v6, -v9, v7, v6
	v_div_fmas_f32 v6, v6, v19, v7
	v_div_fixup_f32 v12, v6, v12, 1.0
	global_store_dwordx4 v[14:15], v[10:13], off
	s_cbranch_scc1 .LBB142_8
; %bb.5:
	s_waitcnt vmcnt(1)
	v_cvt_f32_f16_e32 v20, v0
	v_cvt_f32_f16_sdwa v21, v0 dst_sel:DWORD dst_unused:UNUSED_PAD src0_sel:WORD_1
	v_cvt_f32_f16_e32 v22, v1
	v_cvt_f32_f16_sdwa v14, v1 dst_sel:DWORD dst_unused:UNUSED_PAD src0_sel:WORD_1
	v_cmp_lt_f16_sdwa vcc, v0, v0 src0_sel:DWORD src1_sel:WORD_1
	v_cndmask_b32_e32 v1, v20, v21, vcc
	v_cvt_f32_f16_e32 v15, v2
	v_cndmask_b32_e64 v0, 0, 1, vcc
	v_cmp_lt_f32_e32 vcc, v1, v22
	v_cndmask_b32_e32 v1, v1, v22, vcc
	v_cvt_f32_f16_sdwa v24, v2 dst_sel:DWORD dst_unused:UNUSED_PAD src0_sel:WORD_1
	v_cndmask_b32_e64 v0, v0, 2, vcc
	v_cmp_lt_f32_e32 vcc, v1, v14
	v_cndmask_b32_e32 v1, v1, v14, vcc
	v_cvt_f32_f16_e32 v6, v3
	v_cndmask_b32_e64 v0, v0, 3, vcc
	v_cmp_lt_f32_e32 vcc, v1, v15
	v_cndmask_b32_e32 v1, v1, v15, vcc
	v_cvt_f32_f16_sdwa v7, v3 dst_sel:DWORD dst_unused:UNUSED_PAD src0_sel:WORD_1
	v_cndmask_b32_e64 v0, v0, 4, vcc
	v_cmp_lt_f32_e32 vcc, v1, v24
	v_cndmask_b32_e32 v1, v1, v24, vcc
	v_cndmask_b32_e64 v0, v0, 5, vcc
	v_cmp_lt_f32_e32 vcc, v1, v6
	v_cndmask_b32_e32 v1, v1, v6, vcc
	;; [unrolled: 3-line block ×3, first 2 shown]
	v_cndmask_b32_e64 v23, v0, 7, vcc
	v_sub_f32_e32 v0, v19, v19
	v_mul_f32_e32 v1, 0x3fb8aa3b, v0
	v_fma_f32 v2, v0, s9, -v1
	v_rndne_f32_e32 v3, v1
	v_fmac_f32_e32 v2, 0x32a5705f, v0
	v_sub_f32_e32 v1, v1, v3
	v_add_f32_e32 v1, v1, v2
	v_exp_f32_e32 v1, v1
	v_cvt_i32_f32_e32 v2, v3
	v_cmp_le_i32_e32 vcc, s21, v23
	v_cmp_gt_i32_e64 s[0:1], s22, v23
	s_and_b64 s[12:13], vcc, s[0:1]
	v_ldexp_f32 v1, v1, v2
	v_cmp_ngt_f32_e32 vcc, s3, v0
	s_load_dwordx4 s[4:7], s[4:5], 0x20
	v_cndmask_b32_e32 v1, 0, v1, vcc
	v_cmp_nlt_f32_e32 vcc, s10, v0
	v_ashrrev_i32_e32 v9, 31, v8
	v_cndmask_b32_e32 v16, v5, v1, vcc
	v_lshlrev_b64 v[0:1], 2, v[8:9]
	v_mul_lo_u32 v10, v4, s2
	v_mov_b32_e32 v3, s19
	v_add_co_u32_e32 v2, vcc, s18, v0
	v_addc_co_u32_e64 v3, s[0:1], v3, v1, vcc
	v_ashrrev_i32_e32 v11, 31, v10
	v_subrev_u32_e32 v0, s21, v23
	s_and_b64 s[0:1], s[24:25], s[12:13]
	v_lshlrev_b64 v[12:13], 2, v[10:11]
	v_mul_lo_u32 v26, v4, s20
	global_store_dword v[2:3], v16, off
	v_cndmask_b32_e64 v0, 8, v0, s[0:1]
	s_waitcnt lgkmcnt(0)
	v_mov_b32_e32 v3, s5
	v_add_co_u32_e64 v10, s[0:1], s4, v12
	v_addc_co_u32_e64 v11, s[0:1], v3, v13, s[0:1]
	v_ashrrev_i32_e32 v27, 31, v26
	global_store_dword v[10:11], v0, off
	v_lshlrev_b64 v[10:11], 2, v[26:27]
	v_mov_b32_e32 v0, s7
	v_add_co_u32_e64 v26, s[0:1], s6, v10
	v_addc_co_u32_e64 v27, s[0:1], v0, v11, s[0:1]
	s_cmp_eq_u32 s20, 1
	global_store_dword v[26:27], v4, off
	s_cbranch_scc1 .LBB142_8
; %bb.6:
	v_mov_b32_e32 v9, 0xff800000
	v_cmp_ne_u32_e64 s[0:1], 7, v23
	v_cndmask_b32_e64 v7, v9, v7, s[0:1]
	v_cmp_ne_u32_e64 s[0:1], 6, v23
	v_cndmask_b32_e64 v6, v9, v6, s[0:1]
	;; [unrolled: 2-line block ×5, first 2 shown]
	v_mov_b32_e32 v0, s7
	v_add_co_u32_e64 v10, s[0:1], s6, v10
	v_addc_co_u32_e64 v0, s[0:1], v11, v0, s[0:1]
	v_add_co_u32_e64 v10, s[0:1], 4, v10
	v_addc_co_u32_e64 v11, s[0:1], 0, v0, s[0:1]
	v_mov_b32_e32 v0, s5
	v_add_co_u32_e64 v12, s[0:1], s4, v12
	v_addc_co_u32_e64 v0, s[0:1], v13, v0, s[0:1]
	v_add_co_u32_e64 v12, s[0:1], 4, v12
	v_addc_co_u32_e64 v13, s[0:1], 0, v0, s[0:1]
	v_mov_b32_e32 v0, s19
	v_addc_co_u32_e32 v0, vcc, v1, v0, vcc
	v_add_co_u32_e32 v14, vcc, 4, v2
	v_addc_co_u32_e32 v15, vcc, 0, v0, vcc
	v_cmp_ne_u32_e32 vcc, 2, v23
	v_cndmask_b32_e32 v2, v9, v22, vcc
	v_cmp_ne_u32_e32 vcc, 0, v23
	s_add_i32 s8, s8, s28
	v_cmp_ne_u32_e64 s[0:1], 1, v23
	s_add_i32 s23, s20, -1
	v_add3_u32 v17, s8, v18, v17
	s_mov_b32 s29, 0x3fb8aa3b
	s_mov_b32 s30, 0xc2ce8ed0
	;; [unrolled: 1-line block ×3, first 2 shown]
	v_mov_b32_e32 v18, 0x7f800000
	v_cndmask_b32_e64 v1, v9, v21, s[0:1]
	v_cndmask_b32_e32 v0, v9, v20, vcc
.LBB142_7:                              ; =>This Inner Loop Header: Depth=1
	v_cmp_gt_f32_e32 vcc, v1, v0
	v_cndmask_b32_e32 v20, v0, v1, vcc
	v_cmp_gt_f32_e64 s[0:1], v2, v20
	v_cndmask_b32_e64 v20, v20, v2, s[0:1]
	v_cmp_gt_f32_e64 s[2:3], v3, v20
	v_cndmask_b32_e64 v20, v20, v3, s[2:3]
	;; [unrolled: 2-line block ×6, first 2 shown]
	v_sub_f32_e32 v20, v20, v19
	v_mul_f32_e32 v21, 0x3fb8aa3b, v20
	v_fma_f32 v22, v20, s29, -v21
	v_rndne_f32_e32 v23, v21
	v_fmac_f32_e32 v22, 0x32a5705f, v20
	v_sub_f32_e32 v21, v21, v23
	v_add_f32_e32 v21, v21, v22
	v_cndmask_b32_e64 v22, 0, 1, vcc
	v_cndmask_b32_e64 v22, v22, 2, s[0:1]
	v_cndmask_b32_e64 v22, v22, 3, s[2:3]
	;; [unrolled: 1-line block ×6, first 2 shown]
	v_cmp_le_i32_e32 vcc, s21, v22
	v_cmp_gt_i32_e64 s[0:1], s22, v22
	s_and_b64 s[0:1], vcc, s[0:1]
	v_cmp_ne_u32_e64 s[2:3], 7, v22
	v_cmp_ne_u32_e64 s[4:5], 6, v22
	;; [unrolled: 1-line block ×8, first 2 shown]
	v_subrev_u32_e32 v22, s21, v22
	s_and_b64 vcc, s[24:25], s[0:1]
	v_cndmask_b32_e32 v22, 8, v22, vcc
	global_store_dword v[12:13], v22, off
	v_cvt_i32_f32_e32 v22, v23
	v_exp_f32_e32 v21, v21
	v_cmp_ngt_f32_e32 vcc, s30, v20
	global_store_dword v[10:11], v17, off
	s_add_i32 s23, s23, -1
	v_ldexp_f32 v21, v21, v22
	v_cndmask_b32_e32 v21, 0, v21, vcc
	v_cmp_nlt_f32_e32 vcc, s31, v20
	v_cndmask_b32_e32 v20, v18, v21, vcc
	v_add_co_u32_e32 v10, vcc, 4, v10
	v_addc_co_u32_e32 v11, vcc, 0, v11, vcc
	v_add_co_u32_e32 v12, vcc, 4, v12
	v_addc_co_u32_e32 v13, vcc, 0, v13, vcc
	global_store_dword v[14:15], v20, off
	v_add_co_u32_e32 v14, vcc, 4, v14
	v_add_f32_e32 v16, v16, v20
	v_cndmask_b32_e64 v7, v9, v7, s[2:3]
	v_cndmask_b32_e64 v6, v9, v6, s[4:5]
	;; [unrolled: 1-line block ×8, first 2 shown]
	v_add_u32_e32 v17, s28, v17
	s_cmp_eq_u32 s23, 0
	v_addc_co_u32_e32 v15, vcc, 0, v15, vcc
	s_cbranch_scc0 .LBB142_7
.LBB142_8:
	v_cmp_neq_f32_e32 vcc, 0, v16
	s_and_b64 exec, exec, vcc
	s_cbranch_execz .LBB142_19
; %bb.9:
	s_andn2_b64 vcc, exec, s[26:27]
	s_cbranch_vccnz .LBB142_19
; %bb.10:
	s_waitcnt vmcnt(1)
	v_div_scale_f32 v0, s[0:1], v16, v16, 1.0
	v_rcp_f32_e32 v1, v0
	v_div_scale_f32 v2, vcc, 1.0, v16, 1.0
	s_cmp_gt_u32 s20, 3
	v_fma_f32 v3, -v0, v1, 1.0
	v_fmac_f32_e32 v1, v3, v1
	v_mul_f32_e32 v3, v2, v1
	v_fma_f32 v4, -v0, v3, v2
	v_fmac_f32_e32 v3, v4, v1
	v_fma_f32 v0, -v0, v3, v2
	v_div_fmas_f32 v0, v0, v1, v3
	v_div_fixup_f32 v0, v0, v16, 1.0
	v_ashrrev_i32_e32 v9, 31, v8
	s_cbranch_scc0 .LBB142_14
; %bb.11:
	v_lshlrev_b64 v[2:3], 2, v[8:9]
	v_mov_b32_e32 v4, s19
	v_add_co_u32_e32 v2, vcc, s18, v2
	v_addc_co_u32_e32 v3, vcc, v3, v4, vcc
	s_and_b32 s4, s20, 0x7ffffffc
	v_add_co_u32_e32 v2, vcc, 8, v2
	v_mov_b32_e32 v1, v0
	v_addc_co_u32_e32 v3, vcc, 0, v3, vcc
	s_mov_b32 s0, s4
.LBB142_12:                             ; =>This Inner Loop Header: Depth=1
	global_load_dwordx4 v[4:7], v[2:3], off offset:-8
	s_add_i32 s0, s0, -4
	s_cmp_lg_u32 s0, 0
	s_waitcnt vmcnt(0)
	v_pk_mul_f32 v[4:5], v[0:1], v[4:5]
	v_pk_mul_f32 v[6:7], v[0:1], v[6:7]
	global_store_dwordx4 v[2:3], v[4:7], off offset:-8
	v_add_co_u32_e32 v2, vcc, 16, v2
	v_addc_co_u32_e32 v3, vcc, 0, v3, vcc
	s_cbranch_scc1 .LBB142_12
; %bb.13:
	s_cmp_lg_u32 s4, s20
	s_cselect_b64 s[0:1], -1, 0
	s_branch .LBB142_16
.LBB142_14:
	s_mov_b64 s[0:1], 0
                                        ; implicit-def: $sgpr4
	s_cbranch_execz .LBB142_16
; %bb.15:
	s_mov_b64 s[0:1], -1
	s_mov_b32 s4, 0
.LBB142_16:
	s_andn2_b64 vcc, exec, s[0:1]
	s_cbranch_vccnz .LBB142_19
; %bb.17:
	v_add_co_u32_e32 v2, vcc, s4, v8
	v_addc_co_u32_e32 v3, vcc, 0, v9, vcc
	v_lshlrev_b64 v[2:3], 2, v[2:3]
	v_mov_b32_e32 v1, s19
	v_add_co_u32_e32 v2, vcc, s18, v2
	s_sub_i32 s0, s20, s4
	v_addc_co_u32_e32 v3, vcc, v1, v3, vcc
.LBB142_18:                             ; =>This Inner Loop Header: Depth=1
	global_load_dword v1, v[2:3], off
	s_add_i32 s0, s0, -1
	s_cmp_lg_u32 s0, 0
	s_waitcnt vmcnt(0)
	v_mul_f32_e32 v1, v0, v1
	global_store_dword v[2:3], v1, off
	v_add_co_u32_e32 v2, vcc, 4, v2
	v_addc_co_u32_e32 v3, vcc, 0, v3, vcc
	s_cbranch_scc1 .LBB142_18
.LBB142_19:
	s_endpgm
	.section	.rodata,"a",@progbits
	.p2align	6, 0x0
	.amdhsa_kernel _ZN4vllm3moe17topkGatingSoftmaxIDF16_Li8ELi8ELi8ELi16ELb1ELi4ELNS0_23SharedExpertScoringFuncE1EEEvPKT_PKbPfiPiS9_iiiiii
		.amdhsa_group_segment_fixed_size 0
		.amdhsa_private_segment_fixed_size 0
		.amdhsa_kernarg_size 72
		.amdhsa_user_sgpr_count 6
		.amdhsa_user_sgpr_private_segment_buffer 1
		.amdhsa_user_sgpr_dispatch_ptr 0
		.amdhsa_user_sgpr_queue_ptr 0
		.amdhsa_user_sgpr_kernarg_segment_ptr 1
		.amdhsa_user_sgpr_dispatch_id 0
		.amdhsa_user_sgpr_flat_scratch_init 0
		.amdhsa_user_sgpr_kernarg_preload_length 0
		.amdhsa_user_sgpr_kernarg_preload_offset 0
		.amdhsa_user_sgpr_private_segment_size 0
		.amdhsa_uses_dynamic_stack 0
		.amdhsa_system_sgpr_private_segment_wavefront_offset 0
		.amdhsa_system_sgpr_workgroup_id_x 1
		.amdhsa_system_sgpr_workgroup_id_y 0
		.amdhsa_system_sgpr_workgroup_id_z 0
		.amdhsa_system_sgpr_workgroup_info 0
		.amdhsa_system_vgpr_workitem_id 1
		.amdhsa_next_free_vgpr 30
		.amdhsa_next_free_sgpr 32
		.amdhsa_accum_offset 32
		.amdhsa_reserve_vcc 1
		.amdhsa_reserve_flat_scratch 0
		.amdhsa_float_round_mode_32 0
		.amdhsa_float_round_mode_16_64 0
		.amdhsa_float_denorm_mode_32 3
		.amdhsa_float_denorm_mode_16_64 3
		.amdhsa_dx10_clamp 1
		.amdhsa_ieee_mode 1
		.amdhsa_fp16_overflow 0
		.amdhsa_tg_split 0
		.amdhsa_exception_fp_ieee_invalid_op 0
		.amdhsa_exception_fp_denorm_src 0
		.amdhsa_exception_fp_ieee_div_zero 0
		.amdhsa_exception_fp_ieee_overflow 0
		.amdhsa_exception_fp_ieee_underflow 0
		.amdhsa_exception_fp_ieee_inexact 0
		.amdhsa_exception_int_div_zero 0
	.end_amdhsa_kernel
	.section	.text._ZN4vllm3moe17topkGatingSoftmaxIDF16_Li8ELi8ELi8ELi16ELb1ELi4ELNS0_23SharedExpertScoringFuncE1EEEvPKT_PKbPfiPiS9_iiiiii,"axG",@progbits,_ZN4vllm3moe17topkGatingSoftmaxIDF16_Li8ELi8ELi8ELi16ELb1ELi4ELNS0_23SharedExpertScoringFuncE1EEEvPKT_PKbPfiPiS9_iiiiii,comdat
.Lfunc_end142:
	.size	_ZN4vllm3moe17topkGatingSoftmaxIDF16_Li8ELi8ELi8ELi16ELb1ELi4ELNS0_23SharedExpertScoringFuncE1EEEvPKT_PKbPfiPiS9_iiiiii, .Lfunc_end142-_ZN4vllm3moe17topkGatingSoftmaxIDF16_Li8ELi8ELi8ELi16ELb1ELi4ELNS0_23SharedExpertScoringFuncE1EEEvPKT_PKbPfiPiS9_iiiiii
                                        ; -- End function
	.section	.AMDGPU.csdata,"",@progbits
; Kernel info:
; codeLenInByte = 2384
; NumSgprs: 36
; NumVgprs: 30
; NumAgprs: 0
; TotalNumVgprs: 30
; ScratchSize: 0
; MemoryBound: 0
; FloatMode: 240
; IeeeMode: 1
; LDSByteSize: 0 bytes/workgroup (compile time only)
; SGPRBlocks: 4
; VGPRBlocks: 3
; NumSGPRsForWavesPerEU: 36
; NumVGPRsForWavesPerEU: 30
; AccumOffset: 32
; Occupancy: 8
; WaveLimiterHint : 0
; COMPUTE_PGM_RSRC2:SCRATCH_EN: 0
; COMPUTE_PGM_RSRC2:USER_SGPR: 6
; COMPUTE_PGM_RSRC2:TRAP_HANDLER: 0
; COMPUTE_PGM_RSRC2:TGID_X_EN: 1
; COMPUTE_PGM_RSRC2:TGID_Y_EN: 0
; COMPUTE_PGM_RSRC2:TGID_Z_EN: 0
; COMPUTE_PGM_RSRC2:TIDIG_COMP_CNT: 1
; COMPUTE_PGM_RSRC3_GFX90A:ACCUM_OFFSET: 7
; COMPUTE_PGM_RSRC3_GFX90A:TG_SPLIT: 0
	.section	.text._ZN4vllm3moe17topkGatingSoftmaxIDF16_Li8ELi8ELi8ELi16ELb0ELi4ELNS0_23SharedExpertScoringFuncE1EEEvPKT_PKbPfiPiS9_iiiiii,"axG",@progbits,_ZN4vllm3moe17topkGatingSoftmaxIDF16_Li8ELi8ELi8ELi16ELb0ELi4ELNS0_23SharedExpertScoringFuncE1EEEvPKT_PKbPfiPiS9_iiiiii,comdat
	.protected	_ZN4vllm3moe17topkGatingSoftmaxIDF16_Li8ELi8ELi8ELi16ELb0ELi4ELNS0_23SharedExpertScoringFuncE1EEEvPKT_PKbPfiPiS9_iiiiii ; -- Begin function _ZN4vllm3moe17topkGatingSoftmaxIDF16_Li8ELi8ELi8ELi16ELb0ELi4ELNS0_23SharedExpertScoringFuncE1EEEvPKT_PKbPfiPiS9_iiiiii
	.globl	_ZN4vllm3moe17topkGatingSoftmaxIDF16_Li8ELi8ELi8ELi16ELb0ELi4ELNS0_23SharedExpertScoringFuncE1EEEvPKT_PKbPfiPiS9_iiiiii
	.p2align	8
	.type	_ZN4vllm3moe17topkGatingSoftmaxIDF16_Li8ELi8ELi8ELi16ELb0ELi4ELNS0_23SharedExpertScoringFuncE1EEEvPKT_PKbPfiPiS9_iiiiii,@function
_ZN4vllm3moe17topkGatingSoftmaxIDF16_Li8ELi8ELi8ELi16ELb0ELi4ELNS0_23SharedExpertScoringFuncE1EEEvPKT_PKbPfiPiS9_iiiiii: ; @_ZN4vllm3moe17topkGatingSoftmaxIDF16_Li8ELi8ELi8ELi16ELb0ELi4ELNS0_23SharedExpertScoringFuncE1EEEvPKT_PKbPfiPiS9_iiiiii
; %bb.0:
	s_load_dword s36, s[4:5], 0x18
	v_bfe_u32 v1, v0, 10, 10
	s_lshl_b32 s37, s6, 9
	v_lshlrev_b32_e32 v20, 6, v1
	v_and_b32_e32 v21, 0x3ff, v0
	v_add3_u32 v16, v20, v21, s37
	s_waitcnt lgkmcnt(0)
	v_cmp_gt_i32_e32 vcc, s36, v16
	s_and_saveexec_b64 s[0:1], vcc
	s_cbranch_execz .LBB143_19
; %bb.1:
	s_load_dwordx4 s[0:3], s[4:5], 0x0
	s_load_dwordx2 s[18:19], s[4:5], 0x10
	s_waitcnt lgkmcnt(0)
	s_cmp_eq_u64 s[2:3], 0
	s_cbranch_scc1 .LBB143_3
; %bb.2:
	v_ashrrev_i32_e32 v1, 31, v16
	v_mov_b32_e32 v2, s3
	v_add_co_u32_e32 v0, vcc, s2, v16
	v_addc_co_u32_e32 v1, vcc, v2, v1, vcc
	global_load_ubyte v0, v[0:1], off
	s_waitcnt vmcnt(0)
	v_and_b32_e32 v0, 1, v0
	v_cmp_eq_u32_e32 vcc, 1, v0
	s_xor_b64 s[2:3], vcc, -1
	s_orn2_b64 s[28:29], s[2:3], exec
	s_branch .LBB143_4
.LBB143_3:
	s_mov_b64 s[28:29], -1
.LBB143_4:
	s_load_dwordx2 s[14:15], s[4:5], 0x40
	s_load_dwordx4 s[20:23], s[4:5], 0x30
	v_mov_b32_e32 v2, s1
	s_mov_b32 s34, 0x3fb8aa3b
	s_mov_b32 s33, 0xc2ce8ed0
	s_waitcnt lgkmcnt(0)
	v_mul_lo_u32 v0, v16, s15
	v_ashrrev_i32_e32 v1, 31, v0
	v_lshlrev_b64 v[0:1], 1, v[0:1]
	v_add_co_u32_e32 v0, vcc, s0, v0
	v_addc_co_u32_e32 v1, vcc, v2, v1, vcc
	global_load_dwordx4 v[12:15], v[0:1], off
	global_load_dwordx2 v[6:7], v[0:1], off offset:16
	v_mul_lo_u32 v0, v16, s23
	v_add_u32_e32 v2, s20, v0
	v_ashrrev_i32_e32 v3, 31, v2
	v_lshlrev_b64 v[2:3], 2, v[2:3]
	v_mov_b32_e32 v1, s19
	v_add_co_u32_e32 v18, vcc, s18, v2
	v_addc_co_u32_e32 v19, vcc, v1, v3, vcc
	s_mov_b32 s0, 0x32a5705f
	s_mov_b32 s35, 0x42b17218
	v_mov_b32_e32 v11, 0x7f800000
	s_cmp_gt_i32 s20, 0
	s_cselect_b64 s[30:31], -1, 0
	s_cmp_lt_i32 s20, 1
	s_waitcnt vmcnt(1)
	v_cvt_f32_f16_e32 v2, v13
	s_waitcnt vmcnt(0)
	v_cvt_f32_f16_e64 v1, -v6
	v_cvt_f32_f16_sdwa v3, v13 dst_sel:DWORD dst_unused:UNUSED_PAD src0_sel:WORD_1
	v_cvt_f32_f16_sdwa v10, -v6 dst_sel:DWORD dst_unused:UNUSED_PAD src0_sel:WORD_1
	v_cvt_f32_f16_e64 v13, -v7
	v_cvt_f32_f16_e32 v4, v14
	v_cvt_f32_f16_sdwa v5, v14 dst_sel:DWORD dst_unused:UNUSED_PAD src0_sel:WORD_1
	v_cvt_f32_f16_sdwa v14, -v7 dst_sel:DWORD dst_unused:UNUSED_PAD src0_sel:WORD_1
	v_mul_f32_e32 v17, 0x3fb8aa3b, v1
	v_mul_f32_e32 v22, 0x3fb8aa3b, v10
	;; [unrolled: 1-line block ×3, first 2 shown]
	v_fma_mix_f32 v25, -v6, s34, -v17 op_sel_hi:[1,0,0]
	v_rndne_f32_e32 v26, v17
	v_mul_f32_e32 v24, 0x3fb8aa3b, v14
	v_fma_mix_f32 v27, -v6, s34, -v22 op_sel:[1,0,0] op_sel_hi:[1,0,0]
	v_rndne_f32_e32 v28, v22
	v_fma_mix_f32 v29, -v7, s34, -v23 op_sel_hi:[1,0,0]
	v_fma_mix_f32 v25, -v6, s0, v25 op_sel_hi:[1,0,0]
	v_sub_f32_e32 v17, v17, v26
	v_fma_mix_f32 v30, -v7, s34, -v24 op_sel:[1,0,0] op_sel_hi:[1,0,0]
	v_fma_mix_f32 v6, -v6, s0, v27 op_sel:[1,0,0] op_sel_hi:[1,0,0]
	v_fma_mix_f32 v27, -v7, s0, v29 op_sel_hi:[1,0,0]
	v_rndne_f32_e32 v29, v23
	v_sub_f32_e32 v22, v22, v28
	v_add_f32_e32 v17, v17, v25
	v_fma_mix_f32 v7, -v7, s0, v30 op_sel:[1,0,0] op_sel_hi:[1,0,0]
	v_rndne_f32_e32 v30, v24
	v_cvt_i32_f32_e32 v26, v26
	v_sub_f32_e32 v23, v23, v29
	v_add_f32_e32 v6, v22, v6
	v_exp_f32_e32 v17, v17
	v_cvt_i32_f32_e32 v28, v28
	v_sub_f32_e32 v24, v24, v30
	v_add_f32_e32 v22, v23, v27
	v_exp_f32_e32 v6, v6
	v_cvt_i32_f32_e32 v29, v29
	v_add_f32_e32 v7, v24, v7
	v_exp_f32_e32 v22, v22
	v_cvt_i32_f32_e32 v30, v30
	v_exp_f32_e32 v7, v7
	v_ldexp_f32 v17, v17, v26
	v_cmp_ngt_f32_e32 vcc, s33, v1
	v_ldexp_f32 v6, v6, v28
	v_cndmask_b32_e32 v17, 0, v17, vcc
	v_cmp_ngt_f32_e32 vcc, s33, v10
	v_ldexp_f32 v22, v22, v29
	v_cndmask_b32_e32 v23, 0, v6, vcc
	v_cmp_ngt_f32_e32 vcc, s33, v13
	v_ldexp_f32 v7, v7, v30
	v_cndmask_b32_e32 v22, 0, v22, vcc
	v_cmp_ngt_f32_e32 vcc, s33, v14
	v_cndmask_b32_e32 v24, 0, v7, vcc
	v_cmp_nlt_f32_e32 vcc, s35, v1
	v_cndmask_b32_e32 v6, v11, v17, vcc
	v_cmp_nlt_f32_e32 vcc, s35, v10
	;; [unrolled: 2-line block ×3, first 2 shown]
	v_pk_add_f32 v[6:7], v[6:7], 1.0 op_sel_hi:[1,0]
	v_cndmask_b32_e32 v22, v11, v22, vcc
	v_cmp_nlt_f32_e32 vcc, s35, v14
	v_div_scale_f32 v1, s[0:1], v7, v7, 1.0
	v_cndmask_b32_e32 v23, v11, v24, vcc
	v_div_scale_f32 v13, s[0:1], v6, v6, 1.0
	v_rcp_f32_e32 v17, v1
	v_pk_add_f32 v[24:25], v[22:23], 1.0 op_sel_hi:[1,0]
	v_rcp_f32_e32 v22, v13
	v_div_scale_f32 v10, vcc, 1.0, v7, 1.0
	v_fma_f32 v23, -v1, v17, 1.0
	v_fma_f32 v28, -v13, v22, 1.0
	v_fmac_f32_e32 v17, v23, v17
	v_div_scale_f32 v14, s[0:1], 1.0, v6, 1.0
	v_fmac_f32_e32 v22, v28, v22
	v_mul_f32_e32 v23, v10, v17
	v_div_scale_f32 v26, s[2:3], v25, v25, 1.0
	v_mul_f32_e32 v28, v14, v22
	v_fma_f32 v29, -v1, v23, v10
	v_rcp_f32_e32 v27, v26
	v_fma_f32 v30, -v13, v28, v14
	v_fmac_f32_e32 v23, v29, v17
	v_fmac_f32_e32 v28, v30, v22
	v_fma_f32 v1, -v1, v23, v10
	v_fma_f32 v10, -v13, v28, v14
	v_div_fmas_f32 v1, v1, v17, v23
	s_mov_b64 vcc, s[0:1]
	v_div_fixup_f32 v23, v1, v7, 1.0
	v_div_fmas_f32 v1, v10, v22, v28
	v_div_fixup_f32 v22, v1, v6, 1.0
	v_fma_f32 v1, -v26, v27, 1.0
	v_fmac_f32_e32 v27, v1, v27
	v_div_scale_f32 v1, vcc, 1.0, v25, 1.0
	v_mul_f32_e32 v6, v1, v27
	v_fma_f32 v7, -v26, v6, v1
	v_fmac_f32_e32 v6, v7, v27
	v_div_scale_f32 v7, s[0:1], v24, v24, 1.0
	v_rcp_f32_e32 v10, v7
	v_fma_f32 v1, -v26, v6, v1
	v_div_fmas_f32 v1, v1, v27, v6
	v_cvt_f32_f16_e32 v8, v12
	v_fma_f32 v6, -v7, v10, 1.0
	v_fmac_f32_e32 v10, v6, v10
	v_div_scale_f32 v6, vcc, 1.0, v24, 1.0
	v_mul_f32_e32 v13, v6, v10
	v_cvt_f32_f16_sdwa v9, v12 dst_sel:DWORD dst_unused:UNUSED_PAD src0_sel:WORD_1
	v_fma_f32 v14, -v7, v13, v6
	v_fmac_f32_e32 v13, v14, v10
	v_fma_f32 v6, -v7, v13, v6
	v_div_fmas_f32 v7, v6, v10, v13
	v_cmp_lt_f16_sdwa vcc, v12, v12 src0_sel:DWORD src1_sel:WORD_1
	v_cndmask_b32_e32 v10, v8, v9, vcc
	v_cmp_lt_f32_e64 s[0:1], v10, v2
	v_cndmask_b32_e64 v10, v10, v2, s[0:1]
	v_cmp_lt_f32_e64 s[2:3], v10, v3
	v_cndmask_b32_e64 v10, v10, v3, s[2:3]
	v_cvt_f32_f16_e32 v6, v15
	v_cmp_lt_f32_e64 s[6:7], v10, v4
	v_cndmask_b32_e64 v10, v10, v4, s[6:7]
	v_div_fixup_f32 v24, v7, v24, 1.0
	v_cvt_f32_f16_sdwa v7, v15 dst_sel:DWORD dst_unused:UNUSED_PAD src0_sel:WORD_1
	v_cmp_lt_f32_e64 s[8:9], v10, v5
	v_cndmask_b32_e64 v10, v10, v5, s[8:9]
	v_cmp_lt_f32_e64 s[10:11], v10, v6
	v_cndmask_b32_e64 v10, v10, v6, s[10:11]
	v_cmp_lt_f32_e64 s[12:13], v10, v7
	v_div_fixup_f32 v25, v1, v25, 1.0
	v_mov_b32_e32 v1, 0
	v_cndmask_b32_e64 v10, v10, v7, s[12:13]
	global_store_dwordx4 v[18:19], v[22:25], off
	s_cbranch_scc1 .LBB143_8
; %bb.5:
	s_load_dwordx4 s[24:27], s[4:5], 0x20
	v_mul_lo_u32 v12, v16, s14
	v_ashrrev_i32_e32 v13, 31, v12
	v_lshlrev_b64 v[14:15], 2, v[12:13]
	v_sub_f32_e32 v24, v10, v10
	s_waitcnt lgkmcnt(0)
	v_mov_b32_e32 v1, s25
	v_add_co_u32_e64 v12, s[4:5], s24, v14
	v_addc_co_u32_e64 v13, s[4:5], v1, v15, s[4:5]
	v_cndmask_b32_e64 v1, 0, 1, vcc
	v_cndmask_b32_e64 v1, v1, 2, s[0:1]
	v_cndmask_b32_e64 v1, v1, 3, s[2:3]
	;; [unrolled: 1-line block ×6, first 2 shown]
	v_cmp_le_i32_e32 vcc, s21, v23
	v_cmp_gt_i32_e64 s[0:1], s22, v23
	s_and_b64 s[0:1], vcc, s[0:1]
	v_subrev_u32_e32 v1, s21, v23
	s_and_b64 vcc, s[28:29], s[0:1]
	v_cndmask_b32_e32 v1, 8, v1, vcc
	global_store_dword v[12:13], v1, off
	v_mul_lo_u32 v12, v16, s20
	v_ashrrev_i32_e32 v13, 31, v12
	v_lshlrev_b64 v[12:13], 2, v[12:13]
	v_mov_b32_e32 v1, s27
	v_add_co_u32_e32 v18, vcc, s26, v12
	v_addc_co_u32_e32 v19, vcc, v1, v13, vcc
	v_mul_f32_e32 v1, 0x3fb8aa3b, v24
	global_store_dword v[18:19], v16, off
	v_rndne_f32_e32 v16, v1
	v_sub_f32_e32 v17, v1, v16
	v_fma_f32 v1, v24, s34, -v1
	v_fmac_f32_e32 v1, 0x32a5705f, v24
	v_add_f32_e32 v1, v17, v1
	v_exp_f32_e32 v1, v1
	v_cvt_i32_f32_e32 v16, v16
	v_mov_b32_e32 v19, s19
	v_cmp_ngt_f32_e64 s[16:17], s33, v24
	v_mov_b32_e32 v22, 0xff800000
	v_ldexp_f32 v25, v1, v16
	v_ashrrev_i32_e32 v1, 31, v0
	v_lshlrev_b64 v[16:17], 2, v[0:1]
	v_add_co_u32_e32 v18, vcc, s18, v16
	v_addc_co_u32_e64 v19, s[0:1], v19, v17, vcc
	v_cmp_ne_u32_e64 s[0:1], 7, v23
	v_cmp_ne_u32_e64 s[2:3], 6, v23
	;; [unrolled: 1-line block ×8, first 2 shown]
	v_cndmask_b32_e64 v1, 0, v25, s[16:17]
	v_cmp_nlt_f32_e64 s[16:17], s35, v24
	v_cndmask_b32_e64 v1, v11, v1, s[16:17]
	v_cndmask_b32_e64 v7, v22, v7, s[0:1]
	;; [unrolled: 1-line block ×8, first 2 shown]
	s_cmp_eq_u32 s20, 1
	v_cndmask_b32_e64 v8, v22, v8, s[14:15]
	global_store_dword v[18:19], v1, off
	s_cbranch_scc1 .LBB143_8
; %bb.6:
	v_mov_b32_e32 v16, s27
	v_add_co_u32_e64 v12, s[0:1], s26, v12
	v_addc_co_u32_e64 v13, s[0:1], v13, v16, s[0:1]
	v_add_co_u32_e64 v12, s[0:1], 4, v12
	v_addc_co_u32_e64 v13, s[0:1], 0, v13, s[0:1]
	v_mov_b32_e32 v16, s25
	v_add_co_u32_e64 v14, s[0:1], s24, v14
	v_addc_co_u32_e64 v15, s[0:1], v15, v16, s[0:1]
	v_mov_b32_e32 v16, s19
	v_addc_co_u32_e32 v17, vcc, v17, v16, vcc
	v_add_co_u32_e64 v14, s[0:1], 4, v14
	v_add_co_u32_e32 v16, vcc, 4, v18
	s_add_i32 s37, s37, s36
	v_addc_co_u32_e64 v15, s[0:1], 0, v15, s[0:1]
	v_addc_co_u32_e32 v17, vcc, 0, v17, vcc
	s_add_i32 s23, s20, -1
	v_add3_u32 v18, s37, v21, v20
	s_mov_b32 s24, 0x3fb8aa3b
	s_mov_b32 s25, 0xc2ce8ed0
	;; [unrolled: 1-line block ×3, first 2 shown]
	v_mov_b32_e32 v19, 0x7f800000
.LBB143_7:                              ; =>This Inner Loop Header: Depth=1
	v_cmp_gt_f32_e32 vcc, v9, v8
	v_cndmask_b32_e32 v20, v8, v9, vcc
	v_cmp_gt_f32_e64 s[0:1], v2, v20
	v_cndmask_b32_e64 v20, v20, v2, s[0:1]
	v_cmp_gt_f32_e64 s[2:3], v3, v20
	v_cndmask_b32_e64 v20, v20, v3, s[2:3]
	v_cmp_gt_f32_e64 s[4:5], v4, v20
	v_cndmask_b32_e64 v20, v20, v4, s[4:5]
	v_cmp_gt_f32_e64 s[6:7], v5, v20
	v_cndmask_b32_e64 v20, v20, v5, s[6:7]
	v_cmp_gt_f32_e64 s[8:9], v6, v20
	v_cndmask_b32_e64 v20, v20, v6, s[8:9]
	v_cmp_gt_f32_e64 s[10:11], v7, v20
	v_cndmask_b32_e64 v20, v20, v7, s[10:11]
	v_sub_f32_e32 v20, v20, v10
	v_mul_f32_e32 v21, 0x3fb8aa3b, v20
	v_fma_f32 v23, v20, s24, -v21
	v_rndne_f32_e32 v24, v21
	v_fmac_f32_e32 v23, 0x32a5705f, v20
	v_sub_f32_e32 v21, v21, v24
	v_add_f32_e32 v21, v21, v23
	v_cndmask_b32_e64 v23, 0, 1, vcc
	v_cndmask_b32_e64 v23, v23, 2, s[0:1]
	v_cndmask_b32_e64 v23, v23, 3, s[2:3]
	v_cndmask_b32_e64 v23, v23, 4, s[4:5]
	v_cndmask_b32_e64 v23, v23, 5, s[6:7]
	v_cndmask_b32_e64 v23, v23, 6, s[8:9]
	v_cndmask_b32_e64 v23, v23, 7, s[10:11]
	v_cmp_le_i32_e32 vcc, s21, v23
	v_cmp_gt_i32_e64 s[0:1], s22, v23
	s_and_b64 s[0:1], vcc, s[0:1]
	v_cmp_ne_u32_e64 s[2:3], 7, v23
	v_cmp_ne_u32_e64 s[4:5], 6, v23
	;; [unrolled: 1-line block ×8, first 2 shown]
	v_subrev_u32_e32 v23, s21, v23
	s_and_b64 vcc, s[28:29], s[0:1]
	v_cndmask_b32_e32 v23, 8, v23, vcc
	global_store_dword v[14:15], v23, off
	v_cvt_i32_f32_e32 v23, v24
	v_exp_f32_e32 v21, v21
	v_cmp_ngt_f32_e32 vcc, s25, v20
	global_store_dword v[12:13], v18, off
	s_add_i32 s23, s23, -1
	v_ldexp_f32 v21, v21, v23
	v_cndmask_b32_e32 v21, 0, v21, vcc
	v_cmp_nlt_f32_e32 vcc, s26, v20
	v_cndmask_b32_e32 v20, v19, v21, vcc
	v_add_co_u32_e32 v12, vcc, 4, v12
	v_addc_co_u32_e32 v13, vcc, 0, v13, vcc
	v_add_co_u32_e32 v14, vcc, 4, v14
	v_addc_co_u32_e32 v15, vcc, 0, v15, vcc
	global_store_dword v[16:17], v20, off
	v_add_co_u32_e32 v16, vcc, 4, v16
	v_add_f32_e32 v1, v1, v20
	v_cndmask_b32_e64 v7, v22, v7, s[2:3]
	v_cndmask_b32_e64 v6, v22, v6, s[4:5]
	;; [unrolled: 1-line block ×8, first 2 shown]
	v_add_u32_e32 v18, s36, v18
	s_cmp_eq_u32 s23, 0
	v_addc_co_u32_e32 v17, vcc, 0, v17, vcc
	s_cbranch_scc0 .LBB143_7
.LBB143_8:
	v_pk_add_f32 v[8:9], v[8:9], v[10:11] op_sel_hi:[1,0] neg_lo:[0,1] neg_hi:[0,1]
	v_mul_f32_e32 v12, 0x3fb8aa3b, v9
	v_fma_f32 v13, v9, s34, -v12
	v_rndne_f32_e32 v14, v12
	v_fmac_f32_e32 v13, 0x32a5705f, v9
	v_sub_f32_e32 v12, v12, v14
	v_add_f32_e32 v12, v12, v13
	v_cvt_i32_f32_e32 v13, v14
	v_exp_f32_e32 v12, v12
	v_cmp_ngt_f32_e32 vcc, s33, v9
	v_sub_f32_e32 v2, v2, v10
	v_sub_f32_e32 v3, v3, v10
	v_ldexp_f32 v12, v12, v13
	v_mul_f32_e32 v13, 0x3fb8aa3b, v8
	v_fma_f32 v14, v8, s34, -v13
	v_rndne_f32_e32 v15, v13
	v_fmac_f32_e32 v14, 0x32a5705f, v8
	v_sub_f32_e32 v13, v13, v15
	v_add_f32_e32 v13, v13, v14
	v_exp_f32_e32 v13, v13
	v_cvt_i32_f32_e32 v14, v15
	v_cndmask_b32_e32 v12, 0, v12, vcc
	v_cmp_nlt_f32_e32 vcc, s35, v9
	v_cndmask_b32_e32 v9, v11, v12, vcc
	v_ldexp_f32 v12, v13, v14
	v_mul_f32_e32 v13, 0x3fb8aa3b, v2
	v_fma_f32 v14, v2, s34, -v13
	v_rndne_f32_e32 v15, v13
	v_fmac_f32_e32 v14, 0x32a5705f, v2
	v_sub_f32_e32 v13, v13, v15
	v_add_f32_e32 v13, v13, v14
	v_exp_f32_e32 v13, v13
	v_cvt_i32_f32_e32 v14, v15
	v_cmp_ngt_f32_e32 vcc, s33, v8
	v_cndmask_b32_e32 v12, 0, v12, vcc
	v_cmp_nlt_f32_e32 vcc, s35, v8
	v_cndmask_b32_e32 v8, v11, v12, vcc
	v_mul_f32_e32 v12, 0x3fb8aa3b, v3
	v_add_f32_e32 v8, v8, v9
	v_ldexp_f32 v9, v13, v14
	v_fma_f32 v13, v3, s34, -v12
	v_rndne_f32_e32 v14, v12
	v_fmac_f32_e32 v13, 0x32a5705f, v3
	v_sub_f32_e32 v12, v12, v14
	v_add_f32_e32 v12, v12, v13
	v_exp_f32_e32 v12, v12
	v_cvt_i32_f32_e32 v13, v14
	v_cmp_ngt_f32_e32 vcc, s33, v2
	v_cndmask_b32_e32 v9, 0, v9, vcc
	v_cmp_nlt_f32_e32 vcc, s35, v2
	v_sub_f32_e32 v4, v4, v10
	v_cndmask_b32_e32 v2, v11, v9, vcc
	v_mul_f32_e32 v9, 0x3fb8aa3b, v4
	v_add_f32_e32 v2, v8, v2
	v_ldexp_f32 v8, v12, v13
	v_fma_f32 v12, v4, s34, -v9
	v_rndne_f32_e32 v13, v9
	v_fmac_f32_e32 v12, 0x32a5705f, v4
	v_sub_f32_e32 v9, v9, v13
	v_add_f32_e32 v9, v9, v12
	v_exp_f32_e32 v9, v9
	v_cvt_i32_f32_e32 v12, v13
	v_cmp_ngt_f32_e32 vcc, s33, v3
	v_cndmask_b32_e32 v8, 0, v8, vcc
	v_cmp_nlt_f32_e32 vcc, s35, v3
	v_sub_f32_e32 v5, v5, v10
	;; [unrolled: 15-line block ×3, first 2 shown]
	v_cndmask_b32_e32 v3, v11, v3, vcc
	v_mul_f32_e32 v6, 0x3fb8aa3b, v4
	v_add_f32_e32 v2, v2, v3
	v_ldexp_f32 v3, v8, v9
	v_fma_f32 v8, v4, s34, -v6
	v_rndne_f32_e32 v9, v6
	v_fmac_f32_e32 v8, 0x32a5705f, v4
	v_sub_f32_e32 v6, v6, v9
	v_add_f32_e32 v6, v6, v8
	v_exp_f32_e32 v6, v6
	v_cvt_i32_f32_e32 v8, v9
	v_cmp_ngt_f32_e32 vcc, s33, v5
	v_cndmask_b32_e32 v3, 0, v3, vcc
	v_cmp_nlt_f32_e32 vcc, s35, v5
	v_cndmask_b32_e32 v3, v11, v3, vcc
	v_sub_f32_e32 v5, v7, v10
	v_add_f32_e32 v2, v2, v3
	v_ldexp_f32 v3, v6, v8
	v_mul_f32_e32 v6, 0x3fb8aa3b, v5
	v_fma_f32 v7, v5, s34, -v6
	v_rndne_f32_e32 v8, v6
	v_fmac_f32_e32 v7, 0x32a5705f, v5
	v_sub_f32_e32 v6, v6, v8
	v_add_f32_e32 v6, v6, v7
	v_exp_f32_e32 v6, v6
	v_cvt_i32_f32_e32 v7, v8
	v_cmp_ngt_f32_e32 vcc, s33, v4
	v_cndmask_b32_e32 v3, 0, v3, vcc
	v_cmp_nlt_f32_e32 vcc, s35, v4
	v_cndmask_b32_e32 v3, v11, v3, vcc
	v_add_f32_e32 v2, v2, v3
	v_ldexp_f32 v3, v6, v7
	v_cmp_ngt_f32_e32 vcc, s33, v5
	v_cndmask_b32_e32 v3, 0, v3, vcc
	v_cmp_nlt_f32_e32 vcc, s35, v5
	v_cndmask_b32_e32 v3, v11, v3, vcc
	v_add_f32_e32 v2, v2, v3
	v_add_f32_e32 v1, v1, v2
	v_cmp_neq_f32_e32 vcc, 0, v1
	s_and_b64 exec, exec, vcc
	s_cbranch_execz .LBB143_19
; %bb.9:
	s_andn2_b64 vcc, exec, s[30:31]
	s_cbranch_vccnz .LBB143_19
; %bb.10:
	v_div_scale_f32 v2, s[0:1], v1, v1, 1.0
	v_rcp_f32_e32 v3, v2
	v_div_scale_f32 v4, vcc, 1.0, v1, 1.0
	s_cmp_gt_u32 s20, 3
	v_fma_f32 v5, -v2, v3, 1.0
	v_fmac_f32_e32 v3, v5, v3
	v_mul_f32_e32 v5, v4, v3
	v_fma_f32 v6, -v2, v5, v4
	v_fmac_f32_e32 v5, v6, v3
	v_fma_f32 v2, -v2, v5, v4
	v_div_fmas_f32 v2, v2, v3, v5
	v_div_fixup_f32 v2, v2, v1, 1.0
	v_ashrrev_i32_e32 v1, 31, v0
	s_cbranch_scc0 .LBB143_14
; %bb.11:
	v_lshlrev_b64 v[4:5], 2, v[0:1]
	v_mov_b32_e32 v6, s19
	v_add_co_u32_e32 v4, vcc, s18, v4
	v_addc_co_u32_e32 v5, vcc, v5, v6, vcc
	s_and_b32 s4, s20, 0x7ffffffc
	v_add_co_u32_e32 v4, vcc, 8, v4
	v_mov_b32_e32 v3, v2
	v_addc_co_u32_e32 v5, vcc, 0, v5, vcc
	s_mov_b32 s0, s4
.LBB143_12:                             ; =>This Inner Loop Header: Depth=1
	global_load_dwordx4 v[6:9], v[4:5], off offset:-8
	s_add_i32 s0, s0, -4
	s_cmp_lg_u32 s0, 0
	s_waitcnt vmcnt(0)
	v_pk_mul_f32 v[6:7], v[2:3], v[6:7]
	v_pk_mul_f32 v[8:9], v[2:3], v[8:9]
	global_store_dwordx4 v[4:5], v[6:9], off offset:-8
	v_add_co_u32_e32 v4, vcc, 16, v4
	v_addc_co_u32_e32 v5, vcc, 0, v5, vcc
	s_cbranch_scc1 .LBB143_12
; %bb.13:
	s_cmp_lg_u32 s4, s20
	s_cselect_b64 s[0:1], -1, 0
	s_branch .LBB143_16
.LBB143_14:
	s_mov_b64 s[0:1], 0
                                        ; implicit-def: $sgpr4
	s_cbranch_execz .LBB143_16
; %bb.15:
	s_mov_b64 s[0:1], -1
	s_mov_b32 s4, 0
.LBB143_16:
	s_andn2_b64 vcc, exec, s[0:1]
	s_cbranch_vccnz .LBB143_19
; %bb.17:
	v_add_co_u32_e32 v0, vcc, s4, v0
	v_addc_co_u32_e32 v1, vcc, 0, v1, vcc
	v_lshlrev_b64 v[0:1], 2, v[0:1]
	v_mov_b32_e32 v3, s19
	v_add_co_u32_e32 v0, vcc, s18, v0
	s_sub_i32 s0, s20, s4
	v_addc_co_u32_e32 v1, vcc, v3, v1, vcc
.LBB143_18:                             ; =>This Inner Loop Header: Depth=1
	global_load_dword v3, v[0:1], off
	s_add_i32 s0, s0, -1
	s_cmp_lg_u32 s0, 0
	s_waitcnt vmcnt(0)
	v_mul_f32_e32 v3, v2, v3
	global_store_dword v[0:1], v3, off
	v_add_co_u32_e32 v0, vcc, 4, v0
	v_addc_co_u32_e32 v1, vcc, 0, v1, vcc
	s_cbranch_scc1 .LBB143_18
.LBB143_19:
	s_endpgm
	.section	.rodata,"a",@progbits
	.p2align	6, 0x0
	.amdhsa_kernel _ZN4vllm3moe17topkGatingSoftmaxIDF16_Li8ELi8ELi8ELi16ELb0ELi4ELNS0_23SharedExpertScoringFuncE1EEEvPKT_PKbPfiPiS9_iiiiii
		.amdhsa_group_segment_fixed_size 0
		.amdhsa_private_segment_fixed_size 0
		.amdhsa_kernarg_size 72
		.amdhsa_user_sgpr_count 6
		.amdhsa_user_sgpr_private_segment_buffer 1
		.amdhsa_user_sgpr_dispatch_ptr 0
		.amdhsa_user_sgpr_queue_ptr 0
		.amdhsa_user_sgpr_kernarg_segment_ptr 1
		.amdhsa_user_sgpr_dispatch_id 0
		.amdhsa_user_sgpr_flat_scratch_init 0
		.amdhsa_user_sgpr_kernarg_preload_length 0
		.amdhsa_user_sgpr_kernarg_preload_offset 0
		.amdhsa_user_sgpr_private_segment_size 0
		.amdhsa_uses_dynamic_stack 0
		.amdhsa_system_sgpr_private_segment_wavefront_offset 0
		.amdhsa_system_sgpr_workgroup_id_x 1
		.amdhsa_system_sgpr_workgroup_id_y 0
		.amdhsa_system_sgpr_workgroup_id_z 0
		.amdhsa_system_sgpr_workgroup_info 0
		.amdhsa_system_vgpr_workitem_id 1
		.amdhsa_next_free_vgpr 31
		.amdhsa_next_free_sgpr 38
		.amdhsa_accum_offset 32
		.amdhsa_reserve_vcc 1
		.amdhsa_reserve_flat_scratch 0
		.amdhsa_float_round_mode_32 0
		.amdhsa_float_round_mode_16_64 0
		.amdhsa_float_denorm_mode_32 3
		.amdhsa_float_denorm_mode_16_64 3
		.amdhsa_dx10_clamp 1
		.amdhsa_ieee_mode 1
		.amdhsa_fp16_overflow 0
		.amdhsa_tg_split 0
		.amdhsa_exception_fp_ieee_invalid_op 0
		.amdhsa_exception_fp_denorm_src 0
		.amdhsa_exception_fp_ieee_div_zero 0
		.amdhsa_exception_fp_ieee_overflow 0
		.amdhsa_exception_fp_ieee_underflow 0
		.amdhsa_exception_fp_ieee_inexact 0
		.amdhsa_exception_int_div_zero 0
	.end_amdhsa_kernel
	.section	.text._ZN4vllm3moe17topkGatingSoftmaxIDF16_Li8ELi8ELi8ELi16ELb0ELi4ELNS0_23SharedExpertScoringFuncE1EEEvPKT_PKbPfiPiS9_iiiiii,"axG",@progbits,_ZN4vllm3moe17topkGatingSoftmaxIDF16_Li8ELi8ELi8ELi16ELb0ELi4ELNS0_23SharedExpertScoringFuncE1EEEvPKT_PKbPfiPiS9_iiiiii,comdat
.Lfunc_end143:
	.size	_ZN4vllm3moe17topkGatingSoftmaxIDF16_Li8ELi8ELi8ELi16ELb0ELi4ELNS0_23SharedExpertScoringFuncE1EEEvPKT_PKbPfiPiS9_iiiiii, .Lfunc_end143-_ZN4vllm3moe17topkGatingSoftmaxIDF16_Li8ELi8ELi8ELi16ELb0ELi4ELNS0_23SharedExpertScoringFuncE1EEEvPKT_PKbPfiPiS9_iiiiii
                                        ; -- End function
	.section	.AMDGPU.csdata,"",@progbits
; Kernel info:
; codeLenInByte = 3056
; NumSgprs: 42
; NumVgprs: 31
; NumAgprs: 0
; TotalNumVgprs: 31
; ScratchSize: 0
; MemoryBound: 0
; FloatMode: 240
; IeeeMode: 1
; LDSByteSize: 0 bytes/workgroup (compile time only)
; SGPRBlocks: 5
; VGPRBlocks: 3
; NumSGPRsForWavesPerEU: 42
; NumVGPRsForWavesPerEU: 31
; AccumOffset: 32
; Occupancy: 8
; WaveLimiterHint : 0
; COMPUTE_PGM_RSRC2:SCRATCH_EN: 0
; COMPUTE_PGM_RSRC2:USER_SGPR: 6
; COMPUTE_PGM_RSRC2:TRAP_HANDLER: 0
; COMPUTE_PGM_RSRC2:TGID_X_EN: 1
; COMPUTE_PGM_RSRC2:TGID_Y_EN: 0
; COMPUTE_PGM_RSRC2:TGID_Z_EN: 0
; COMPUTE_PGM_RSRC2:TIDIG_COMP_CNT: 1
; COMPUTE_PGM_RSRC3_GFX90A:ACCUM_OFFSET: 7
; COMPUTE_PGM_RSRC3_GFX90A:TG_SPLIT: 0
	.section	.text._ZN4vllm3moe17topkGatingSoftmaxIDF16_Li8ELi8ELi8ELi16ELb1ELi8ELNS0_23SharedExpertScoringFuncE1EEEvPKT_PKbPfiPiS9_iiiiii,"axG",@progbits,_ZN4vllm3moe17topkGatingSoftmaxIDF16_Li8ELi8ELi8ELi16ELb1ELi8ELNS0_23SharedExpertScoringFuncE1EEEvPKT_PKbPfiPiS9_iiiiii,comdat
	.protected	_ZN4vllm3moe17topkGatingSoftmaxIDF16_Li8ELi8ELi8ELi16ELb1ELi8ELNS0_23SharedExpertScoringFuncE1EEEvPKT_PKbPfiPiS9_iiiiii ; -- Begin function _ZN4vllm3moe17topkGatingSoftmaxIDF16_Li8ELi8ELi8ELi16ELb1ELi8ELNS0_23SharedExpertScoringFuncE1EEEvPKT_PKbPfiPiS9_iiiiii
	.globl	_ZN4vllm3moe17topkGatingSoftmaxIDF16_Li8ELi8ELi8ELi16ELb1ELi8ELNS0_23SharedExpertScoringFuncE1EEEvPKT_PKbPfiPiS9_iiiiii
	.p2align	8
	.type	_ZN4vllm3moe17topkGatingSoftmaxIDF16_Li8ELi8ELi8ELi16ELb1ELi8ELNS0_23SharedExpertScoringFuncE1EEEvPKT_PKbPfiPiS9_iiiiii,@function
_ZN4vllm3moe17topkGatingSoftmaxIDF16_Li8ELi8ELi8ELi16ELb1ELi8ELNS0_23SharedExpertScoringFuncE1EEEvPKT_PKbPfiPiS9_iiiiii: ; @_ZN4vllm3moe17topkGatingSoftmaxIDF16_Li8ELi8ELi8ELi16ELb1ELi8ELNS0_23SharedExpertScoringFuncE1EEEvPKT_PKbPfiPiS9_iiiiii
; %bb.0:
	s_load_dword s28, s[4:5], 0x18
	v_bfe_u32 v1, v0, 10, 10
	s_lshl_b32 s8, s6, 9
	v_lshlrev_b32_e32 v17, 6, v1
	v_and_b32_e32 v18, 0x3ff, v0
	v_add3_u32 v14, v17, v18, s8
	s_waitcnt lgkmcnt(0)
	v_cmp_gt_i32_e32 vcc, s28, v14
	s_and_saveexec_b64 s[0:1], vcc
	s_cbranch_execz .LBB144_19
; %bb.1:
	s_load_dwordx4 s[0:3], s[4:5], 0x0
	s_load_dwordx2 s[18:19], s[4:5], 0x10
	s_waitcnt lgkmcnt(0)
	s_cmp_eq_u64 s[2:3], 0
	s_cbranch_scc1 .LBB144_3
; %bb.2:
	v_ashrrev_i32_e32 v1, 31, v14
	v_mov_b32_e32 v2, s3
	v_add_co_u32_e32 v0, vcc, s2, v14
	v_addc_co_u32_e32 v1, vcc, v2, v1, vcc
	global_load_ubyte v0, v[0:1], off
	s_waitcnt vmcnt(0)
	v_and_b32_e32 v0, 1, v0
	v_cmp_eq_u32_e32 vcc, 1, v0
	s_xor_b64 s[2:3], vcc, -1
	s_orn2_b64 s[24:25], s[2:3], exec
	s_branch .LBB144_4
.LBB144_3:
	s_mov_b64 s[24:25], -1
.LBB144_4:
	s_load_dwordx2 s[2:3], s[4:5], 0x40
	s_load_dwordx4 s[20:23], s[4:5], 0x30
	v_mov_b32_e32 v2, s1
	v_mov_b32_e32 v12, s19
	s_mov_b32 s9, 0x3fb8aa3b
	s_waitcnt lgkmcnt(0)
	v_mul_lo_u32 v0, v14, s3
	v_ashrrev_i32_e32 v1, 31, v0
	v_lshlrev_b64 v[0:1], 1, v[0:1]
	v_add_co_u32_e32 v0, vcc, s0, v0
	v_addc_co_u32_e32 v1, vcc, v2, v1, vcc
	global_load_dwordx4 v[4:7], v[0:1], off offset:16
	v_mul_lo_u32 v8, v14, s23
	v_add_u32_e32 v10, s20, v8
	v_ashrrev_i32_e32 v11, 31, v10
	v_lshlrev_b64 v[10:11], 2, v[10:11]
	v_add_co_u32_e32 v10, vcc, s18, v10
	v_addc_co_u32_e32 v11, vcc, v12, v11, vcc
	s_mov_b32 s6, 0x32a5705f
	s_mov_b32 s3, 0xc2ce8ed0
	;; [unrolled: 1-line block ×3, first 2 shown]
	v_mov_b32_e32 v9, 0x7f800000
	global_load_dwordx4 v[0:3], v[0:1], off
	s_cmp_gt_i32 s20, 0
	v_mov_b32_e32 v16, 0
	s_cselect_b64 s[26:27], -1, 0
	s_cmp_lt_i32 s20, 1
	s_waitcnt vmcnt(1)
	v_cvt_f32_f16_e64 v12, -v4
	v_cvt_f32_f16_sdwa v13, -v4 dst_sel:DWORD dst_unused:UNUSED_PAD src0_sel:WORD_1
	v_cvt_f32_f16_e64 v15, -v5
	v_cvt_f32_f16_sdwa v19, -v5 dst_sel:DWORD dst_unused:UNUSED_PAD src0_sel:WORD_1
	v_mul_f32_e32 v20, 0x3fb8aa3b, v12
	v_mul_f32_e32 v21, 0x3fb8aa3b, v13
	v_fma_mix_f32 v24, -v4, s9, -v20 op_sel_hi:[1,0,0]
	v_rndne_f32_e32 v25, v20
	v_mul_f32_e32 v22, 0x3fb8aa3b, v15
	v_fma_mix_f32 v26, -v4, s9, -v21 op_sel:[1,0,0] op_sel_hi:[1,0,0]
	v_rndne_f32_e32 v27, v21
	v_fma_mix_f32 v24, -v4, s6, v24 op_sel_hi:[1,0,0]
	v_sub_f32_e32 v20, v20, v25
	v_mul_f32_e32 v23, 0x3fb8aa3b, v19
	v_fma_mix_f32 v28, -v5, s9, -v22 op_sel_hi:[1,0,0]
	v_rndne_f32_e32 v29, v22
	v_fma_mix_f32 v4, -v4, s6, v26 op_sel:[1,0,0] op_sel_hi:[1,0,0]
	v_sub_f32_e32 v21, v21, v27
	v_add_f32_e32 v20, v20, v24
	v_fma_mix_f32 v30, -v5, s9, -v23 op_sel:[1,0,0] op_sel_hi:[1,0,0]
	v_rndne_f32_e32 v31, v23
	v_cvt_i32_f32_e32 v25, v25
	v_cvt_i32_f32_e32 v26, v27
	v_fma_mix_f32 v27, -v5, s6, v28 op_sel_hi:[1,0,0]
	v_sub_f32_e32 v22, v22, v29
	v_add_f32_e32 v4, v21, v4
	v_exp_f32_e32 v20, v20
	v_fma_mix_f32 v5, -v5, s6, v30 op_sel:[1,0,0] op_sel_hi:[1,0,0]
	v_sub_f32_e32 v23, v23, v31
	v_add_f32_e32 v21, v22, v27
	v_exp_f32_e32 v4, v4
	v_cvt_i32_f32_e32 v28, v29
	v_add_f32_e32 v5, v23, v5
	v_exp_f32_e32 v21, v21
	v_cvt_i32_f32_e32 v29, v31
	v_exp_f32_e32 v5, v5
	v_ldexp_f32 v20, v20, v25
	v_cmp_ngt_f32_e32 vcc, s3, v12
	v_ldexp_f32 v4, v4, v26
	v_cndmask_b32_e32 v20, 0, v20, vcc
	v_cmp_ngt_f32_e32 vcc, s3, v13
	v_ldexp_f32 v21, v21, v28
	v_cndmask_b32_e32 v22, 0, v4, vcc
	;; [unrolled: 3-line block ×3, first 2 shown]
	v_cmp_ngt_f32_e32 vcc, s3, v19
	v_cndmask_b32_e32 v23, 0, v5, vcc
	v_cmp_nlt_f32_e32 vcc, s10, v12
	v_cndmask_b32_e32 v4, v9, v20, vcc
	v_cmp_nlt_f32_e32 vcc, s10, v13
	;; [unrolled: 2-line block ×4, first 2 shown]
	v_pk_add_f32 v[4:5], v[4:5], 1.0 op_sel_hi:[1,0]
	v_cndmask_b32_e32 v13, v9, v23, vcc
	v_div_scale_f32 v15, s[0:1], v5, v5, 1.0
	v_pk_add_f32 v[12:13], v[12:13], 1.0 op_sel_hi:[1,0]
	v_div_scale_f32 v20, s[0:1], v4, v4, 1.0
	v_rcp_f32_e32 v21, v15
	v_div_scale_f32 v22, s[0:1], v13, v13, 1.0
	v_rcp_f32_e32 v23, v20
	v_rcp_f32_e32 v24, v22
	v_fma_f32 v26, -v15, v21, 1.0
	v_div_scale_f32 v19, vcc, 1.0, v5, 1.0
	v_fma_f32 v27, -v20, v23, 1.0
	v_fmac_f32_e32 v21, v26, v21
	v_div_scale_f32 v25, s[0:1], 1.0, v4, 1.0
	v_fma_f32 v28, -v22, v24, 1.0
	v_fmac_f32_e32 v23, v27, v23
	v_mul_f32_e32 v26, v19, v21
	v_fmac_f32_e32 v24, v28, v24
	v_mul_f32_e32 v27, v25, v23
	v_fma_f32 v28, -v15, v26, v19
	v_fma_f32 v29, -v20, v27, v25
	v_fmac_f32_e32 v26, v28, v21
	v_fmac_f32_e32 v27, v29, v23
	v_fma_f32 v15, -v15, v26, v19
	v_fma_f32 v19, -v20, v27, v25
	v_div_fmas_f32 v15, v15, v21, v26
	s_mov_b64 vcc, s[0:1]
	v_div_fixup_f32 v21, v15, v5, 1.0
	v_div_fmas_f32 v5, v19, v23, v27
	v_div_fixup_f32 v20, v5, v4, 1.0
	v_div_scale_f32 v4, vcc, 1.0, v13, 1.0
	v_mul_f32_e32 v5, v4, v24
	v_fma_f32 v15, -v22, v5, v4
	v_fmac_f32_e32 v5, v15, v24
	v_div_scale_f32 v15, s[0:1], v12, v12, 1.0
	v_rcp_f32_e32 v19, v15
	v_fma_f32 v4, -v22, v5, v4
	v_div_fmas_f32 v4, v4, v24, v5
	v_div_fixup_f32 v23, v4, v13, 1.0
	v_fma_f32 v4, -v15, v19, 1.0
	v_fmac_f32_e32 v19, v4, v19
	v_cvt_f32_f16_e64 v4, -v6
	v_div_scale_f32 v5, vcc, 1.0, v12, 1.0
	v_mul_f32_e32 v13, v5, v19
	v_mul_f32_e32 v24, 0x3fb8aa3b, v4
	v_fma_mix_f32 v25, -v6, s9, -v24 op_sel_hi:[1,0,0]
	v_rndne_f32_e32 v26, v24
	v_fma_mix_f32 v25, -v6, s6, v25 op_sel_hi:[1,0,0]
	v_sub_f32_e32 v24, v24, v26
	v_add_f32_e32 v24, v24, v25
	v_cvt_i32_f32_e32 v25, v26
	v_cvt_f32_f16_sdwa v26, -v6 dst_sel:DWORD dst_unused:UNUSED_PAD src0_sel:WORD_1
	v_exp_f32_e32 v24, v24
	v_fma_f32 v22, -v15, v13, v5
	v_fmac_f32_e32 v13, v22, v19
	v_mul_f32_e32 v22, 0x3fb8aa3b, v26
	v_fma_f32 v15, -v15, v13, v5
	v_ldexp_f32 v5, v24, v25
	v_fma_mix_f32 v24, -v6, s9, -v22 op_sel:[1,0,0] op_sel_hi:[1,0,0]
	v_fma_mix_f32 v6, -v6, s6, v24 op_sel:[1,0,0] op_sel_hi:[1,0,0]
	v_rndne_f32_e32 v24, v22
	v_sub_f32_e32 v22, v22, v24
	v_add_f32_e32 v6, v22, v6
	v_exp_f32_e32 v6, v6
	v_cvt_i32_f32_e32 v22, v24
	v_cmp_ngt_f32_e64 s[0:1], s3, v4
	v_cndmask_b32_e64 v5, 0, v5, s[0:1]
	v_cmp_nlt_f32_e64 s[0:1], s10, v4
	v_cndmask_b32_e64 v4, v9, v5, s[0:1]
	v_ldexp_f32 v5, v6, v22
	v_cmp_ngt_f32_e64 s[0:1], s3, v26
	v_cndmask_b32_e64 v5, 0, v5, s[0:1]
	v_cmp_nlt_f32_e64 s[0:1], s10, v26
	v_cndmask_b32_e64 v5, v9, v5, s[0:1]
	v_pk_add_f32 v[4:5], v[4:5], 1.0 op_sel_hi:[1,0]
	v_div_scale_f32 v6, s[0:1], v5, v5, 1.0
	v_rcp_f32_e32 v24, v6
	v_div_fmas_f32 v13, v15, v19, v13
	v_div_fixup_f32 v22, v13, v12, 1.0
	global_store_dwordx4 v[10:11], v[20:23], off
	v_fma_f32 v12, -v6, v24, 1.0
	v_fmac_f32_e32 v24, v12, v24
	v_div_scale_f32 v12, vcc, 1.0, v5, 1.0
	v_mul_f32_e32 v13, v12, v24
	v_fma_f32 v15, -v6, v13, v12
	v_fmac_f32_e32 v13, v15, v24
	v_fma_f32 v6, -v6, v13, v12
	v_div_scale_f32 v12, s[0:1], v4, v4, 1.0
	v_rcp_f32_e32 v15, v12
	v_div_fmas_f32 v6, v6, v24, v13
	v_div_fixup_f32 v5, v6, v5, 1.0
	v_div_scale_f32 v13, vcc, 1.0, v4, 1.0
	v_fma_f32 v6, -v12, v15, 1.0
	v_fmac_f32_e32 v15, v6, v15
	v_cvt_f32_f16_e64 v6, -v7
	v_mul_f32_e32 v19, v13, v15
	v_fma_f32 v20, -v12, v19, v13
	v_fmac_f32_e32 v19, v20, v15
	v_mul_f32_e32 v21, 0x3fb8aa3b, v6
	v_fma_mix_f32 v22, -v7, s9, -v21 op_sel_hi:[1,0,0]
	v_rndne_f32_e32 v23, v21
	v_fma_mix_f32 v22, -v7, s6, v22 op_sel_hi:[1,0,0]
	v_sub_f32_e32 v21, v21, v23
	v_add_f32_e32 v21, v21, v22
	v_cvt_i32_f32_e32 v22, v23
	v_cvt_f32_f16_sdwa v23, -v7 dst_sel:DWORD dst_unused:UNUSED_PAD src0_sel:WORD_1
	v_exp_f32_e32 v21, v21
	v_fma_f32 v12, -v12, v19, v13
	v_cmp_ngt_f32_e64 s[0:1], s3, v6
	v_mul_f32_e32 v20, 0x3fb8aa3b, v23
	v_ldexp_f32 v13, v21, v22
	v_fma_mix_f32 v21, -v7, s9, -v20 op_sel:[1,0,0] op_sel_hi:[1,0,0]
	v_fma_mix_f32 v7, -v7, s6, v21 op_sel:[1,0,0] op_sel_hi:[1,0,0]
	v_rndne_f32_e32 v21, v20
	v_sub_f32_e32 v20, v20, v21
	v_add_f32_e32 v7, v20, v7
	v_exp_f32_e32 v7, v7
	v_cvt_i32_f32_e32 v20, v21
	v_cndmask_b32_e64 v13, 0, v13, s[0:1]
	v_cmp_nlt_f32_e64 s[0:1], s10, v6
	v_cndmask_b32_e64 v6, v9, v13, s[0:1]
	v_ldexp_f32 v7, v7, v20
	v_cmp_ngt_f32_e64 s[0:1], s3, v23
	v_cndmask_b32_e64 v7, 0, v7, s[0:1]
	v_cmp_nlt_f32_e64 s[0:1], s10, v23
	v_cndmask_b32_e64 v7, v9, v7, s[0:1]
	v_pk_add_f32 v[6:7], v[6:7], 1.0 op_sel_hi:[1,0]
	v_div_scale_f32 v13, s[0:1], v7, v7, 1.0
	v_rcp_f32_e32 v20, v13
	v_div_fmas_f32 v12, v12, v15, v19
	v_div_fixup_f32 v4, v12, v4, 1.0
	v_fma_f32 v12, -v13, v20, 1.0
	v_fmac_f32_e32 v20, v12, v20
	v_div_scale_f32 v12, vcc, 1.0, v7, 1.0
	v_mul_f32_e32 v15, v12, v20
	v_fma_f32 v19, -v13, v15, v12
	v_fmac_f32_e32 v15, v19, v20
	v_fma_f32 v12, -v13, v15, v12
	v_div_scale_f32 v13, s[0:1], v6, v6, 1.0
	v_rcp_f32_e32 v19, v13
	v_div_fmas_f32 v12, v12, v20, v15
	v_div_fixup_f32 v7, v12, v7, 1.0
	v_fma_f32 v12, -v13, v19, 1.0
	v_fmac_f32_e32 v19, v12, v19
	v_div_scale_f32 v12, vcc, 1.0, v6, 1.0
	v_mul_f32_e32 v15, v12, v19
	v_fma_f32 v20, -v13, v15, v12
	v_fmac_f32_e32 v15, v20, v19
	v_fma_f32 v12, -v13, v15, v12
	v_div_fmas_f32 v12, v12, v19, v15
	v_div_fixup_f32 v6, v12, v6, 1.0
	global_store_dwordx4 v[10:11], v[4:7], off offset:16
	s_cbranch_scc1 .LBB144_8
; %bb.5:
	s_waitcnt vmcnt(2)
	v_cvt_f32_f16_e32 v20, v0
	v_cvt_f32_f16_sdwa v21, v0 dst_sel:DWORD dst_unused:UNUSED_PAD src0_sel:WORD_1
	v_cvt_f32_f16_e32 v22, v1
	v_cvt_f32_f16_sdwa v15, v1 dst_sel:DWORD dst_unused:UNUSED_PAD src0_sel:WORD_1
	v_cmp_lt_f16_sdwa vcc, v0, v0 src0_sel:DWORD src1_sel:WORD_1
	v_cndmask_b32_e32 v1, v20, v21, vcc
	v_cvt_f32_f16_e32 v4, v2
	v_cndmask_b32_e64 v0, 0, 1, vcc
	v_cmp_lt_f32_e32 vcc, v1, v22
	v_cndmask_b32_e32 v1, v1, v22, vcc
	v_cvt_f32_f16_sdwa v5, v2 dst_sel:DWORD dst_unused:UNUSED_PAD src0_sel:WORD_1
	v_cndmask_b32_e64 v0, v0, 2, vcc
	v_cmp_lt_f32_e32 vcc, v1, v15
	v_cndmask_b32_e32 v1, v1, v15, vcc
	v_cvt_f32_f16_e32 v6, v3
	v_cndmask_b32_e64 v0, v0, 3, vcc
	v_cmp_lt_f32_e32 vcc, v1, v4
	v_cndmask_b32_e32 v1, v1, v4, vcc
	v_cvt_f32_f16_sdwa v7, v3 dst_sel:DWORD dst_unused:UNUSED_PAD src0_sel:WORD_1
	v_cndmask_b32_e64 v0, v0, 4, vcc
	v_cmp_lt_f32_e32 vcc, v1, v5
	v_cndmask_b32_e32 v1, v1, v5, vcc
	v_cndmask_b32_e64 v0, v0, 5, vcc
	v_cmp_lt_f32_e32 vcc, v1, v6
	v_cndmask_b32_e32 v1, v1, v6, vcc
	;; [unrolled: 3-line block ×3, first 2 shown]
	v_cndmask_b32_e64 v23, v0, 7, vcc
	v_sub_f32_e32 v0, v19, v19
	v_mul_f32_e32 v1, 0x3fb8aa3b, v0
	v_fma_f32 v2, v0, s9, -v1
	v_rndne_f32_e32 v3, v1
	v_fmac_f32_e32 v2, 0x32a5705f, v0
	v_sub_f32_e32 v1, v1, v3
	v_add_f32_e32 v1, v1, v2
	v_exp_f32_e32 v1, v1
	v_cvt_i32_f32_e32 v2, v3
	v_cmp_le_i32_e32 vcc, s21, v23
	v_cmp_gt_i32_e64 s[0:1], s22, v23
	s_and_b64 s[12:13], vcc, s[0:1]
	v_ldexp_f32 v1, v1, v2
	v_cmp_ngt_f32_e32 vcc, s3, v0
	v_cndmask_b32_e32 v1, 0, v1, vcc
	v_cmp_nlt_f32_e32 vcc, s10, v0
	s_load_dwordx4 s[4:7], s[4:5], 0x20
	v_cndmask_b32_e32 v16, v9, v1, vcc
	v_ashrrev_i32_e32 v9, 31, v8
	v_lshlrev_b64 v[0:1], 2, v[8:9]
	v_mul_lo_u32 v10, v14, s2
	v_mov_b32_e32 v3, s19
	v_add_co_u32_e32 v2, vcc, s18, v0
	v_addc_co_u32_e64 v3, s[0:1], v3, v1, vcc
	v_ashrrev_i32_e32 v11, 31, v10
	v_subrev_u32_e32 v0, s21, v23
	s_and_b64 s[0:1], s[24:25], s[12:13]
	v_lshlrev_b64 v[12:13], 2, v[10:11]
	v_mul_lo_u32 v24, v14, s20
	global_store_dword v[2:3], v16, off
	v_cndmask_b32_e64 v0, 8, v0, s[0:1]
	s_waitcnt lgkmcnt(0)
	v_mov_b32_e32 v3, s5
	v_add_co_u32_e64 v10, s[0:1], s4, v12
	v_addc_co_u32_e64 v11, s[0:1], v3, v13, s[0:1]
	v_ashrrev_i32_e32 v25, 31, v24
	global_store_dword v[10:11], v0, off
	v_lshlrev_b64 v[10:11], 2, v[24:25]
	v_mov_b32_e32 v0, s7
	v_add_co_u32_e64 v24, s[0:1], s6, v10
	v_addc_co_u32_e64 v25, s[0:1], v0, v11, s[0:1]
	s_cmp_eq_u32 s20, 1
	global_store_dword v[24:25], v14, off
	s_cbranch_scc1 .LBB144_8
; %bb.6:
	v_mov_b32_e32 v9, 0xff800000
	v_cmp_ne_u32_e64 s[0:1], 7, v23
	v_cndmask_b32_e64 v7, v9, v7, s[0:1]
	v_cmp_ne_u32_e64 s[0:1], 6, v23
	v_cndmask_b32_e64 v6, v9, v6, s[0:1]
	;; [unrolled: 2-line block ×5, first 2 shown]
	v_mov_b32_e32 v0, s7
	v_add_co_u32_e64 v10, s[0:1], s6, v10
	v_addc_co_u32_e64 v0, s[0:1], v11, v0, s[0:1]
	v_add_co_u32_e64 v10, s[0:1], 4, v10
	v_addc_co_u32_e64 v11, s[0:1], 0, v0, s[0:1]
	v_mov_b32_e32 v0, s5
	v_add_co_u32_e64 v12, s[0:1], s4, v12
	v_addc_co_u32_e64 v0, s[0:1], v13, v0, s[0:1]
	v_add_co_u32_e64 v12, s[0:1], 4, v12
	v_addc_co_u32_e64 v13, s[0:1], 0, v0, s[0:1]
	v_mov_b32_e32 v0, s19
	v_addc_co_u32_e32 v0, vcc, v1, v0, vcc
	v_add_co_u32_e32 v14, vcc, 4, v2
	v_addc_co_u32_e32 v15, vcc, 0, v0, vcc
	v_cmp_ne_u32_e32 vcc, 2, v23
	v_cndmask_b32_e32 v2, v9, v22, vcc
	v_cmp_ne_u32_e32 vcc, 0, v23
	s_add_i32 s8, s8, s28
	v_cmp_ne_u32_e64 s[0:1], 1, v23
	s_add_i32 s23, s20, -1
	v_add3_u32 v17, s8, v18, v17
	s_mov_b32 s29, 0x3fb8aa3b
	s_mov_b32 s30, 0xc2ce8ed0
	;; [unrolled: 1-line block ×3, first 2 shown]
	v_mov_b32_e32 v18, 0x7f800000
	v_cndmask_b32_e64 v1, v9, v21, s[0:1]
	v_cndmask_b32_e32 v0, v9, v20, vcc
.LBB144_7:                              ; =>This Inner Loop Header: Depth=1
	v_cmp_gt_f32_e32 vcc, v1, v0
	v_cndmask_b32_e32 v20, v0, v1, vcc
	v_cmp_gt_f32_e64 s[0:1], v2, v20
	v_cndmask_b32_e64 v20, v20, v2, s[0:1]
	v_cmp_gt_f32_e64 s[2:3], v3, v20
	v_cndmask_b32_e64 v20, v20, v3, s[2:3]
	;; [unrolled: 2-line block ×6, first 2 shown]
	v_sub_f32_e32 v20, v20, v19
	v_mul_f32_e32 v21, 0x3fb8aa3b, v20
	v_fma_f32 v22, v20, s29, -v21
	v_rndne_f32_e32 v23, v21
	v_fmac_f32_e32 v22, 0x32a5705f, v20
	v_sub_f32_e32 v21, v21, v23
	v_add_f32_e32 v21, v21, v22
	v_cndmask_b32_e64 v22, 0, 1, vcc
	v_cndmask_b32_e64 v22, v22, 2, s[0:1]
	v_cndmask_b32_e64 v22, v22, 3, s[2:3]
	;; [unrolled: 1-line block ×6, first 2 shown]
	v_cmp_le_i32_e32 vcc, s21, v22
	v_cmp_gt_i32_e64 s[0:1], s22, v22
	s_and_b64 s[0:1], vcc, s[0:1]
	v_cmp_ne_u32_e64 s[2:3], 7, v22
	v_cmp_ne_u32_e64 s[4:5], 6, v22
	;; [unrolled: 1-line block ×8, first 2 shown]
	v_subrev_u32_e32 v22, s21, v22
	s_and_b64 vcc, s[24:25], s[0:1]
	v_cndmask_b32_e32 v22, 8, v22, vcc
	global_store_dword v[12:13], v22, off
	v_cvt_i32_f32_e32 v22, v23
	v_exp_f32_e32 v21, v21
	v_cmp_ngt_f32_e32 vcc, s30, v20
	global_store_dword v[10:11], v17, off
	s_add_i32 s23, s23, -1
	v_ldexp_f32 v21, v21, v22
	v_cndmask_b32_e32 v21, 0, v21, vcc
	v_cmp_nlt_f32_e32 vcc, s31, v20
	v_cndmask_b32_e32 v20, v18, v21, vcc
	v_add_co_u32_e32 v10, vcc, 4, v10
	v_addc_co_u32_e32 v11, vcc, 0, v11, vcc
	v_add_co_u32_e32 v12, vcc, 4, v12
	v_addc_co_u32_e32 v13, vcc, 0, v13, vcc
	global_store_dword v[14:15], v20, off
	v_add_co_u32_e32 v14, vcc, 4, v14
	v_add_f32_e32 v16, v16, v20
	v_cndmask_b32_e64 v7, v9, v7, s[2:3]
	v_cndmask_b32_e64 v6, v9, v6, s[4:5]
	;; [unrolled: 1-line block ×8, first 2 shown]
	v_add_u32_e32 v17, s28, v17
	s_cmp_eq_u32 s23, 0
	v_addc_co_u32_e32 v15, vcc, 0, v15, vcc
	s_cbranch_scc0 .LBB144_7
.LBB144_8:
	v_cmp_neq_f32_e32 vcc, 0, v16
	s_and_b64 exec, exec, vcc
	s_cbranch_execz .LBB144_19
; %bb.9:
	s_andn2_b64 vcc, exec, s[26:27]
	s_cbranch_vccnz .LBB144_19
; %bb.10:
	s_waitcnt vmcnt(2)
	v_div_scale_f32 v0, s[0:1], v16, v16, 1.0
	v_rcp_f32_e32 v1, v0
	v_div_scale_f32 v2, vcc, 1.0, v16, 1.0
	s_cmp_gt_u32 s20, 3
	v_fma_f32 v3, -v0, v1, 1.0
	v_fmac_f32_e32 v1, v3, v1
	v_mul_f32_e32 v3, v2, v1
	v_fma_f32 v4, -v0, v3, v2
	v_fmac_f32_e32 v3, v4, v1
	v_fma_f32 v0, -v0, v3, v2
	v_div_fmas_f32 v0, v0, v1, v3
	v_div_fixup_f32 v0, v0, v16, 1.0
	v_ashrrev_i32_e32 v9, 31, v8
	s_cbranch_scc0 .LBB144_14
; %bb.11:
	v_lshlrev_b64 v[2:3], 2, v[8:9]
	v_mov_b32_e32 v4, s19
	v_add_co_u32_e32 v2, vcc, s18, v2
	v_addc_co_u32_e32 v3, vcc, v3, v4, vcc
	s_and_b32 s4, s20, 0x7ffffffc
	v_add_co_u32_e32 v2, vcc, 8, v2
	v_mov_b32_e32 v1, v0
	v_addc_co_u32_e32 v3, vcc, 0, v3, vcc
	s_mov_b32 s0, s4
.LBB144_12:                             ; =>This Inner Loop Header: Depth=1
	global_load_dwordx4 v[4:7], v[2:3], off offset:-8
	s_add_i32 s0, s0, -4
	s_cmp_lg_u32 s0, 0
	s_waitcnt vmcnt(0)
	v_pk_mul_f32 v[4:5], v[0:1], v[4:5]
	v_pk_mul_f32 v[6:7], v[0:1], v[6:7]
	global_store_dwordx4 v[2:3], v[4:7], off offset:-8
	v_add_co_u32_e32 v2, vcc, 16, v2
	v_addc_co_u32_e32 v3, vcc, 0, v3, vcc
	s_cbranch_scc1 .LBB144_12
; %bb.13:
	s_cmp_lg_u32 s4, s20
	s_cselect_b64 s[0:1], -1, 0
	s_branch .LBB144_16
.LBB144_14:
	s_mov_b64 s[0:1], 0
                                        ; implicit-def: $sgpr4
	s_cbranch_execz .LBB144_16
; %bb.15:
	s_mov_b64 s[0:1], -1
	s_mov_b32 s4, 0
.LBB144_16:
	s_andn2_b64 vcc, exec, s[0:1]
	s_cbranch_vccnz .LBB144_19
; %bb.17:
	v_add_co_u32_e32 v2, vcc, s4, v8
	v_addc_co_u32_e32 v3, vcc, 0, v9, vcc
	v_lshlrev_b64 v[2:3], 2, v[2:3]
	v_mov_b32_e32 v1, s19
	v_add_co_u32_e32 v2, vcc, s18, v2
	s_sub_i32 s0, s20, s4
	v_addc_co_u32_e32 v3, vcc, v1, v3, vcc
.LBB144_18:                             ; =>This Inner Loop Header: Depth=1
	global_load_dword v1, v[2:3], off
	s_add_i32 s0, s0, -1
	s_cmp_lg_u32 s0, 0
	s_waitcnt vmcnt(0)
	v_mul_f32_e32 v1, v0, v1
	global_store_dword v[2:3], v1, off
	v_add_co_u32_e32 v2, vcc, 4, v2
	v_addc_co_u32_e32 v3, vcc, 0, v3, vcc
	s_cbranch_scc1 .LBB144_18
.LBB144_19:
	s_endpgm
	.section	.rodata,"a",@progbits
	.p2align	6, 0x0
	.amdhsa_kernel _ZN4vllm3moe17topkGatingSoftmaxIDF16_Li8ELi8ELi8ELi16ELb1ELi8ELNS0_23SharedExpertScoringFuncE1EEEvPKT_PKbPfiPiS9_iiiiii
		.amdhsa_group_segment_fixed_size 0
		.amdhsa_private_segment_fixed_size 0
		.amdhsa_kernarg_size 72
		.amdhsa_user_sgpr_count 6
		.amdhsa_user_sgpr_private_segment_buffer 1
		.amdhsa_user_sgpr_dispatch_ptr 0
		.amdhsa_user_sgpr_queue_ptr 0
		.amdhsa_user_sgpr_kernarg_segment_ptr 1
		.amdhsa_user_sgpr_dispatch_id 0
		.amdhsa_user_sgpr_flat_scratch_init 0
		.amdhsa_user_sgpr_kernarg_preload_length 0
		.amdhsa_user_sgpr_kernarg_preload_offset 0
		.amdhsa_user_sgpr_private_segment_size 0
		.amdhsa_uses_dynamic_stack 0
		.amdhsa_system_sgpr_private_segment_wavefront_offset 0
		.amdhsa_system_sgpr_workgroup_id_x 1
		.amdhsa_system_sgpr_workgroup_id_y 0
		.amdhsa_system_sgpr_workgroup_id_z 0
		.amdhsa_system_sgpr_workgroup_info 0
		.amdhsa_system_vgpr_workitem_id 1
		.amdhsa_next_free_vgpr 32
		.amdhsa_next_free_sgpr 32
		.amdhsa_accum_offset 32
		.amdhsa_reserve_vcc 1
		.amdhsa_reserve_flat_scratch 0
		.amdhsa_float_round_mode_32 0
		.amdhsa_float_round_mode_16_64 0
		.amdhsa_float_denorm_mode_32 3
		.amdhsa_float_denorm_mode_16_64 3
		.amdhsa_dx10_clamp 1
		.amdhsa_ieee_mode 1
		.amdhsa_fp16_overflow 0
		.amdhsa_tg_split 0
		.amdhsa_exception_fp_ieee_invalid_op 0
		.amdhsa_exception_fp_denorm_src 0
		.amdhsa_exception_fp_ieee_div_zero 0
		.amdhsa_exception_fp_ieee_overflow 0
		.amdhsa_exception_fp_ieee_underflow 0
		.amdhsa_exception_fp_ieee_inexact 0
		.amdhsa_exception_int_div_zero 0
	.end_amdhsa_kernel
	.section	.text._ZN4vllm3moe17topkGatingSoftmaxIDF16_Li8ELi8ELi8ELi16ELb1ELi8ELNS0_23SharedExpertScoringFuncE1EEEvPKT_PKbPfiPiS9_iiiiii,"axG",@progbits,_ZN4vllm3moe17topkGatingSoftmaxIDF16_Li8ELi8ELi8ELi16ELb1ELi8ELNS0_23SharedExpertScoringFuncE1EEEvPKT_PKbPfiPiS9_iiiiii,comdat
.Lfunc_end144:
	.size	_ZN4vllm3moe17topkGatingSoftmaxIDF16_Li8ELi8ELi8ELi16ELb1ELi8ELNS0_23SharedExpertScoringFuncE1EEEvPKT_PKbPfiPiS9_iiiiii, .Lfunc_end144-_ZN4vllm3moe17topkGatingSoftmaxIDF16_Li8ELi8ELi8ELi16ELb1ELi8ELNS0_23SharedExpertScoringFuncE1EEEvPKT_PKbPfiPiS9_iiiiii
                                        ; -- End function
	.section	.AMDGPU.csdata,"",@progbits
; Kernel info:
; codeLenInByte = 3064
; NumSgprs: 36
; NumVgprs: 32
; NumAgprs: 0
; TotalNumVgprs: 32
; ScratchSize: 0
; MemoryBound: 0
; FloatMode: 240
; IeeeMode: 1
; LDSByteSize: 0 bytes/workgroup (compile time only)
; SGPRBlocks: 4
; VGPRBlocks: 3
; NumSGPRsForWavesPerEU: 36
; NumVGPRsForWavesPerEU: 32
; AccumOffset: 32
; Occupancy: 8
; WaveLimiterHint : 0
; COMPUTE_PGM_RSRC2:SCRATCH_EN: 0
; COMPUTE_PGM_RSRC2:USER_SGPR: 6
; COMPUTE_PGM_RSRC2:TRAP_HANDLER: 0
; COMPUTE_PGM_RSRC2:TGID_X_EN: 1
; COMPUTE_PGM_RSRC2:TGID_Y_EN: 0
; COMPUTE_PGM_RSRC2:TGID_Z_EN: 0
; COMPUTE_PGM_RSRC2:TIDIG_COMP_CNT: 1
; COMPUTE_PGM_RSRC3_GFX90A:ACCUM_OFFSET: 7
; COMPUTE_PGM_RSRC3_GFX90A:TG_SPLIT: 0
	.section	.text._ZN4vllm3moe17topkGatingSoftmaxIDF16_Li8ELi8ELi8ELi16ELb0ELi8ELNS0_23SharedExpertScoringFuncE1EEEvPKT_PKbPfiPiS9_iiiiii,"axG",@progbits,_ZN4vllm3moe17topkGatingSoftmaxIDF16_Li8ELi8ELi8ELi16ELb0ELi8ELNS0_23SharedExpertScoringFuncE1EEEvPKT_PKbPfiPiS9_iiiiii,comdat
	.protected	_ZN4vllm3moe17topkGatingSoftmaxIDF16_Li8ELi8ELi8ELi16ELb0ELi8ELNS0_23SharedExpertScoringFuncE1EEEvPKT_PKbPfiPiS9_iiiiii ; -- Begin function _ZN4vllm3moe17topkGatingSoftmaxIDF16_Li8ELi8ELi8ELi16ELb0ELi8ELNS0_23SharedExpertScoringFuncE1EEEvPKT_PKbPfiPiS9_iiiiii
	.globl	_ZN4vllm3moe17topkGatingSoftmaxIDF16_Li8ELi8ELi8ELi16ELb0ELi8ELNS0_23SharedExpertScoringFuncE1EEEvPKT_PKbPfiPiS9_iiiiii
	.p2align	8
	.type	_ZN4vllm3moe17topkGatingSoftmaxIDF16_Li8ELi8ELi8ELi16ELb0ELi8ELNS0_23SharedExpertScoringFuncE1EEEvPKT_PKbPfiPiS9_iiiiii,@function
_ZN4vllm3moe17topkGatingSoftmaxIDF16_Li8ELi8ELi8ELi16ELb0ELi8ELNS0_23SharedExpertScoringFuncE1EEEvPKT_PKbPfiPiS9_iiiiii: ; @_ZN4vllm3moe17topkGatingSoftmaxIDF16_Li8ELi8ELi8ELi16ELb0ELi8ELNS0_23SharedExpertScoringFuncE1EEEvPKT_PKbPfiPiS9_iiiiii
; %bb.0:
	s_load_dword s36, s[4:5], 0x18
	v_bfe_u32 v1, v0, 10, 10
	s_lshl_b32 s37, s6, 9
	v_lshlrev_b32_e32 v21, 6, v1
	v_and_b32_e32 v22, 0x3ff, v0
	v_add3_u32 v1, v21, v22, s37
	s_waitcnt lgkmcnt(0)
	v_cmp_gt_i32_e32 vcc, s36, v1
	s_and_saveexec_b64 s[0:1], vcc
	s_cbranch_execz .LBB145_19
; %bb.1:
	s_load_dwordx4 s[0:3], s[4:5], 0x0
	s_load_dwordx2 s[18:19], s[4:5], 0x10
	s_waitcnt lgkmcnt(0)
	s_cmp_eq_u64 s[2:3], 0
	s_cbranch_scc1 .LBB145_3
; %bb.2:
	v_ashrrev_i32_e32 v0, 31, v1
	v_mov_b32_e32 v3, s3
	v_add_co_u32_e32 v2, vcc, s2, v1
	v_addc_co_u32_e32 v3, vcc, v3, v0, vcc
	global_load_ubyte v0, v[2:3], off
	s_waitcnt vmcnt(0)
	v_and_b32_e32 v0, 1, v0
	v_cmp_eq_u32_e32 vcc, 1, v0
	s_xor_b64 s[2:3], vcc, -1
	s_orn2_b64 s[28:29], s[2:3], exec
	s_branch .LBB145_4
.LBB145_3:
	s_mov_b64 s[28:29], -1
.LBB145_4:
	s_load_dwordx2 s[14:15], s[4:5], 0x40
	s_load_dwordx4 s[20:23], s[4:5], 0x30
	v_mov_b32_e32 v0, s1
	v_mov_b32_e32 v4, s19
	s_mov_b32 s34, 0x3fb8aa3b
	s_waitcnt lgkmcnt(0)
	v_mul_lo_u32 v2, v1, s15
	v_ashrrev_i32_e32 v3, 31, v2
	v_lshlrev_b64 v[2:3], 1, v[2:3]
	v_add_co_u32_e32 v2, vcc, s0, v2
	v_addc_co_u32_e32 v3, vcc, v0, v3, vcc
	global_load_dwordx4 v[8:11], v[2:3], off
	global_load_dwordx4 v[12:15], v[2:3], off offset:16
	v_mul_lo_u32 v0, v1, s23
	v_add_u32_e32 v2, s20, v0
	v_ashrrev_i32_e32 v3, 31, v2
	v_lshlrev_b64 v[2:3], 2, v[2:3]
	v_add_co_u32_e32 v18, vcc, s18, v2
	v_addc_co_u32_e32 v19, vcc, v4, v3, vcc
	s_mov_b32 s2, 0x32a5705f
	s_mov_b32 s33, 0xc2ce8ed0
	;; [unrolled: 1-line block ×3, first 2 shown]
	v_mov_b32_e32 v20, 0x7f800000
	s_cmp_gt_i32 s20, 0
	s_cselect_b64 s[30:31], -1, 0
	s_cmp_lt_i32 s20, 1
	s_waitcnt vmcnt(1)
	v_cvt_f32_f16_e32 v2, v9
	s_waitcnt vmcnt(0)
	v_cvt_f32_f16_e64 v5, -v12
	v_cvt_f32_f16_sdwa v7, -v12 dst_sel:DWORD dst_unused:UNUSED_PAD src0_sel:WORD_1
	v_cvt_f32_f16_sdwa v3, v9 dst_sel:DWORD dst_unused:UNUSED_PAD src0_sel:WORD_1
	v_cvt_f32_f16_e64 v9, -v13
	v_cvt_f32_f16_sdwa v23, -v13 dst_sel:DWORD dst_unused:UNUSED_PAD src0_sel:WORD_1
	v_mul_f32_e32 v6, 0x3fb8aa3b, v5
	v_mul_f32_e32 v24, 0x3fb8aa3b, v7
	v_fma_mix_f32 v27, -v12, s34, -v6 op_sel_hi:[1,0,0]
	v_rndne_f32_e32 v28, v6
	v_mul_f32_e32 v25, 0x3fb8aa3b, v9
	v_fma_mix_f32 v29, -v12, s34, -v24 op_sel:[1,0,0] op_sel_hi:[1,0,0]
	v_rndne_f32_e32 v30, v24
	v_fma_mix_f32 v27, -v12, s2, v27 op_sel_hi:[1,0,0]
	v_sub_f32_e32 v6, v6, v28
	v_mul_f32_e32 v26, 0x3fb8aa3b, v23
	v_fma_mix_f32 v31, -v13, s34, -v25 op_sel_hi:[1,0,0]
	v_rndne_f32_e32 v32, v25
	v_fma_mix_f32 v12, -v12, s2, v29 op_sel:[1,0,0] op_sel_hi:[1,0,0]
	v_sub_f32_e32 v24, v24, v30
	v_add_f32_e32 v6, v6, v27
	v_fma_mix_f32 v33, -v13, s34, -v26 op_sel:[1,0,0] op_sel_hi:[1,0,0]
	v_rndne_f32_e32 v34, v26
	v_cvt_i32_f32_e32 v28, v28
	v_cvt_i32_f32_e32 v29, v30
	v_fma_mix_f32 v30, -v13, s2, v31 op_sel_hi:[1,0,0]
	v_sub_f32_e32 v25, v25, v32
	v_add_f32_e32 v12, v24, v12
	v_exp_f32_e32 v6, v6
	v_fma_mix_f32 v13, -v13, s2, v33 op_sel:[1,0,0] op_sel_hi:[1,0,0]
	v_sub_f32_e32 v26, v26, v34
	v_add_f32_e32 v24, v25, v30
	v_exp_f32_e32 v12, v12
	v_cvt_i32_f32_e32 v31, v32
	v_add_f32_e32 v13, v26, v13
	v_exp_f32_e32 v24, v24
	v_cvt_i32_f32_e32 v32, v34
	v_exp_f32_e32 v13, v13
	v_ldexp_f32 v6, v6, v28
	v_cmp_ngt_f32_e32 vcc, s33, v5
	v_ldexp_f32 v12, v12, v29
	v_cndmask_b32_e32 v6, 0, v6, vcc
	v_cmp_ngt_f32_e32 vcc, s33, v7
	v_ldexp_f32 v24, v24, v31
	v_cndmask_b32_e32 v12, 0, v12, vcc
	;; [unrolled: 3-line block ×3, first 2 shown]
	v_cmp_ngt_f32_e32 vcc, s33, v23
	v_cndmask_b32_e32 v13, 0, v13, vcc
	v_cmp_nlt_f32_e32 vcc, s35, v5
	v_cndmask_b32_e32 v6, v20, v6, vcc
	v_cmp_nlt_f32_e32 vcc, s35, v7
	v_cndmask_b32_e32 v7, v20, v12, vcc
	v_pk_add_f32 v[6:7], v[6:7], 1.0 op_sel_hi:[1,0]
	v_cmp_nlt_f32_e32 vcc, s35, v9
	v_div_scale_f32 v5, s[0:1], v7, v7, 1.0
	v_cndmask_b32_e32 v12, v20, v24, vcc
	v_cmp_nlt_f32_e32 vcc, s35, v23
	v_div_scale_f32 v23, s[0:1], v6, v6, 1.0
	v_rcp_f32_e32 v25, v5
	v_rcp_f32_e32 v26, v23
	v_cndmask_b32_e32 v13, v20, v13, vcc
	v_div_scale_f32 v9, vcc, 1.0, v7, 1.0
	v_fma_f32 v29, -v5, v25, 1.0
	v_fma_f32 v30, -v23, v26, 1.0
	v_fmac_f32_e32 v25, v29, v25
	v_pk_add_f32 v[12:13], v[12:13], 1.0 op_sel_hi:[1,0]
	v_div_scale_f32 v24, s[0:1], 1.0, v6, 1.0
	v_fmac_f32_e32 v26, v30, v26
	v_mul_f32_e32 v29, v9, v25
	v_div_scale_f32 v27, s[6:7], v13, v13, 1.0
	v_mul_f32_e32 v30, v24, v26
	v_fma_f32 v31, -v5, v29, v9
	v_rcp_f32_e32 v28, v27
	v_fma_f32 v32, -v23, v30, v24
	v_fmac_f32_e32 v29, v31, v25
	v_fmac_f32_e32 v30, v32, v26
	v_fma_f32 v5, -v5, v29, v9
	v_fma_f32 v9, -v23, v30, v24
	v_div_fmas_f32 v5, v5, v25, v29
	s_mov_b64 vcc, s[0:1]
	v_div_fixup_f32 v25, v5, v7, 1.0
	v_div_fmas_f32 v5, v9, v26, v30
	v_div_fixup_f32 v24, v5, v6, 1.0
	v_fma_f32 v5, -v27, v28, 1.0
	v_fmac_f32_e32 v28, v5, v28
	v_div_scale_f32 v5, vcc, 1.0, v13, 1.0
	v_mul_f32_e32 v6, v5, v28
	v_fma_f32 v7, -v27, v6, v5
	v_fmac_f32_e32 v6, v7, v28
	v_div_scale_f32 v7, s[0:1], v12, v12, 1.0
	v_rcp_f32_e32 v9, v7
	v_fma_f32 v5, -v27, v6, v5
	v_div_fmas_f32 v23, v5, v28, v6
	v_cvt_f32_f16_e64 v27, -v14
	v_fma_f32 v5, -v7, v9, 1.0
	v_fmac_f32_e32 v9, v5, v9
	v_div_scale_f32 v5, vcc, 1.0, v12, 1.0
	v_mul_f32_e32 v6, v5, v9
	v_fma_f32 v26, -v7, v6, v5
	v_fmac_f32_e32 v6, v26, v9
	v_fma_f32 v5, -v7, v6, v5
	v_cvt_f32_f16_sdwa v7, -v14 dst_sel:DWORD dst_unused:UNUSED_PAD src0_sel:WORD_1
	v_mul_f32_e32 v26, 0x3fb8aa3b, v27
	v_fma_mix_f32 v28, -v14, s34, -v26 op_sel_hi:[1,0,0]
	v_rndne_f32_e32 v29, v26
	v_fma_mix_f32 v28, -v14, s2, v28 op_sel_hi:[1,0,0]
	v_sub_f32_e32 v26, v26, v29
	v_add_f32_e32 v26, v26, v28
	v_cvt_i32_f32_e32 v28, v29
	v_mul_f32_e32 v29, 0x3fb8aa3b, v7
	v_fma_mix_f32 v30, -v14, s34, -v29 op_sel:[1,0,0] op_sel_hi:[1,0,0]
	v_fma_mix_f32 v14, -v14, s2, v30 op_sel:[1,0,0] op_sel_hi:[1,0,0]
	v_rndne_f32_e32 v30, v29
	v_exp_f32_e32 v26, v26
	v_sub_f32_e32 v29, v29, v30
	v_add_f32_e32 v14, v29, v14
	v_exp_f32_e32 v14, v14
	v_cvt_i32_f32_e32 v29, v30
	v_div_fmas_f32 v9, v5, v9, v6
	v_ldexp_f32 v6, v26, v28
	v_cmp_ngt_f32_e32 vcc, s33, v27
	v_cndmask_b32_e32 v6, 0, v6, vcc
	v_cmp_nlt_f32_e32 vcc, s35, v27
	v_ldexp_f32 v14, v14, v29
	v_cndmask_b32_e32 v6, v20, v6, vcc
	v_cmp_ngt_f32_e32 vcc, s33, v7
	v_cvt_f32_f16_e32 v4, v10
	v_cvt_f32_f16_sdwa v5, v10 dst_sel:DWORD dst_unused:UNUSED_PAD src0_sel:WORD_1
	v_cndmask_b32_e32 v10, 0, v14, vcc
	v_cmp_nlt_f32_e32 vcc, s35, v7
	v_cndmask_b32_e32 v7, v20, v10, vcc
	v_pk_add_f32 v[6:7], v[6:7], 1.0 op_sel_hi:[1,0]
	v_div_scale_f32 v10, s[0:1], v7, v7, 1.0
	v_rcp_f32_e32 v14, v10
	v_div_fixup_f32 v27, v23, v13, 1.0
	v_div_fixup_f32 v26, v9, v12, 1.0
	v_div_scale_f32 v23, s[0:1], v6, v6, 1.0
	v_fma_f32 v9, -v10, v14, 1.0
	global_store_dwordx4 v[18:19], v[24:27], off
	v_fmac_f32_e32 v14, v9, v14
	v_div_scale_f32 v9, vcc, 1.0, v7, 1.0
	v_rcp_f32_e32 v24, v23
	v_mul_f32_e32 v12, v9, v14
	v_fma_f32 v13, -v10, v12, v9
	v_fmac_f32_e32 v12, v13, v14
	v_fma_f32 v9, -v10, v12, v9
	v_fma_f32 v10, -v23, v24, 1.0
	v_fmac_f32_e32 v24, v10, v24
	v_cvt_f32_f16_e64 v10, -v15
	v_cvt_f32_f16_sdwa v25, -v15 dst_sel:DWORD dst_unused:UNUSED_PAD src0_sel:WORD_1
	v_div_fmas_f32 v9, v9, v14, v12
	v_div_scale_f32 v12, vcc, 1.0, v6, 1.0
	v_mul_f32_e32 v13, 0x3fb8aa3b, v10
	v_fma_mix_f32 v14, -v15, s34, -v13 op_sel_hi:[1,0,0]
	v_rndne_f32_e32 v29, v13
	v_fma_mix_f32 v14, -v15, s2, v14 op_sel_hi:[1,0,0]
	v_mul_f32_e32 v26, 0x3fb8aa3b, v25
	v_sub_f32_e32 v13, v13, v29
	v_fma_mix_f32 v27, -v15, s34, -v26 op_sel:[1,0,0] op_sel_hi:[1,0,0]
	v_add_f32_e32 v13, v13, v14
	v_fma_mix_f32 v15, -v15, s2, v27 op_sel:[1,0,0] op_sel_hi:[1,0,0]
	v_mul_f32_e32 v27, v12, v24
	v_exp_f32_e32 v14, v13
	v_cvt_i32_f32_e32 v29, v29
	v_fma_f32 v28, -v23, v27, v12
	v_fmac_f32_e32 v27, v28, v24
	v_div_fixup_f32 v13, v9, v7, 1.0
	v_fma_f32 v7, -v23, v27, v12
	v_rndne_f32_e32 v12, v26
	v_ldexp_f32 v9, v14, v29
	v_sub_f32_e32 v14, v26, v12
	v_add_f32_e32 v14, v14, v15
	v_exp_f32_e32 v15, v14
	v_cvt_i32_f32_e32 v12, v12
	v_cmp_ngt_f32_e64 s[0:1], s33, v10
	v_cndmask_b32_e64 v9, 0, v9, s[0:1]
	v_cmp_nlt_f32_e64 s[0:1], s35, v10
	v_cndmask_b32_e64 v14, v20, v9, s[0:1]
	v_ldexp_f32 v9, v15, v12
	v_cmp_ngt_f32_e64 s[0:1], s33, v25
	v_cndmask_b32_e64 v9, 0, v9, s[0:1]
	v_cmp_nlt_f32_e64 s[0:1], s35, v25
	v_cndmask_b32_e64 v15, v20, v9, s[0:1]
	v_pk_add_f32 v[14:15], v[14:15], 1.0 op_sel_hi:[1,0]
	v_div_scale_f32 v9, s[0:1], v15, v15, 1.0
	v_rcp_f32_e32 v10, v9
	v_div_fmas_f32 v7, v7, v24, v27
	v_div_fixup_f32 v12, v7, v6, 1.0
	v_cvt_f32_f16_e32 v16, v8
	v_fma_f32 v6, -v9, v10, 1.0
	v_fmac_f32_e32 v10, v6, v10
	v_div_scale_f32 v6, vcc, 1.0, v15, 1.0
	v_mul_f32_e32 v7, v6, v10
	v_fma_f32 v23, -v9, v7, v6
	v_fmac_f32_e32 v7, v23, v10
	v_div_scale_f32 v23, s[0:1], v14, v14, 1.0
	v_rcp_f32_e32 v24, v23
	v_fma_f32 v6, -v9, v7, v6
	v_div_fmas_f32 v7, v6, v10, v7
	v_cvt_f32_f16_sdwa v17, v8 dst_sel:DWORD dst_unused:UNUSED_PAD src0_sel:WORD_1
	v_fma_f32 v6, -v23, v24, 1.0
	v_fmac_f32_e32 v24, v6, v24
	v_div_scale_f32 v6, vcc, 1.0, v14, 1.0
	v_mul_f32_e32 v9, v6, v24
	v_fma_f32 v10, -v23, v9, v6
	v_fmac_f32_e32 v9, v10, v24
	v_fma_f32 v6, -v23, v9, v6
	v_div_fmas_f32 v9, v6, v24, v9
	v_cmp_lt_f16_sdwa vcc, v8, v8 src0_sel:DWORD src1_sel:WORD_1
	v_cndmask_b32_e32 v8, v16, v17, vcc
	v_cmp_lt_f32_e64 s[0:1], v8, v2
	v_cndmask_b32_e64 v8, v8, v2, s[0:1]
	v_cmp_lt_f32_e64 s[2:3], v8, v3
	v_cndmask_b32_e64 v8, v8, v3, s[2:3]
	v_cvt_f32_f16_e32 v6, v11
	v_cmp_lt_f32_e64 s[6:7], v8, v4
	v_cndmask_b32_e64 v8, v8, v4, s[6:7]
	v_div_fixup_f32 v15, v7, v15, 1.0
	v_cvt_f32_f16_sdwa v7, v11 dst_sel:DWORD dst_unused:UNUSED_PAD src0_sel:WORD_1
	v_cmp_lt_f32_e64 s[8:9], v8, v5
	v_cndmask_b32_e64 v8, v8, v5, s[8:9]
	v_cmp_lt_f32_e64 s[10:11], v8, v6
	v_cndmask_b32_e64 v8, v8, v6, s[10:11]
	v_cmp_lt_f32_e64 s[12:13], v8, v7
	v_div_fixup_f32 v14, v9, v14, 1.0
	v_mov_b32_e32 v9, 0
	v_cndmask_b32_e64 v8, v8, v7, s[12:13]
	global_store_dwordx4 v[18:19], v[12:15], off offset:16
	s_cbranch_scc1 .LBB145_8
; %bb.5:
	s_load_dwordx4 s[24:27], s[4:5], 0x20
	v_mul_lo_u32 v10, v1, s14
	v_ashrrev_i32_e32 v11, 31, v10
	v_lshlrev_b64 v[12:13], 2, v[10:11]
	v_sub_f32_e32 v23, v8, v8
	s_waitcnt lgkmcnt(0)
	v_mov_b32_e32 v9, s25
	v_add_co_u32_e64 v10, s[4:5], s24, v12
	v_addc_co_u32_e64 v11, s[4:5], v9, v13, s[4:5]
	v_cndmask_b32_e64 v9, 0, 1, vcc
	v_cndmask_b32_e64 v9, v9, 2, s[0:1]
	v_cndmask_b32_e64 v9, v9, 3, s[2:3]
	;; [unrolled: 1-line block ×6, first 2 shown]
	v_cmp_le_i32_e32 vcc, s21, v9
	v_cmp_gt_i32_e64 s[0:1], s22, v9
	s_and_b64 s[0:1], vcc, s[0:1]
	v_subrev_u32_e32 v14, s21, v9
	s_and_b64 vcc, s[28:29], s[0:1]
	v_cndmask_b32_e32 v14, 8, v14, vcc
	global_store_dword v[10:11], v14, off
	v_mul_lo_u32 v10, v1, s20
	v_ashrrev_i32_e32 v11, 31, v10
	v_lshlrev_b64 v[10:11], 2, v[10:11]
	v_mov_b32_e32 v15, s27
	v_add_co_u32_e32 v14, vcc, s26, v10
	v_addc_co_u32_e32 v15, vcc, v15, v11, vcc
	global_store_dword v[14:15], v1, off
	v_mul_f32_e32 v1, 0x3fb8aa3b, v23
	v_rndne_f32_e32 v14, v1
	v_sub_f32_e32 v15, v1, v14
	v_fma_f32 v1, v23, s34, -v1
	v_fmac_f32_e32 v1, 0x32a5705f, v23
	v_add_f32_e32 v1, v15, v1
	v_exp_f32_e32 v1, v1
	v_cvt_i32_f32_e32 v14, v14
	v_mov_b32_e32 v19, s19
	v_cmp_ngt_f32_e64 s[16:17], s33, v23
	v_cmp_ne_u32_e64 s[2:3], 6, v9
	v_ldexp_f32 v24, v1, v14
	v_ashrrev_i32_e32 v1, 31, v0
	v_lshlrev_b64 v[14:15], 2, v[0:1]
	v_add_co_u32_e32 v18, vcc, s18, v14
	v_addc_co_u32_e64 v19, s[0:1], v19, v15, vcc
	v_mov_b32_e32 v1, 0xff800000
	v_cmp_ne_u32_e64 s[0:1], 7, v9
	v_cmp_ne_u32_e64 s[4:5], 5, v9
	;; [unrolled: 1-line block ×7, first 2 shown]
	v_cndmask_b32_e64 v9, 0, v24, s[16:17]
	v_cmp_nlt_f32_e64 s[16:17], s35, v23
	v_cndmask_b32_e64 v9, v20, v9, s[16:17]
	v_cndmask_b32_e64 v7, v1, v7, s[0:1]
	v_cndmask_b32_e64 v6, v1, v6, s[2:3]
	v_cndmask_b32_e64 v5, v1, v5, s[4:5]
	v_cndmask_b32_e64 v4, v1, v4, s[6:7]
	v_cndmask_b32_e64 v3, v1, v3, s[8:9]
	v_cndmask_b32_e64 v2, v1, v2, s[10:11]
	v_cndmask_b32_e64 v17, v1, v17, s[12:13]
	s_cmp_eq_u32 s20, 1
	v_cndmask_b32_e64 v16, v1, v16, s[14:15]
	global_store_dword v[18:19], v9, off
	s_cbranch_scc1 .LBB145_8
; %bb.6:
	v_mov_b32_e32 v14, s27
	v_add_co_u32_e64 v10, s[0:1], s26, v10
	v_addc_co_u32_e64 v11, s[0:1], v11, v14, s[0:1]
	v_add_co_u32_e64 v10, s[0:1], 4, v10
	v_addc_co_u32_e64 v11, s[0:1], 0, v11, s[0:1]
	v_mov_b32_e32 v14, s25
	v_add_co_u32_e64 v12, s[0:1], s24, v12
	v_addc_co_u32_e64 v13, s[0:1], v13, v14, s[0:1]
	v_mov_b32_e32 v14, s19
	v_addc_co_u32_e32 v15, vcc, v15, v14, vcc
	v_add_co_u32_e64 v12, s[0:1], 4, v12
	v_add_co_u32_e32 v14, vcc, 4, v18
	s_add_i32 s37, s37, s36
	v_addc_co_u32_e64 v13, s[0:1], 0, v13, s[0:1]
	v_addc_co_u32_e32 v15, vcc, 0, v15, vcc
	s_add_i32 s23, s20, -1
	v_add3_u32 v18, s37, v22, v21
	s_mov_b32 s24, 0x3fb8aa3b
	s_mov_b32 s25, 0xc2ce8ed0
	;; [unrolled: 1-line block ×3, first 2 shown]
	v_mov_b32_e32 v19, 0x7f800000
.LBB145_7:                              ; =>This Inner Loop Header: Depth=1
	v_cmp_gt_f32_e32 vcc, v17, v16
	v_cndmask_b32_e32 v21, v16, v17, vcc
	v_cmp_gt_f32_e64 s[0:1], v2, v21
	v_cndmask_b32_e64 v21, v21, v2, s[0:1]
	v_cmp_gt_f32_e64 s[2:3], v3, v21
	v_cndmask_b32_e64 v21, v21, v3, s[2:3]
	;; [unrolled: 2-line block ×6, first 2 shown]
	v_sub_f32_e32 v21, v21, v8
	v_mul_f32_e32 v22, 0x3fb8aa3b, v21
	v_fma_f32 v23, v21, s24, -v22
	v_rndne_f32_e32 v24, v22
	v_fmac_f32_e32 v23, 0x32a5705f, v21
	v_sub_f32_e32 v22, v22, v24
	v_add_f32_e32 v22, v22, v23
	v_cndmask_b32_e64 v23, 0, 1, vcc
	v_cndmask_b32_e64 v23, v23, 2, s[0:1]
	v_cndmask_b32_e64 v23, v23, 3, s[2:3]
	;; [unrolled: 1-line block ×6, first 2 shown]
	v_cmp_le_i32_e32 vcc, s21, v23
	v_cmp_gt_i32_e64 s[0:1], s22, v23
	s_and_b64 s[0:1], vcc, s[0:1]
	v_cmp_ne_u32_e64 s[2:3], 7, v23
	v_cmp_ne_u32_e64 s[4:5], 6, v23
	;; [unrolled: 1-line block ×8, first 2 shown]
	v_subrev_u32_e32 v23, s21, v23
	s_and_b64 vcc, s[28:29], s[0:1]
	v_cndmask_b32_e32 v23, 8, v23, vcc
	global_store_dword v[12:13], v23, off
	v_cvt_i32_f32_e32 v23, v24
	v_exp_f32_e32 v22, v22
	v_cmp_ngt_f32_e32 vcc, s25, v21
	global_store_dword v[10:11], v18, off
	s_add_i32 s23, s23, -1
	v_ldexp_f32 v22, v22, v23
	v_cndmask_b32_e32 v22, 0, v22, vcc
	v_cmp_nlt_f32_e32 vcc, s26, v21
	v_cndmask_b32_e32 v21, v19, v22, vcc
	v_add_co_u32_e32 v10, vcc, 4, v10
	v_addc_co_u32_e32 v11, vcc, 0, v11, vcc
	v_add_co_u32_e32 v12, vcc, 4, v12
	v_addc_co_u32_e32 v13, vcc, 0, v13, vcc
	global_store_dword v[14:15], v21, off
	v_add_co_u32_e32 v14, vcc, 4, v14
	v_add_f32_e32 v9, v9, v21
	v_cndmask_b32_e64 v7, v1, v7, s[2:3]
	v_cndmask_b32_e64 v6, v1, v6, s[4:5]
	;; [unrolled: 1-line block ×8, first 2 shown]
	v_add_u32_e32 v18, s36, v18
	s_cmp_eq_u32 s23, 0
	v_addc_co_u32_e32 v15, vcc, 0, v15, vcc
	s_cbranch_scc0 .LBB145_7
.LBB145_8:
	v_pk_add_f32 v[10:11], v[16:17], v[8:9] op_sel_hi:[1,0] neg_lo:[0,1] neg_hi:[0,1]
	v_mul_f32_e32 v1, 0x3fb8aa3b, v11
	v_fma_f32 v12, v11, s34, -v1
	v_rndne_f32_e32 v13, v1
	v_fmac_f32_e32 v12, 0x32a5705f, v11
	v_sub_f32_e32 v1, v1, v13
	v_add_f32_e32 v1, v1, v12
	v_cvt_i32_f32_e32 v12, v13
	v_exp_f32_e32 v1, v1
	v_cmp_ngt_f32_e32 vcc, s33, v11
	v_sub_f32_e32 v2, v2, v8
	v_sub_f32_e32 v3, v3, v8
	v_ldexp_f32 v1, v1, v12
	v_mul_f32_e32 v12, 0x3fb8aa3b, v10
	v_fma_f32 v13, v10, s34, -v12
	v_rndne_f32_e32 v14, v12
	v_fmac_f32_e32 v13, 0x32a5705f, v10
	v_sub_f32_e32 v12, v12, v14
	v_add_f32_e32 v12, v12, v13
	v_exp_f32_e32 v12, v12
	v_cvt_i32_f32_e32 v13, v14
	v_cndmask_b32_e32 v1, 0, v1, vcc
	v_cmp_nlt_f32_e32 vcc, s35, v11
	v_cndmask_b32_e32 v1, v20, v1, vcc
	v_ldexp_f32 v11, v12, v13
	v_mul_f32_e32 v12, 0x3fb8aa3b, v2
	v_fma_f32 v13, v2, s34, -v12
	v_rndne_f32_e32 v14, v12
	v_fmac_f32_e32 v13, 0x32a5705f, v2
	v_sub_f32_e32 v12, v12, v14
	v_add_f32_e32 v12, v12, v13
	v_exp_f32_e32 v12, v12
	v_cvt_i32_f32_e32 v13, v14
	v_cmp_ngt_f32_e32 vcc, s33, v10
	v_cndmask_b32_e32 v11, 0, v11, vcc
	v_cmp_nlt_f32_e32 vcc, s35, v10
	v_cndmask_b32_e32 v10, v20, v11, vcc
	v_mul_f32_e32 v11, 0x3fb8aa3b, v3
	v_add_f32_e32 v1, v10, v1
	v_ldexp_f32 v10, v12, v13
	v_fma_f32 v12, v3, s34, -v11
	v_rndne_f32_e32 v13, v11
	v_fmac_f32_e32 v12, 0x32a5705f, v3
	v_sub_f32_e32 v11, v11, v13
	v_add_f32_e32 v11, v11, v12
	v_exp_f32_e32 v11, v11
	v_cvt_i32_f32_e32 v12, v13
	v_cmp_ngt_f32_e32 vcc, s33, v2
	v_cndmask_b32_e32 v10, 0, v10, vcc
	v_cmp_nlt_f32_e32 vcc, s35, v2
	v_sub_f32_e32 v4, v4, v8
	v_cndmask_b32_e32 v2, v20, v10, vcc
	v_mul_f32_e32 v10, 0x3fb8aa3b, v4
	v_add_f32_e32 v1, v1, v2
	v_ldexp_f32 v2, v11, v12
	v_fma_f32 v11, v4, s34, -v10
	v_rndne_f32_e32 v12, v10
	v_fmac_f32_e32 v11, 0x32a5705f, v4
	v_sub_f32_e32 v10, v10, v12
	v_add_f32_e32 v10, v10, v11
	v_exp_f32_e32 v10, v10
	v_cvt_i32_f32_e32 v11, v12
	v_cmp_ngt_f32_e32 vcc, s33, v3
	v_cndmask_b32_e32 v2, 0, v2, vcc
	v_cmp_nlt_f32_e32 vcc, s35, v3
	v_sub_f32_e32 v3, v5, v8
	v_cndmask_b32_e32 v2, v20, v2, vcc
	v_mul_f32_e32 v5, 0x3fb8aa3b, v3
	v_add_f32_e32 v1, v1, v2
	v_ldexp_f32 v2, v10, v11
	v_fma_f32 v10, v3, s34, -v5
	v_rndne_f32_e32 v11, v5
	v_fmac_f32_e32 v10, 0x32a5705f, v3
	v_sub_f32_e32 v5, v5, v11
	v_add_f32_e32 v5, v5, v10
	v_exp_f32_e32 v5, v5
	v_cvt_i32_f32_e32 v10, v11
	v_cmp_ngt_f32_e32 vcc, s33, v4
	v_cndmask_b32_e32 v2, 0, v2, vcc
	v_cmp_nlt_f32_e32 vcc, s35, v4
	v_cndmask_b32_e32 v2, v20, v2, vcc
	v_sub_f32_e32 v4, v6, v8
	v_add_f32_e32 v1, v1, v2
	v_ldexp_f32 v2, v5, v10
	v_mul_f32_e32 v5, 0x3fb8aa3b, v4
	v_fma_f32 v6, v4, s34, -v5
	v_rndne_f32_e32 v10, v5
	v_fmac_f32_e32 v6, 0x32a5705f, v4
	v_sub_f32_e32 v5, v5, v10
	v_add_f32_e32 v5, v5, v6
	v_exp_f32_e32 v5, v5
	v_cvt_i32_f32_e32 v6, v10
	v_cmp_ngt_f32_e32 vcc, s33, v3
	v_cndmask_b32_e32 v2, 0, v2, vcc
	v_cmp_nlt_f32_e32 vcc, s35, v3
	v_cndmask_b32_e32 v2, v20, v2, vcc
	v_sub_f32_e32 v3, v7, v8
	v_add_f32_e32 v1, v1, v2
	v_ldexp_f32 v2, v5, v6
	v_mul_f32_e32 v5, 0x3fb8aa3b, v3
	v_fma_f32 v6, v3, s34, -v5
	v_rndne_f32_e32 v7, v5
	v_fmac_f32_e32 v6, 0x32a5705f, v3
	v_sub_f32_e32 v5, v5, v7
	v_add_f32_e32 v5, v5, v6
	v_exp_f32_e32 v5, v5
	v_cvt_i32_f32_e32 v6, v7
	v_cmp_ngt_f32_e32 vcc, s33, v4
	v_cndmask_b32_e32 v2, 0, v2, vcc
	v_cmp_nlt_f32_e32 vcc, s35, v4
	v_cndmask_b32_e32 v2, v20, v2, vcc
	v_add_f32_e32 v1, v1, v2
	v_ldexp_f32 v2, v5, v6
	v_cmp_ngt_f32_e32 vcc, s33, v3
	v_cndmask_b32_e32 v2, 0, v2, vcc
	v_cmp_nlt_f32_e32 vcc, s35, v3
	v_cndmask_b32_e32 v2, v20, v2, vcc
	v_add_f32_e32 v1, v1, v2
	v_add_f32_e32 v1, v9, v1
	v_cmp_neq_f32_e32 vcc, 0, v1
	s_and_b64 exec, exec, vcc
	s_cbranch_execz .LBB145_19
; %bb.9:
	s_andn2_b64 vcc, exec, s[30:31]
	s_cbranch_vccnz .LBB145_19
; %bb.10:
	v_div_scale_f32 v2, s[0:1], v1, v1, 1.0
	v_rcp_f32_e32 v3, v2
	v_div_scale_f32 v4, vcc, 1.0, v1, 1.0
	s_cmp_gt_u32 s20, 3
	v_fma_f32 v5, -v2, v3, 1.0
	v_fmac_f32_e32 v3, v5, v3
	v_mul_f32_e32 v5, v4, v3
	v_fma_f32 v6, -v2, v5, v4
	v_fmac_f32_e32 v5, v6, v3
	v_fma_f32 v2, -v2, v5, v4
	v_div_fmas_f32 v2, v2, v3, v5
	v_div_fixup_f32 v2, v2, v1, 1.0
	v_ashrrev_i32_e32 v1, 31, v0
	s_cbranch_scc0 .LBB145_14
; %bb.11:
	v_lshlrev_b64 v[4:5], 2, v[0:1]
	v_mov_b32_e32 v6, s19
	v_add_co_u32_e32 v4, vcc, s18, v4
	v_addc_co_u32_e32 v5, vcc, v5, v6, vcc
	s_and_b32 s4, s20, 0x7ffffffc
	v_add_co_u32_e32 v4, vcc, 8, v4
	v_mov_b32_e32 v3, v2
	v_addc_co_u32_e32 v5, vcc, 0, v5, vcc
	s_mov_b32 s0, s4
.LBB145_12:                             ; =>This Inner Loop Header: Depth=1
	global_load_dwordx4 v[6:9], v[4:5], off offset:-8
	s_add_i32 s0, s0, -4
	s_cmp_lg_u32 s0, 0
	s_waitcnt vmcnt(0)
	v_pk_mul_f32 v[6:7], v[2:3], v[6:7]
	v_pk_mul_f32 v[8:9], v[2:3], v[8:9]
	global_store_dwordx4 v[4:5], v[6:9], off offset:-8
	v_add_co_u32_e32 v4, vcc, 16, v4
	v_addc_co_u32_e32 v5, vcc, 0, v5, vcc
	s_cbranch_scc1 .LBB145_12
; %bb.13:
	s_cmp_lg_u32 s4, s20
	s_cselect_b64 s[0:1], -1, 0
	s_branch .LBB145_16
.LBB145_14:
	s_mov_b64 s[0:1], 0
                                        ; implicit-def: $sgpr4
	s_cbranch_execz .LBB145_16
; %bb.15:
	s_mov_b64 s[0:1], -1
	s_mov_b32 s4, 0
.LBB145_16:
	s_andn2_b64 vcc, exec, s[0:1]
	s_cbranch_vccnz .LBB145_19
; %bb.17:
	v_add_co_u32_e32 v0, vcc, s4, v0
	v_addc_co_u32_e32 v1, vcc, 0, v1, vcc
	v_lshlrev_b64 v[0:1], 2, v[0:1]
	v_mov_b32_e32 v3, s19
	v_add_co_u32_e32 v0, vcc, s18, v0
	s_sub_i32 s0, s20, s4
	v_addc_co_u32_e32 v1, vcc, v3, v1, vcc
.LBB145_18:                             ; =>This Inner Loop Header: Depth=1
	global_load_dword v3, v[0:1], off
	s_add_i32 s0, s0, -1
	s_cmp_lg_u32 s0, 0
	s_waitcnt vmcnt(0)
	v_mul_f32_e32 v3, v2, v3
	global_store_dword v[0:1], v3, off
	v_add_co_u32_e32 v0, vcc, 4, v0
	v_addc_co_u32_e32 v1, vcc, 0, v1, vcc
	s_cbranch_scc1 .LBB145_18
.LBB145_19:
	s_endpgm
	.section	.rodata,"a",@progbits
	.p2align	6, 0x0
	.amdhsa_kernel _ZN4vllm3moe17topkGatingSoftmaxIDF16_Li8ELi8ELi8ELi16ELb0ELi8ELNS0_23SharedExpertScoringFuncE1EEEvPKT_PKbPfiPiS9_iiiiii
		.amdhsa_group_segment_fixed_size 0
		.amdhsa_private_segment_fixed_size 0
		.amdhsa_kernarg_size 72
		.amdhsa_user_sgpr_count 6
		.amdhsa_user_sgpr_private_segment_buffer 1
		.amdhsa_user_sgpr_dispatch_ptr 0
		.amdhsa_user_sgpr_queue_ptr 0
		.amdhsa_user_sgpr_kernarg_segment_ptr 1
		.amdhsa_user_sgpr_dispatch_id 0
		.amdhsa_user_sgpr_flat_scratch_init 0
		.amdhsa_user_sgpr_kernarg_preload_length 0
		.amdhsa_user_sgpr_kernarg_preload_offset 0
		.amdhsa_user_sgpr_private_segment_size 0
		.amdhsa_uses_dynamic_stack 0
		.amdhsa_system_sgpr_private_segment_wavefront_offset 0
		.amdhsa_system_sgpr_workgroup_id_x 1
		.amdhsa_system_sgpr_workgroup_id_y 0
		.amdhsa_system_sgpr_workgroup_id_z 0
		.amdhsa_system_sgpr_workgroup_info 0
		.amdhsa_system_vgpr_workitem_id 1
		.amdhsa_next_free_vgpr 35
		.amdhsa_next_free_sgpr 38
		.amdhsa_accum_offset 36
		.amdhsa_reserve_vcc 1
		.amdhsa_reserve_flat_scratch 0
		.amdhsa_float_round_mode_32 0
		.amdhsa_float_round_mode_16_64 0
		.amdhsa_float_denorm_mode_32 3
		.amdhsa_float_denorm_mode_16_64 3
		.amdhsa_dx10_clamp 1
		.amdhsa_ieee_mode 1
		.amdhsa_fp16_overflow 0
		.amdhsa_tg_split 0
		.amdhsa_exception_fp_ieee_invalid_op 0
		.amdhsa_exception_fp_denorm_src 0
		.amdhsa_exception_fp_ieee_div_zero 0
		.amdhsa_exception_fp_ieee_overflow 0
		.amdhsa_exception_fp_ieee_underflow 0
		.amdhsa_exception_fp_ieee_inexact 0
		.amdhsa_exception_int_div_zero 0
	.end_amdhsa_kernel
	.section	.text._ZN4vllm3moe17topkGatingSoftmaxIDF16_Li8ELi8ELi8ELi16ELb0ELi8ELNS0_23SharedExpertScoringFuncE1EEEvPKT_PKbPfiPiS9_iiiiii,"axG",@progbits,_ZN4vllm3moe17topkGatingSoftmaxIDF16_Li8ELi8ELi8ELi16ELb0ELi8ELNS0_23SharedExpertScoringFuncE1EEEvPKT_PKbPfiPiS9_iiiiii,comdat
.Lfunc_end145:
	.size	_ZN4vllm3moe17topkGatingSoftmaxIDF16_Li8ELi8ELi8ELi16ELb0ELi8ELNS0_23SharedExpertScoringFuncE1EEEvPKT_PKbPfiPiS9_iiiiii, .Lfunc_end145-_ZN4vllm3moe17topkGatingSoftmaxIDF16_Li8ELi8ELi8ELi16ELb0ELi8ELNS0_23SharedExpertScoringFuncE1EEEvPKT_PKbPfiPiS9_iiiiii
                                        ; -- End function
	.section	.AMDGPU.csdata,"",@progbits
; Kernel info:
; codeLenInByte = 3704
; NumSgprs: 42
; NumVgprs: 35
; NumAgprs: 0
; TotalNumVgprs: 35
; ScratchSize: 0
; MemoryBound: 0
; FloatMode: 240
; IeeeMode: 1
; LDSByteSize: 0 bytes/workgroup (compile time only)
; SGPRBlocks: 5
; VGPRBlocks: 4
; NumSGPRsForWavesPerEU: 42
; NumVGPRsForWavesPerEU: 35
; AccumOffset: 36
; Occupancy: 8
; WaveLimiterHint : 0
; COMPUTE_PGM_RSRC2:SCRATCH_EN: 0
; COMPUTE_PGM_RSRC2:USER_SGPR: 6
; COMPUTE_PGM_RSRC2:TRAP_HANDLER: 0
; COMPUTE_PGM_RSRC2:TGID_X_EN: 1
; COMPUTE_PGM_RSRC2:TGID_Y_EN: 0
; COMPUTE_PGM_RSRC2:TGID_Z_EN: 0
; COMPUTE_PGM_RSRC2:TIDIG_COMP_CNT: 1
; COMPUTE_PGM_RSRC3_GFX90A:ACCUM_OFFSET: 8
; COMPUTE_PGM_RSRC3_GFX90A:TG_SPLIT: 0
	.section	.text._ZN4vllm3moe17topkGatingSoftmaxIDF16_Li16ELi16ELi8ELi32ELb1ELi0ELNS0_23SharedExpertScoringFuncE0EEEvPKT_PKbPfiPiS9_iiiiii,"axG",@progbits,_ZN4vllm3moe17topkGatingSoftmaxIDF16_Li16ELi16ELi8ELi32ELb1ELi0ELNS0_23SharedExpertScoringFuncE0EEEvPKT_PKbPfiPiS9_iiiiii,comdat
	.protected	_ZN4vllm3moe17topkGatingSoftmaxIDF16_Li16ELi16ELi8ELi32ELb1ELi0ELNS0_23SharedExpertScoringFuncE0EEEvPKT_PKbPfiPiS9_iiiiii ; -- Begin function _ZN4vllm3moe17topkGatingSoftmaxIDF16_Li16ELi16ELi8ELi32ELb1ELi0ELNS0_23SharedExpertScoringFuncE0EEEvPKT_PKbPfiPiS9_iiiiii
	.globl	_ZN4vllm3moe17topkGatingSoftmaxIDF16_Li16ELi16ELi8ELi32ELb1ELi0ELNS0_23SharedExpertScoringFuncE0EEEvPKT_PKbPfiPiS9_iiiiii
	.p2align	8
	.type	_ZN4vllm3moe17topkGatingSoftmaxIDF16_Li16ELi16ELi8ELi32ELb1ELi0ELNS0_23SharedExpertScoringFuncE0EEEvPKT_PKbPfiPiS9_iiiiii,@function
_ZN4vllm3moe17topkGatingSoftmaxIDF16_Li16ELi16ELi8ELi32ELb1ELi0ELNS0_23SharedExpertScoringFuncE0EEEvPKT_PKbPfiPiS9_iiiiii: ; @_ZN4vllm3moe17topkGatingSoftmaxIDF16_Li16ELi16ELi8ELi32ELb1ELi0ELNS0_23SharedExpertScoringFuncE0EEEvPKT_PKbPfiPiS9_iiiiii
; %bb.0:
	s_load_dword s33, s[4:5], 0x18
	v_bfe_u32 v1, v0, 10, 10
	s_lshl_b32 s34, s6, 9
	v_lshlrev_b32_e32 v8, 6, v1
	v_and_b32_e32 v9, 0x3ff, v0
	v_add3_u32 v22, v8, v9, s34
	s_waitcnt lgkmcnt(0)
	v_cmp_gt_i32_e32 vcc, s33, v22
	s_and_saveexec_b64 s[0:1], vcc
	s_cbranch_execz .LBB146_20
; %bb.1:
	s_load_dwordx4 s[0:3], s[4:5], 0x0
	s_load_dwordx2 s[40:41], s[4:5], 0x10
	s_waitcnt lgkmcnt(0)
	s_cmp_eq_u64 s[2:3], 0
	s_cbranch_scc1 .LBB146_3
; %bb.2:
	v_ashrrev_i32_e32 v1, 31, v22
	v_mov_b32_e32 v2, s3
	v_add_co_u32_e32 v0, vcc, s2, v22
	v_addc_co_u32_e32 v1, vcc, v2, v1, vcc
	global_load_ubyte v0, v[0:1], off
	s_waitcnt vmcnt(0)
	v_and_b32_e32 v0, 1, v0
	v_cmp_eq_u32_e32 vcc, 1, v0
	s_xor_b64 s[2:3], vcc, -1
	s_orn2_b64 s[44:45], s[2:3], exec
	s_branch .LBB146_4
.LBB146_3:
	s_mov_b64 s[44:45], -1
.LBB146_4:
	s_load_dwordx4 s[36:39], s[4:5], 0x30
	s_waitcnt lgkmcnt(0)
	s_cmp_gt_i32 s36, 0
	s_cselect_b64 s[42:43], -1, 0
	s_cmp_lt_i32 s36, 1
	s_cbranch_scc1 .LBB146_9
; %bb.5:
	s_load_dwordx2 s[2:3], s[4:5], 0x40
	s_load_dwordx4 s[28:31], s[4:5], 0x20
	v_mov_b32_e32 v2, s1
	v_mov_b32_e32 v6, s41
	s_mov_b32 s46, 0x3fb8aa3b
	s_waitcnt lgkmcnt(0)
	v_mul_lo_u32 v0, v22, s3
	v_ashrrev_i32_e32 v1, 31, v0
	v_lshlrev_b64 v[0:1], 1, v[0:1]
	v_add_co_u32_e32 v0, vcc, s0, v0
	v_addc_co_u32_e32 v1, vcc, v2, v1, vcc
	global_load_dwordx4 v[16:19], v[0:1], off
	global_load_dwordx4 v[12:15], v[0:1], off offset:16
	v_mul_lo_u32 v0, v22, s39
	v_mul_lo_u32 v2, v22, s36
	v_ashrrev_i32_e32 v1, 31, v0
	v_ashrrev_i32_e32 v3, 31, v2
	v_lshlrev_b64 v[0:1], 2, v[0:1]
	v_lshlrev_b64 v[4:5], 2, v[2:3]
	v_add_co_u32_e32 v2, vcc, s40, v0
	v_addc_co_u32_e64 v3, s[0:1], v6, v1, vcc
	v_mul_lo_u32 v6, v22, s2
	v_mov_b32_e32 v10, s31
	v_ashrrev_i32_e32 v7, 31, v6
	v_add_co_u32_e64 v20, s[0:1], s30, v4
	v_addc_co_u32_e64 v21, s[0:1], v10, v5, s[0:1]
	v_lshlrev_b64 v[6:7], 2, v[6:7]
	v_mov_b32_e32 v0, s29
	v_add_co_u32_e64 v26, s[0:1], s28, v6
	v_addc_co_u32_e64 v27, s[0:1], v0, v7, s[0:1]
	s_mov_b32 s47, 0xc2ce8ed0
	s_mov_b32 s48, 0x42b17218
	v_mov_b32_e32 v23, 0x7f800000
	s_waitcnt vmcnt(1)
	v_cvt_f32_f16_e32 v0, v16
	v_cvt_f32_f16_sdwa v28, v16 dst_sel:DWORD dst_unused:UNUSED_PAD src0_sel:WORD_1
	v_cvt_f32_f16_e32 v29, v17
	v_cvt_f32_f16_sdwa v30, v17 dst_sel:DWORD dst_unused:UNUSED_PAD src0_sel:WORD_1
	v_cmp_lt_f16_sdwa s[0:1], v16, v16 src0_sel:DWORD src1_sel:WORD_1
	v_cndmask_b32_e64 v17, v0, v28, s[0:1]
	v_cvt_f32_f16_e32 v31, v18
	v_cndmask_b32_e64 v16, 0, 1, s[0:1]
	v_cmp_lt_f32_e64 s[0:1], v17, v29
	v_cndmask_b32_e64 v17, v17, v29, s[0:1]
	v_cvt_f32_f16_sdwa v32, v18 dst_sel:DWORD dst_unused:UNUSED_PAD src0_sel:WORD_1
	v_cndmask_b32_e64 v16, v16, 2, s[0:1]
	v_cmp_lt_f32_e64 s[0:1], v17, v30
	v_cndmask_b32_e64 v17, v17, v30, s[0:1]
	v_cvt_f32_f16_e32 v33, v19
	v_cndmask_b32_e64 v16, v16, 3, s[0:1]
	v_cmp_lt_f32_e64 s[0:1], v17, v31
	v_cndmask_b32_e64 v17, v17, v31, s[0:1]
	v_cvt_f32_f16_sdwa v34, v19 dst_sel:DWORD dst_unused:UNUSED_PAD src0_sel:WORD_1
	v_cndmask_b32_e64 v16, v16, 4, s[0:1]
	v_cmp_lt_f32_e64 s[0:1], v17, v32
	v_cndmask_b32_e64 v17, v17, v32, s[0:1]
	s_waitcnt vmcnt(0)
	v_cvt_f32_f16_e32 v35, v12
	v_cndmask_b32_e64 v16, v16, 5, s[0:1]
	v_cmp_lt_f32_e64 s[0:1], v17, v33
	v_cndmask_b32_e64 v17, v17, v33, s[0:1]
	v_cvt_f32_f16_sdwa v36, v12 dst_sel:DWORD dst_unused:UNUSED_PAD src0_sel:WORD_1
	v_cndmask_b32_e64 v16, v16, 6, s[0:1]
	v_cmp_lt_f32_e64 s[0:1], v17, v34
	v_cndmask_b32_e64 v17, v17, v34, s[0:1]
	v_cvt_f32_f16_e32 v10, v13
	v_cndmask_b32_e64 v16, v16, 7, s[0:1]
	v_cmp_lt_f32_e64 s[0:1], v17, v35
	v_cndmask_b32_e64 v17, v17, v35, s[0:1]
	v_cvt_f32_f16_sdwa v11, v13 dst_sel:DWORD dst_unused:UNUSED_PAD src0_sel:WORD_1
	v_cndmask_b32_e64 v16, v16, 8, s[0:1]
	v_cmp_lt_f32_e64 s[0:1], v17, v36
	v_cndmask_b32_e64 v17, v17, v36, s[0:1]
	;; [unrolled: 8-line block ×4, first 2 shown]
	v_cndmask_b32_e64 v16, v16, 13, s[0:1]
	v_cmp_lt_f32_e64 s[0:1], v17, v14
	v_cndmask_b32_e64 v17, v17, v14, s[0:1]
	v_cndmask_b32_e64 v16, v16, 14, s[0:1]
	v_cmp_lt_f32_e64 s[0:1], v17, v15
	v_cndmask_b32_e64 v25, v17, v15, s[0:1]
	v_sub_f32_e32 v17, v25, v25
	v_mul_f32_e32 v18, 0x3fb8aa3b, v17
	v_fma_f32 v19, v17, s46, -v18
	v_rndne_f32_e32 v24, v18
	v_fmac_f32_e32 v19, 0x32a5705f, v17
	v_sub_f32_e32 v18, v18, v24
	v_cndmask_b32_e64 v37, v16, 15, s[0:1]
	v_add_f32_e32 v18, v18, v19
	v_cmp_le_i32_e64 s[0:1], s37, v37
	v_cmp_gt_i32_e64 s[2:3], s38, v37
	v_cvt_i32_f32_e32 v24, v24
	v_exp_f32_e32 v18, v18
	s_and_b64 s[0:1], s[0:1], s[2:3]
	v_subrev_u32_e32 v16, s37, v37
	s_and_b64 s[0:1], s[44:45], s[0:1]
	v_cndmask_b32_e64 v16, 16, v16, s[0:1]
	global_store_dword v[26:27], v16, off
	v_ldexp_f32 v16, v18, v24
	v_cmp_ngt_f32_e64 s[0:1], s47, v17
	v_cndmask_b32_e64 v16, 0, v16, s[0:1]
	v_cmp_nlt_f32_e64 s[0:1], s48, v17
	s_cmp_eq_u32 s36, 1
	v_cndmask_b32_e64 v24, v23, v16, s[0:1]
	global_store_dword v[2:3], v24, off
	global_store_dword v[20:21], v22, off
	s_cbranch_scc1 .LBB146_8
; %bb.6:
	v_mov_b32_e32 v3, s31
	v_add_co_u32_e64 v4, s[26:27], s30, v4
	v_addc_co_u32_e64 v3, s[26:27], v5, v3, s[26:27]
	v_add_co_u32_e64 v16, s[26:27], 4, v4
	v_addc_co_u32_e64 v17, s[26:27], 0, v3, s[26:27]
	v_mov_b32_e32 v3, s29
	v_add_co_u32_e64 v4, s[26:27], s28, v6
	v_addc_co_u32_e64 v3, s[26:27], v7, v3, s[26:27]
	v_add_co_u32_e64 v18, s[26:27], 4, v4
	v_addc_co_u32_e64 v19, s[26:27], 0, v3, s[26:27]
	v_mov_b32_e32 v3, s41
	v_addc_co_u32_e32 v1, vcc, v1, v3, vcc
	v_mov_b32_e32 v26, 0xff800000
	v_cmp_ne_u32_e64 s[0:1], 15, v37
	v_add_co_u32_e32 v20, vcc, 4, v2
	v_cndmask_b32_e64 v15, v26, v15, s[0:1]
	v_cmp_ne_u32_e64 s[0:1], 14, v37
	v_addc_co_u32_e32 v21, vcc, 0, v1, vcc
	v_cndmask_b32_e64 v14, v26, v14, s[0:1]
	v_cmp_ne_u32_e64 s[0:1], 12, v37
	v_cmp_ne_u32_e64 s[2:3], 11, v37
	;; [unrolled: 1-line block ×13, first 2 shown]
	s_add_i32 s34, s34, s33
	v_cmp_ne_u32_e32 vcc, 13, v37
	s_add_i32 s49, s36, -1
	v_add3_u32 v27, s34, v9, v8
	v_cndmask_b32_e32 v13, v26, v13, vcc
	v_cndmask_b32_e64 v12, v26, v12, s[0:1]
	v_cndmask_b32_e64 v11, v26, v11, s[2:3]
	;; [unrolled: 1-line block ×13, first 2 shown]
.LBB146_7:                              ; =>This Inner Loop Header: Depth=1
	v_cmp_gt_f32_e32 vcc, v1, v0
	v_cndmask_b32_e32 v28, v0, v1, vcc
	v_cmp_gt_f32_e64 s[0:1], v2, v28
	v_cndmask_b32_e64 v28, v28, v2, s[0:1]
	v_cmp_gt_f32_e64 s[2:3], v3, v28
	v_cndmask_b32_e64 v28, v28, v3, s[2:3]
	;; [unrolled: 2-line block ×14, first 2 shown]
	v_sub_f32_e32 v28, v28, v25
	v_mul_f32_e32 v29, 0x3fb8aa3b, v28
	v_fma_f32 v30, v28, s46, -v29
	v_rndne_f32_e32 v31, v29
	v_fmac_f32_e32 v30, 0x32a5705f, v28
	v_sub_f32_e32 v29, v29, v31
	v_add_f32_e32 v29, v29, v30
	v_cndmask_b32_e64 v30, 0, 1, vcc
	v_cndmask_b32_e64 v30, v30, 2, s[0:1]
	v_cndmask_b32_e64 v30, v30, 3, s[2:3]
	;; [unrolled: 1-line block ×14, first 2 shown]
	v_cmp_le_i32_e32 vcc, s37, v30
	v_cmp_gt_i32_e64 s[0:1], s38, v30
	s_and_b64 s[0:1], vcc, s[0:1]
	v_cmp_ne_u32_e64 s[2:3], 15, v30
	v_cmp_ne_u32_e64 s[4:5], 14, v30
	;; [unrolled: 1-line block ×16, first 2 shown]
	v_subrev_u32_e32 v30, s37, v30
	s_and_b64 vcc, s[44:45], s[0:1]
	v_cndmask_b32_e32 v30, 16, v30, vcc
	global_store_dword v[18:19], v30, off
	v_cvt_i32_f32_e32 v30, v31
	v_exp_f32_e32 v29, v29
	v_cmp_ngt_f32_e32 vcc, s47, v28
	global_store_dword v[16:17], v27, off
	s_add_i32 s49, s49, -1
	v_ldexp_f32 v29, v29, v30
	v_cndmask_b32_e32 v29, 0, v29, vcc
	v_cmp_nlt_f32_e32 vcc, s48, v28
	v_cndmask_b32_e32 v28, v23, v29, vcc
	v_add_co_u32_e32 v16, vcc, 4, v16
	v_addc_co_u32_e32 v17, vcc, 0, v17, vcc
	v_add_co_u32_e32 v18, vcc, 4, v18
	v_addc_co_u32_e32 v19, vcc, 0, v19, vcc
	global_store_dword v[20:21], v28, off
	v_add_co_u32_e32 v20, vcc, 4, v20
	v_add_f32_e32 v24, v24, v28
	v_cndmask_b32_e64 v15, v26, v15, s[2:3]
	v_cndmask_b32_e64 v14, v26, v14, s[4:5]
	;; [unrolled: 1-line block ×16, first 2 shown]
	v_add_u32_e32 v27, s33, v27
	s_cmp_eq_u32 s49, 0
	v_addc_co_u32_e32 v21, vcc, 0, v21, vcc
	s_cbranch_scc0 .LBB146_7
.LBB146_8:
	v_cmp_neq_f32_e32 vcc, 0, v24
	s_and_b64 exec, exec, vcc
	s_cbranch_execnz .LBB146_10
	s_branch .LBB146_20
.LBB146_9:
	v_mov_b32_e32 v24, 0
	v_cmp_neq_f32_e32 vcc, 0, v24
	s_and_b64 exec, exec, vcc
	s_cbranch_execz .LBB146_20
.LBB146_10:
	s_andn2_b64 vcc, exec, s[42:43]
	s_cbranch_vccnz .LBB146_20
; %bb.11:
	v_div_scale_f32 v0, s[0:1], v24, v24, 1.0
	v_rcp_f32_e32 v1, v0
	v_div_scale_f32 v2, vcc, 1.0, v24, 1.0
	s_cmp_gt_u32 s36, 3
	v_fma_f32 v3, -v0, v1, 1.0
	v_fmac_f32_e32 v1, v3, v1
	v_mul_f32_e32 v3, v2, v1
	v_fma_f32 v4, -v0, v3, v2
	v_fmac_f32_e32 v3, v4, v1
	v_fma_f32 v0, -v0, v3, v2
	v_div_fmas_f32 v0, v0, v1, v3
	v_mul_lo_u32 v2, v22, s39
	v_div_fixup_f32 v0, v0, v24, 1.0
	v_ashrrev_i32_e32 v3, 31, v2
	s_cbranch_scc0 .LBB146_15
; %bb.12:
	v_lshlrev_b64 v[4:5], 2, v[2:3]
	v_mov_b32_e32 v6, s41
	v_add_co_u32_e32 v4, vcc, s40, v4
	v_addc_co_u32_e32 v5, vcc, v5, v6, vcc
	s_and_b32 s4, s36, 0x7ffffffc
	v_add_co_u32_e32 v4, vcc, 8, v4
	v_mov_b32_e32 v1, v0
	v_addc_co_u32_e32 v5, vcc, 0, v5, vcc
	s_mov_b32 s0, s4
.LBB146_13:                             ; =>This Inner Loop Header: Depth=1
	global_load_dwordx4 v[6:9], v[4:5], off offset:-8
	s_add_i32 s0, s0, -4
	s_cmp_lg_u32 s0, 0
	s_waitcnt vmcnt(0)
	v_pk_mul_f32 v[6:7], v[0:1], v[6:7]
	v_pk_mul_f32 v[8:9], v[0:1], v[8:9]
	global_store_dwordx4 v[4:5], v[6:9], off offset:-8
	v_add_co_u32_e32 v4, vcc, 16, v4
	v_addc_co_u32_e32 v5, vcc, 0, v5, vcc
	s_cbranch_scc1 .LBB146_13
; %bb.14:
	s_cmp_lg_u32 s4, s36
	s_cselect_b64 s[0:1], -1, 0
	s_branch .LBB146_17
.LBB146_15:
	s_mov_b64 s[0:1], 0
                                        ; implicit-def: $sgpr4
	s_cbranch_execz .LBB146_17
; %bb.16:
	s_mov_b64 s[0:1], -1
	s_mov_b32 s4, 0
.LBB146_17:
	s_andn2_b64 vcc, exec, s[0:1]
	s_cbranch_vccnz .LBB146_20
; %bb.18:
	v_add_co_u32_e32 v2, vcc, s4, v2
	v_addc_co_u32_e32 v3, vcc, 0, v3, vcc
	v_lshlrev_b64 v[2:3], 2, v[2:3]
	v_mov_b32_e32 v1, s41
	v_add_co_u32_e32 v2, vcc, s40, v2
	s_sub_i32 s0, s36, s4
	v_addc_co_u32_e32 v3, vcc, v1, v3, vcc
.LBB146_19:                             ; =>This Inner Loop Header: Depth=1
	global_load_dword v1, v[2:3], off
	s_add_i32 s0, s0, -1
	s_cmp_lg_u32 s0, 0
	s_waitcnt vmcnt(0)
	v_mul_f32_e32 v1, v0, v1
	global_store_dword v[2:3], v1, off
	v_add_co_u32_e32 v2, vcc, 4, v2
	v_addc_co_u32_e32 v3, vcc, 0, v3, vcc
	s_cbranch_scc1 .LBB146_19
.LBB146_20:
	s_endpgm
	.section	.rodata,"a",@progbits
	.p2align	6, 0x0
	.amdhsa_kernel _ZN4vllm3moe17topkGatingSoftmaxIDF16_Li16ELi16ELi8ELi32ELb1ELi0ELNS0_23SharedExpertScoringFuncE0EEEvPKT_PKbPfiPiS9_iiiiii
		.amdhsa_group_segment_fixed_size 0
		.amdhsa_private_segment_fixed_size 0
		.amdhsa_kernarg_size 72
		.amdhsa_user_sgpr_count 6
		.amdhsa_user_sgpr_private_segment_buffer 1
		.amdhsa_user_sgpr_dispatch_ptr 0
		.amdhsa_user_sgpr_queue_ptr 0
		.amdhsa_user_sgpr_kernarg_segment_ptr 1
		.amdhsa_user_sgpr_dispatch_id 0
		.amdhsa_user_sgpr_flat_scratch_init 0
		.amdhsa_user_sgpr_kernarg_preload_length 0
		.amdhsa_user_sgpr_kernarg_preload_offset 0
		.amdhsa_user_sgpr_private_segment_size 0
		.amdhsa_uses_dynamic_stack 0
		.amdhsa_system_sgpr_private_segment_wavefront_offset 0
		.amdhsa_system_sgpr_workgroup_id_x 1
		.amdhsa_system_sgpr_workgroup_id_y 0
		.amdhsa_system_sgpr_workgroup_id_z 0
		.amdhsa_system_sgpr_workgroup_info 0
		.amdhsa_system_vgpr_workitem_id 1
		.amdhsa_next_free_vgpr 38
		.amdhsa_next_free_sgpr 50
		.amdhsa_accum_offset 40
		.amdhsa_reserve_vcc 1
		.amdhsa_reserve_flat_scratch 0
		.amdhsa_float_round_mode_32 0
		.amdhsa_float_round_mode_16_64 0
		.amdhsa_float_denorm_mode_32 3
		.amdhsa_float_denorm_mode_16_64 3
		.amdhsa_dx10_clamp 1
		.amdhsa_ieee_mode 1
		.amdhsa_fp16_overflow 0
		.amdhsa_tg_split 0
		.amdhsa_exception_fp_ieee_invalid_op 0
		.amdhsa_exception_fp_denorm_src 0
		.amdhsa_exception_fp_ieee_div_zero 0
		.amdhsa_exception_fp_ieee_overflow 0
		.amdhsa_exception_fp_ieee_underflow 0
		.amdhsa_exception_fp_ieee_inexact 0
		.amdhsa_exception_int_div_zero 0
	.end_amdhsa_kernel
	.section	.text._ZN4vllm3moe17topkGatingSoftmaxIDF16_Li16ELi16ELi8ELi32ELb1ELi0ELNS0_23SharedExpertScoringFuncE0EEEvPKT_PKbPfiPiS9_iiiiii,"axG",@progbits,_ZN4vllm3moe17topkGatingSoftmaxIDF16_Li16ELi16ELi8ELi32ELb1ELi0ELNS0_23SharedExpertScoringFuncE0EEEvPKT_PKbPfiPiS9_iiiiii,comdat
.Lfunc_end146:
	.size	_ZN4vllm3moe17topkGatingSoftmaxIDF16_Li16ELi16ELi8ELi32ELb1ELi0ELNS0_23SharedExpertScoringFuncE0EEEvPKT_PKbPfiPiS9_iiiiii, .Lfunc_end146-_ZN4vllm3moe17topkGatingSoftmaxIDF16_Li16ELi16ELi8ELi32ELb1ELi0ELNS0_23SharedExpertScoringFuncE0EEEvPKT_PKbPfiPiS9_iiiiii
                                        ; -- End function
	.section	.AMDGPU.csdata,"",@progbits
; Kernel info:
; codeLenInByte = 2484
; NumSgprs: 54
; NumVgprs: 38
; NumAgprs: 0
; TotalNumVgprs: 38
; ScratchSize: 0
; MemoryBound: 0
; FloatMode: 240
; IeeeMode: 1
; LDSByteSize: 0 bytes/workgroup (compile time only)
; SGPRBlocks: 6
; VGPRBlocks: 4
; NumSGPRsForWavesPerEU: 54
; NumVGPRsForWavesPerEU: 38
; AccumOffset: 40
; Occupancy: 8
; WaveLimiterHint : 0
; COMPUTE_PGM_RSRC2:SCRATCH_EN: 0
; COMPUTE_PGM_RSRC2:USER_SGPR: 6
; COMPUTE_PGM_RSRC2:TRAP_HANDLER: 0
; COMPUTE_PGM_RSRC2:TGID_X_EN: 1
; COMPUTE_PGM_RSRC2:TGID_Y_EN: 0
; COMPUTE_PGM_RSRC2:TGID_Z_EN: 0
; COMPUTE_PGM_RSRC2:TIDIG_COMP_CNT: 1
; COMPUTE_PGM_RSRC3_GFX90A:ACCUM_OFFSET: 9
; COMPUTE_PGM_RSRC3_GFX90A:TG_SPLIT: 0
	.section	.text._ZN4vllm3moe17topkGatingSoftmaxIDF16_Li16ELi16ELi8ELi32ELb0ELi0ELNS0_23SharedExpertScoringFuncE0EEEvPKT_PKbPfiPiS9_iiiiii,"axG",@progbits,_ZN4vllm3moe17topkGatingSoftmaxIDF16_Li16ELi16ELi8ELi32ELb0ELi0ELNS0_23SharedExpertScoringFuncE0EEEvPKT_PKbPfiPiS9_iiiiii,comdat
	.protected	_ZN4vllm3moe17topkGatingSoftmaxIDF16_Li16ELi16ELi8ELi32ELb0ELi0ELNS0_23SharedExpertScoringFuncE0EEEvPKT_PKbPfiPiS9_iiiiii ; -- Begin function _ZN4vllm3moe17topkGatingSoftmaxIDF16_Li16ELi16ELi8ELi32ELb0ELi0ELNS0_23SharedExpertScoringFuncE0EEEvPKT_PKbPfiPiS9_iiiiii
	.globl	_ZN4vllm3moe17topkGatingSoftmaxIDF16_Li16ELi16ELi8ELi32ELb0ELi0ELNS0_23SharedExpertScoringFuncE0EEEvPKT_PKbPfiPiS9_iiiiii
	.p2align	8
	.type	_ZN4vllm3moe17topkGatingSoftmaxIDF16_Li16ELi16ELi8ELi32ELb0ELi0ELNS0_23SharedExpertScoringFuncE0EEEvPKT_PKbPfiPiS9_iiiiii,@function
_ZN4vllm3moe17topkGatingSoftmaxIDF16_Li16ELi16ELi8ELi32ELb0ELi0ELNS0_23SharedExpertScoringFuncE0EEEvPKT_PKbPfiPiS9_iiiiii: ; @_ZN4vllm3moe17topkGatingSoftmaxIDF16_Li16ELi16ELi8ELi32ELb0ELi0ELNS0_23SharedExpertScoringFuncE0EEEvPKT_PKbPfiPiS9_iiiiii
; %bb.0:
	s_load_dword s33, s[4:5], 0x18
	v_bfe_u32 v1, v0, 10, 10
	s_lshl_b32 s50, s6, 9
	v_lshlrev_b32_e32 v27, 6, v1
	v_and_b32_e32 v28, 0x3ff, v0
	v_add3_u32 v24, v27, v28, s50
	s_waitcnt lgkmcnt(0)
	v_cmp_gt_i32_e32 vcc, s33, v24
	s_and_saveexec_b64 s[0:1], vcc
	s_cbranch_execz .LBB147_20
; %bb.1:
	s_load_dwordx4 s[0:3], s[4:5], 0x0
	s_load_dwordx2 s[44:45], s[4:5], 0x10
	s_waitcnt lgkmcnt(0)
	s_cmp_eq_u64 s[2:3], 0
	s_cbranch_scc1 .LBB147_3
; %bb.2:
	v_ashrrev_i32_e32 v1, 31, v24
	v_mov_b32_e32 v2, s3
	v_add_co_u32_e32 v0, vcc, s2, v24
	v_addc_co_u32_e32 v1, vcc, v2, v1, vcc
	global_load_ubyte v0, v[0:1], off
	s_waitcnt vmcnt(0)
	v_and_b32_e32 v0, 1, v0
	v_cmp_eq_u32_e32 vcc, 1, v0
	s_xor_b64 s[2:3], vcc, -1
	s_orn2_b64 s[48:49], s[2:3], exec
	s_branch .LBB147_4
.LBB147_3:
	s_mov_b64 s[48:49], -1
.LBB147_4:
	s_load_dwordx2 s[30:31], s[4:5], 0x40
	s_load_dwordx4 s[36:39], s[4:5], 0x30
	v_mov_b32_e32 v2, s1
	s_waitcnt lgkmcnt(0)
	v_mul_lo_u32 v0, v24, s31
	v_ashrrev_i32_e32 v1, 31, v0
	v_lshlrev_b64 v[0:1], 1, v[0:1]
	v_add_co_u32_e32 v8, vcc, s0, v0
	v_addc_co_u32_e32 v9, vcc, v2, v1, vcc
	global_load_dwordx4 v[4:7], v[8:9], off
	global_load_dwordx4 v[12:15], v[8:9], off offset:16
	s_cmp_gt_i32 s36, 0
	s_cselect_b64 s[46:47], -1, 0
	s_cmp_lt_i32 s36, 1
	s_waitcnt vmcnt(1)
	v_cvt_f32_f16_e32 v0, v4
	v_cvt_f32_f16_sdwa v1, v4 dst_sel:DWORD dst_unused:UNUSED_PAD src0_sel:WORD_1
	v_cvt_f32_f16_e32 v2, v5
	v_cmp_lt_f16_sdwa vcc, v4, v4 src0_sel:DWORD src1_sel:WORD_1
	s_waitcnt vmcnt(0)
	v_cvt_f32_f16_e32 v8, v12
	v_cndmask_b32_e32 v3, v0, v1, vcc
	v_cmp_lt_f32_e64 s[0:1], v3, v2
	v_cndmask_b32_e64 v4, v3, v2, s[0:1]
	v_cvt_f32_f16_sdwa v3, v5 dst_sel:DWORD dst_unused:UNUSED_PAD src0_sel:WORD_1
	v_cvt_f32_f16_sdwa v9, v12 dst_sel:DWORD dst_unused:UNUSED_PAD src0_sel:WORD_1
	v_cmp_lt_f32_e64 s[2:3], v4, v3
	v_cndmask_b32_e64 v5, v4, v3, s[2:3]
	v_cvt_f32_f16_e32 v4, v6
	v_cmp_lt_f32_e64 s[6:7], v5, v4
	v_cndmask_b32_e64 v10, v5, v4, s[6:7]
	v_cvt_f32_f16_sdwa v5, v6 dst_sel:DWORD dst_unused:UNUSED_PAD src0_sel:WORD_1
	v_cvt_f32_f16_e32 v6, v7
	v_cvt_f32_f16_sdwa v7, v7 dst_sel:DWORD dst_unused:UNUSED_PAD src0_sel:WORD_1
	v_cmp_lt_f32_e64 s[8:9], v10, v5
	v_cndmask_b32_e64 v10, v10, v5, s[8:9]
	v_cmp_lt_f32_e64 s[10:11], v10, v6
	v_cndmask_b32_e64 v10, v10, v6, s[10:11]
	;; [unrolled: 2-line block ×5, first 2 shown]
	v_cvt_f32_f16_e32 v10, v13
	v_cmp_lt_f32_e64 s[18:19], v11, v10
	v_cndmask_b32_e64 v12, v11, v10, s[18:19]
	v_cvt_f32_f16_sdwa v11, v13 dst_sel:DWORD dst_unused:UNUSED_PAD src0_sel:WORD_1
	v_cmp_lt_f32_e64 s[20:21], v12, v11
	v_cndmask_b32_e64 v13, v12, v11, s[20:21]
	v_cvt_f32_f16_e32 v12, v14
	v_cmp_lt_f32_e64 s[22:23], v13, v12
	v_cndmask_b32_e64 v16, v13, v12, s[22:23]
	v_cvt_f32_f16_sdwa v13, v14 dst_sel:DWORD dst_unused:UNUSED_PAD src0_sel:WORD_1
	v_cvt_f32_f16_e32 v14, v15
	v_cvt_f32_f16_sdwa v15, v15 dst_sel:DWORD dst_unused:UNUSED_PAD src0_sel:WORD_1
	v_cmp_lt_f32_e64 s[24:25], v16, v13
	v_cndmask_b32_e64 v16, v16, v13, s[24:25]
	v_cmp_lt_f32_e64 s[26:27], v16, v14
	v_cndmask_b32_e64 v16, v16, v14, s[26:27]
	;; [unrolled: 2-line block ×3, first 2 shown]
	s_cbranch_scc1 .LBB147_8
; %bb.5:
	v_cndmask_b32_e64 v20, 0, 1, vcc
	v_cndmask_b32_e64 v20, v20, 2, s[0:1]
	v_cndmask_b32_e64 v20, v20, 3, s[2:3]
	;; [unrolled: 1-line block ×11, first 2 shown]
	s_load_dwordx4 s[40:43], s[4:5], 0x20
	v_cndmask_b32_e64 v20, v20, 13, s[24:25]
	v_cndmask_b32_e64 v20, v20, 14, s[26:27]
	v_mul_lo_u32 v16, v24, s30
	v_cndmask_b32_e64 v26, v20, 15, s[28:29]
	v_ashrrev_i32_e32 v17, 31, v16
	v_cmp_le_i32_e32 vcc, s37, v26
	v_cmp_gt_i32_e64 s[0:1], s38, v26
	v_lshlrev_b64 v[18:19], 2, v[16:17]
	s_and_b64 s[0:1], vcc, s[0:1]
	s_waitcnt lgkmcnt(0)
	v_mov_b32_e32 v17, s41
	v_add_co_u32_e64 v16, s[4:5], s40, v18
	v_subrev_u32_e32 v20, s37, v26
	s_and_b64 vcc, s[48:49], s[0:1]
	v_addc_co_u32_e64 v17, s[4:5], v17, v19, s[4:5]
	v_cndmask_b32_e32 v20, 16, v20, vcc
	global_store_dword v[16:17], v20, off
	v_mul_lo_u32 v16, v24, s36
	v_ashrrev_i32_e32 v17, 31, v16
	v_lshlrev_b64 v[16:17], 2, v[16:17]
	v_mov_b32_e32 v21, s43
	v_add_co_u32_e32 v20, vcc, s42, v16
	v_addc_co_u32_e32 v21, vcc, v21, v17, vcc
	v_sub_f32_e32 v31, v25, v25
	global_store_dword v[20:21], v24, off
	v_mul_f32_e32 v20, 0x3fb8aa3b, v31
	s_mov_b32 s51, 0x3fb8aa3b
	v_rndne_f32_e32 v21, v20
	v_sub_f32_e32 v22, v20, v21
	v_fma_f32 v20, v31, s51, -v20
	v_fmac_f32_e32 v20, 0x32a5705f, v31
	v_add_f32_e32 v20, v22, v20
	v_exp_f32_e32 v20, v20
	v_cvt_i32_f32_e32 v21, v21
	v_mov_b32_e32 v23, s45
	s_mov_b32 s52, 0xc2ce8ed0
	v_cmp_ngt_f32_e64 s[34:35], s52, v31
	v_ldexp_f32 v30, v20, v21
	v_mul_lo_u32 v20, v24, s39
	v_ashrrev_i32_e32 v21, 31, v20
	v_lshlrev_b64 v[20:21], 2, v[20:21]
	v_add_co_u32_e32 v22, vcc, s44, v20
	v_addc_co_u32_e64 v23, s[0:1], v23, v21, vcc
	s_mov_b32 s53, 0x42b17218
	v_mov_b32_e32 v29, 0xff800000
	v_cmp_ne_u32_e64 s[0:1], 15, v26
	v_cmp_ne_u32_e64 s[2:3], 14, v26
	;; [unrolled: 1-line block ×16, first 2 shown]
	v_cndmask_b32_e64 v20, 0, v30, s[34:35]
	v_mov_b32_e32 v30, 0x7f800000
	v_cmp_nlt_f32_e64 s[34:35], s53, v31
	v_cndmask_b32_e64 v26, v30, v20, s[34:35]
	v_cndmask_b32_e64 v15, v29, v15, s[0:1]
	;; [unrolled: 1-line block ×16, first 2 shown]
	s_cmp_eq_u32 s36, 1
	v_cndmask_b32_e64 v0, v29, v0, s[30:31]
	global_store_dword v[22:23], v26, off
	s_cbranch_scc1 .LBB147_9
; %bb.6:
	v_mov_b32_e32 v20, s43
	v_add_co_u32_e64 v16, s[0:1], s42, v16
	v_addc_co_u32_e64 v17, s[0:1], v17, v20, s[0:1]
	v_add_co_u32_e64 v16, s[0:1], 4, v16
	v_addc_co_u32_e64 v17, s[0:1], 0, v17, s[0:1]
	v_mov_b32_e32 v20, s41
	v_add_co_u32_e64 v18, s[0:1], s40, v18
	v_addc_co_u32_e64 v19, s[0:1], v19, v20, s[0:1]
	v_mov_b32_e32 v20, s45
	v_addc_co_u32_e32 v21, vcc, v21, v20, vcc
	v_add_co_u32_e64 v18, s[0:1], 4, v18
	v_add_co_u32_e32 v20, vcc, 4, v22
	s_add_i32 s50, s50, s33
	v_addc_co_u32_e64 v19, s[0:1], 0, v19, s[0:1]
	v_addc_co_u32_e32 v21, vcc, 0, v21, vcc
	s_add_i32 s40, s36, -1
	v_add3_u32 v22, s50, v28, v27
.LBB147_7:                              ; =>This Inner Loop Header: Depth=1
	v_cmp_gt_f32_e32 vcc, v1, v0
	v_cndmask_b32_e32 v23, v0, v1, vcc
	v_cmp_gt_f32_e64 s[0:1], v2, v23
	v_cndmask_b32_e64 v23, v23, v2, s[0:1]
	v_cmp_gt_f32_e64 s[2:3], v3, v23
	v_cndmask_b32_e64 v23, v23, v3, s[2:3]
	;; [unrolled: 2-line block ×14, first 2 shown]
	v_sub_f32_e32 v23, v23, v25
	v_mul_f32_e32 v27, 0x3fb8aa3b, v23
	v_fma_f32 v28, v23, s51, -v27
	v_rndne_f32_e32 v31, v27
	v_fmac_f32_e32 v28, 0x32a5705f, v23
	v_sub_f32_e32 v27, v27, v31
	v_add_f32_e32 v27, v27, v28
	v_cndmask_b32_e64 v28, 0, 1, vcc
	v_cndmask_b32_e64 v28, v28, 2, s[0:1]
	v_cndmask_b32_e64 v28, v28, 3, s[2:3]
	;; [unrolled: 1-line block ×14, first 2 shown]
	v_cmp_le_i32_e32 vcc, s37, v28
	v_cmp_gt_i32_e64 s[0:1], s38, v28
	s_and_b64 s[0:1], vcc, s[0:1]
	v_cmp_ne_u32_e64 s[2:3], 15, v28
	v_cmp_ne_u32_e64 s[4:5], 14, v28
	;; [unrolled: 1-line block ×16, first 2 shown]
	v_subrev_u32_e32 v28, s37, v28
	s_and_b64 vcc, s[48:49], s[0:1]
	v_cndmask_b32_e32 v28, 16, v28, vcc
	global_store_dword v[18:19], v28, off
	v_cvt_i32_f32_e32 v28, v31
	v_exp_f32_e32 v27, v27
	v_cmp_ngt_f32_e32 vcc, s52, v23
	global_store_dword v[16:17], v22, off
	s_add_i32 s40, s40, -1
	v_ldexp_f32 v27, v27, v28
	v_cndmask_b32_e32 v27, 0, v27, vcc
	v_cmp_nlt_f32_e32 vcc, s53, v23
	v_cndmask_b32_e32 v23, v30, v27, vcc
	v_add_co_u32_e32 v16, vcc, 4, v16
	v_addc_co_u32_e32 v17, vcc, 0, v17, vcc
	v_add_co_u32_e32 v18, vcc, 4, v18
	v_addc_co_u32_e32 v19, vcc, 0, v19, vcc
	global_store_dword v[20:21], v23, off
	v_add_co_u32_e32 v20, vcc, 4, v20
	v_add_f32_e32 v26, v26, v23
	v_cndmask_b32_e64 v15, v29, v15, s[2:3]
	v_cndmask_b32_e64 v14, v29, v14, s[4:5]
	;; [unrolled: 1-line block ×16, first 2 shown]
	v_add_u32_e32 v22, s33, v22
	s_cmp_eq_u32 s40, 0
	v_addc_co_u32_e32 v21, vcc, 0, v21, vcc
	s_cbranch_scc0 .LBB147_7
	s_branch .LBB147_9
.LBB147_8:
	v_mov_b32_e32 v26, 0
.LBB147_9:
	v_sub_f32_e32 v0, v0, v25
	s_mov_b32 s2, 0x3fb8aa3b
	v_mul_f32_e32 v16, 0x3fb8aa3b, v0
	v_fma_f32 v17, v0, s2, -v16
	v_rndne_f32_e32 v18, v16
	v_fmac_f32_e32 v17, 0x32a5705f, v0
	v_sub_f32_e32 v16, v16, v18
	v_add_f32_e32 v16, v16, v17
	v_exp_f32_e32 v16, v16
	v_cvt_i32_f32_e32 v17, v18
	v_sub_f32_e32 v1, v1, v25
	s_mov_b32 s4, 0xc2ce8ed0
	s_mov_b32 s3, 0x42b17218
	v_ldexp_f32 v16, v16, v17
	v_mul_f32_e32 v17, 0x3fb8aa3b, v1
	v_fma_f32 v18, v1, s2, -v17
	v_rndne_f32_e32 v19, v17
	v_fmac_f32_e32 v18, 0x32a5705f, v1
	v_sub_f32_e32 v17, v17, v19
	v_add_f32_e32 v17, v17, v18
	v_exp_f32_e32 v17, v17
	v_cvt_i32_f32_e32 v18, v19
	v_cmp_ngt_f32_e32 vcc, s4, v1
	v_cmp_ngt_f32_e64 s[0:1], s4, v0
	v_sub_f32_e32 v2, v2, v25
	v_ldexp_f32 v17, v17, v18
	v_cndmask_b32_e32 v17, 0, v17, vcc
	v_mov_b32_e32 v18, 0x7f800000
	v_cmp_nlt_f32_e32 vcc, s3, v1
	v_cndmask_b32_e64 v1, 0, v16, s[0:1]
	v_cmp_nlt_f32_e64 s[0:1], s3, v0
	v_cndmask_b32_e64 v0, v18, v1, s[0:1]
	v_cndmask_b32_e32 v1, v18, v17, vcc
	v_add_f32_e32 v0, v0, v1
	v_mul_f32_e32 v1, 0x3fb8aa3b, v2
	v_fma_f32 v16, v2, s2, -v1
	v_rndne_f32_e32 v17, v1
	v_fmac_f32_e32 v16, 0x32a5705f, v2
	v_sub_f32_e32 v1, v1, v17
	v_add_f32_e32 v1, v1, v16
	v_exp_f32_e32 v1, v1
	v_cvt_i32_f32_e32 v16, v17
	v_cmp_ngt_f32_e32 vcc, s4, v2
	v_sub_f32_e32 v3, v3, v25
	v_sub_f32_e32 v4, v4, v25
	v_ldexp_f32 v1, v1, v16
	v_cndmask_b32_e32 v1, 0, v1, vcc
	v_cmp_nlt_f32_e32 vcc, s3, v2
	v_cndmask_b32_e32 v1, v18, v1, vcc
	v_add_f32_e32 v0, v0, v1
	v_mul_f32_e32 v1, 0x3fb8aa3b, v3
	v_fma_f32 v2, v3, s2, -v1
	v_rndne_f32_e32 v16, v1
	v_fmac_f32_e32 v2, 0x32a5705f, v3
	v_sub_f32_e32 v1, v1, v16
	v_add_f32_e32 v1, v1, v2
	v_exp_f32_e32 v1, v1
	v_cvt_i32_f32_e32 v2, v16
	v_cmp_ngt_f32_e32 vcc, s4, v3
	v_sub_f32_e32 v5, v5, v25
	v_sub_f32_e32 v6, v6, v25
	v_ldexp_f32 v1, v1, v2
	v_cndmask_b32_e32 v1, 0, v1, vcc
	v_cmp_nlt_f32_e32 vcc, s3, v3
	;; [unrolled: 16-line block ×5, first 2 shown]
	v_cndmask_b32_e32 v1, v18, v1, vcc
	v_add_f32_e32 v0, v0, v1
	v_mul_f32_e32 v1, 0x3fb8aa3b, v7
	v_fma_f32 v2, v7, s2, -v1
	v_rndne_f32_e32 v3, v1
	v_fmac_f32_e32 v2, 0x32a5705f, v7
	v_sub_f32_e32 v1, v1, v3
	v_add_f32_e32 v1, v1, v2
	v_exp_f32_e32 v1, v1
	v_cvt_i32_f32_e32 v2, v3
	v_cmp_ngt_f32_e32 vcc, s4, v7
	v_ldexp_f32 v1, v1, v2
	v_mul_f32_e32 v2, 0x3fb8aa3b, v8
	v_fma_f32 v3, v8, s2, -v2
	v_rndne_f32_e32 v4, v2
	v_fmac_f32_e32 v3, 0x32a5705f, v8
	v_sub_f32_e32 v2, v2, v4
	v_add_f32_e32 v2, v2, v3
	v_exp_f32_e32 v2, v2
	v_cvt_i32_f32_e32 v3, v4
	v_cndmask_b32_e32 v1, 0, v1, vcc
	v_cmp_nlt_f32_e32 vcc, s3, v7
	v_cndmask_b32_e32 v1, v18, v1, vcc
	v_add_f32_e32 v0, v0, v1
	v_ldexp_f32 v1, v2, v3
	v_mul_f32_e32 v2, 0x3fb8aa3b, v9
	v_fma_f32 v3, v9, s2, -v2
	v_rndne_f32_e32 v4, v2
	v_fmac_f32_e32 v3, 0x32a5705f, v9
	v_sub_f32_e32 v2, v2, v4
	v_add_f32_e32 v2, v2, v3
	v_exp_f32_e32 v2, v2
	v_cvt_i32_f32_e32 v3, v4
	v_cmp_ngt_f32_e32 vcc, s4, v8
	v_cndmask_b32_e32 v1, 0, v1, vcc
	v_cmp_nlt_f32_e32 vcc, s3, v8
	v_cndmask_b32_e32 v1, v18, v1, vcc
	v_add_f32_e32 v0, v0, v1
	v_ldexp_f32 v1, v2, v3
	v_mul_f32_e32 v2, 0x3fb8aa3b, v10
	v_fma_f32 v3, v10, s2, -v2
	v_rndne_f32_e32 v4, v2
	v_fmac_f32_e32 v3, 0x32a5705f, v10
	v_sub_f32_e32 v2, v2, v4
	v_add_f32_e32 v2, v2, v3
	v_exp_f32_e32 v2, v2
	v_cvt_i32_f32_e32 v3, v4
	v_cmp_ngt_f32_e32 vcc, s4, v9
	;; [unrolled: 14-line block ×4, first 2 shown]
	v_cndmask_b32_e32 v1, 0, v1, vcc
	v_cmp_nlt_f32_e32 vcc, s3, v11
	v_cndmask_b32_e32 v1, v18, v1, vcc
	v_add_f32_e32 v0, v0, v1
	v_ldexp_f32 v1, v2, v3
	v_sub_f32_e32 v2, v13, v25
	v_mul_f32_e32 v3, 0x3fb8aa3b, v2
	v_fma_f32 v4, v2, s2, -v3
	v_rndne_f32_e32 v5, v3
	v_fmac_f32_e32 v4, 0x32a5705f, v2
	v_sub_f32_e32 v3, v3, v5
	v_add_f32_e32 v3, v3, v4
	v_exp_f32_e32 v3, v3
	v_cvt_i32_f32_e32 v4, v5
	v_cmp_ngt_f32_e32 vcc, s4, v12
	v_cndmask_b32_e32 v1, 0, v1, vcc
	v_cmp_nlt_f32_e32 vcc, s3, v12
	v_cndmask_b32_e32 v1, v18, v1, vcc
	v_add_f32_e32 v0, v0, v1
	v_ldexp_f32 v1, v3, v4
	v_sub_f32_e32 v3, v14, v25
	v_mul_f32_e32 v4, 0x3fb8aa3b, v3
	v_fma_f32 v5, v3, s2, -v4
	v_rndne_f32_e32 v6, v4
	v_fmac_f32_e32 v5, 0x32a5705f, v3
	v_sub_f32_e32 v4, v4, v6
	v_add_f32_e32 v4, v4, v5
	v_exp_f32_e32 v4, v4
	v_cvt_i32_f32_e32 v5, v6
	v_cmp_ngt_f32_e32 vcc, s4, v2
	v_cndmask_b32_e32 v1, 0, v1, vcc
	v_cmp_nlt_f32_e32 vcc, s3, v2
	v_cndmask_b32_e32 v1, v18, v1, vcc
	v_sub_f32_e32 v2, v15, v25
	v_add_f32_e32 v0, v0, v1
	v_ldexp_f32 v1, v4, v5
	v_mul_f32_e32 v4, 0x3fb8aa3b, v2
	v_fma_f32 v5, v2, s2, -v4
	v_rndne_f32_e32 v6, v4
	v_fmac_f32_e32 v5, 0x32a5705f, v2
	v_sub_f32_e32 v4, v4, v6
	v_add_f32_e32 v4, v4, v5
	v_exp_f32_e32 v4, v4
	v_cvt_i32_f32_e32 v5, v6
	v_cmp_ngt_f32_e32 vcc, s4, v3
	v_cndmask_b32_e32 v1, 0, v1, vcc
	v_cmp_nlt_f32_e32 vcc, s3, v3
	v_cndmask_b32_e32 v1, v18, v1, vcc
	v_add_f32_e32 v0, v0, v1
	v_ldexp_f32 v1, v4, v5
	v_cmp_ngt_f32_e32 vcc, s4, v2
	v_cndmask_b32_e32 v1, 0, v1, vcc
	v_cmp_nlt_f32_e32 vcc, s3, v2
	v_cndmask_b32_e32 v1, v18, v1, vcc
	v_add_f32_e32 v0, v0, v1
	v_add_f32_e32 v0, v26, v0
	v_cmp_neq_f32_e32 vcc, 0, v0
	s_and_b64 exec, exec, vcc
	s_cbranch_execz .LBB147_20
; %bb.10:
	s_andn2_b64 vcc, exec, s[46:47]
	s_cbranch_vccnz .LBB147_20
; %bb.11:
	v_div_scale_f32 v1, s[0:1], v0, v0, 1.0
	v_rcp_f32_e32 v2, v1
	v_div_scale_f32 v3, vcc, 1.0, v0, 1.0
	s_cmp_gt_u32 s36, 3
	v_fma_f32 v4, -v1, v2, 1.0
	v_fmac_f32_e32 v2, v4, v2
	v_mul_f32_e32 v4, v3, v2
	v_fma_f32 v5, -v1, v4, v3
	v_fmac_f32_e32 v4, v5, v2
	v_fma_f32 v1, -v1, v4, v3
	v_div_fmas_f32 v1, v1, v2, v4
	v_mul_lo_u32 v2, v24, s39
	v_div_fixup_f32 v0, v1, v0, 1.0
	v_ashrrev_i32_e32 v3, 31, v2
	s_cbranch_scc0 .LBB147_15
; %bb.12:
	v_lshlrev_b64 v[4:5], 2, v[2:3]
	v_mov_b32_e32 v6, s45
	v_add_co_u32_e32 v4, vcc, s44, v4
	v_addc_co_u32_e32 v5, vcc, v5, v6, vcc
	s_and_b32 s4, s36, 0x7ffffffc
	v_add_co_u32_e32 v4, vcc, 8, v4
	v_mov_b32_e32 v1, v0
	v_addc_co_u32_e32 v5, vcc, 0, v5, vcc
	s_mov_b32 s0, s4
.LBB147_13:                             ; =>This Inner Loop Header: Depth=1
	global_load_dwordx4 v[6:9], v[4:5], off offset:-8
	s_add_i32 s0, s0, -4
	s_cmp_lg_u32 s0, 0
	s_waitcnt vmcnt(0)
	v_pk_mul_f32 v[6:7], v[0:1], v[6:7]
	v_pk_mul_f32 v[8:9], v[0:1], v[8:9]
	global_store_dwordx4 v[4:5], v[6:9], off offset:-8
	v_add_co_u32_e32 v4, vcc, 16, v4
	v_addc_co_u32_e32 v5, vcc, 0, v5, vcc
	s_cbranch_scc1 .LBB147_13
; %bb.14:
	s_cmp_lg_u32 s4, s36
	s_cselect_b64 s[0:1], -1, 0
	s_branch .LBB147_17
.LBB147_15:
	s_mov_b64 s[0:1], 0
                                        ; implicit-def: $sgpr4
	s_cbranch_execz .LBB147_17
; %bb.16:
	s_mov_b64 s[0:1], -1
	s_mov_b32 s4, 0
.LBB147_17:
	s_andn2_b64 vcc, exec, s[0:1]
	s_cbranch_vccnz .LBB147_20
; %bb.18:
	v_add_co_u32_e32 v2, vcc, s4, v2
	v_addc_co_u32_e32 v3, vcc, 0, v3, vcc
	v_lshlrev_b64 v[2:3], 2, v[2:3]
	v_mov_b32_e32 v1, s45
	v_add_co_u32_e32 v2, vcc, s44, v2
	s_sub_i32 s0, s36, s4
	v_addc_co_u32_e32 v3, vcc, v1, v3, vcc
.LBB147_19:                             ; =>This Inner Loop Header: Depth=1
	global_load_dword v1, v[2:3], off
	s_add_i32 s0, s0, -1
	s_cmp_lg_u32 s0, 0
	s_waitcnt vmcnt(0)
	v_mul_f32_e32 v1, v0, v1
	global_store_dword v[2:3], v1, off
	v_add_co_u32_e32 v2, vcc, 4, v2
	v_addc_co_u32_e32 v3, vcc, 0, v3, vcc
	s_cbranch_scc1 .LBB147_19
.LBB147_20:
	s_endpgm
	.section	.rodata,"a",@progbits
	.p2align	6, 0x0
	.amdhsa_kernel _ZN4vllm3moe17topkGatingSoftmaxIDF16_Li16ELi16ELi8ELi32ELb0ELi0ELNS0_23SharedExpertScoringFuncE0EEEvPKT_PKbPfiPiS9_iiiiii
		.amdhsa_group_segment_fixed_size 0
		.amdhsa_private_segment_fixed_size 0
		.amdhsa_kernarg_size 72
		.amdhsa_user_sgpr_count 6
		.amdhsa_user_sgpr_private_segment_buffer 1
		.amdhsa_user_sgpr_dispatch_ptr 0
		.amdhsa_user_sgpr_queue_ptr 0
		.amdhsa_user_sgpr_kernarg_segment_ptr 1
		.amdhsa_user_sgpr_dispatch_id 0
		.amdhsa_user_sgpr_flat_scratch_init 0
		.amdhsa_user_sgpr_kernarg_preload_length 0
		.amdhsa_user_sgpr_kernarg_preload_offset 0
		.amdhsa_user_sgpr_private_segment_size 0
		.amdhsa_uses_dynamic_stack 0
		.amdhsa_system_sgpr_private_segment_wavefront_offset 0
		.amdhsa_system_sgpr_workgroup_id_x 1
		.amdhsa_system_sgpr_workgroup_id_y 0
		.amdhsa_system_sgpr_workgroup_id_z 0
		.amdhsa_system_sgpr_workgroup_info 0
		.amdhsa_system_vgpr_workitem_id 1
		.amdhsa_next_free_vgpr 32
		.amdhsa_next_free_sgpr 54
		.amdhsa_accum_offset 32
		.amdhsa_reserve_vcc 1
		.amdhsa_reserve_flat_scratch 0
		.amdhsa_float_round_mode_32 0
		.amdhsa_float_round_mode_16_64 0
		.amdhsa_float_denorm_mode_32 3
		.amdhsa_float_denorm_mode_16_64 3
		.amdhsa_dx10_clamp 1
		.amdhsa_ieee_mode 1
		.amdhsa_fp16_overflow 0
		.amdhsa_tg_split 0
		.amdhsa_exception_fp_ieee_invalid_op 0
		.amdhsa_exception_fp_denorm_src 0
		.amdhsa_exception_fp_ieee_div_zero 0
		.amdhsa_exception_fp_ieee_overflow 0
		.amdhsa_exception_fp_ieee_underflow 0
		.amdhsa_exception_fp_ieee_inexact 0
		.amdhsa_exception_int_div_zero 0
	.end_amdhsa_kernel
	.section	.text._ZN4vllm3moe17topkGatingSoftmaxIDF16_Li16ELi16ELi8ELi32ELb0ELi0ELNS0_23SharedExpertScoringFuncE0EEEvPKT_PKbPfiPiS9_iiiiii,"axG",@progbits,_ZN4vllm3moe17topkGatingSoftmaxIDF16_Li16ELi16ELi8ELi32ELb0ELi0ELNS0_23SharedExpertScoringFuncE0EEEvPKT_PKbPfiPiS9_iiiiii,comdat
.Lfunc_end147:
	.size	_ZN4vllm3moe17topkGatingSoftmaxIDF16_Li16ELi16ELi8ELi32ELb0ELi0ELNS0_23SharedExpertScoringFuncE0EEEvPKT_PKbPfiPiS9_iiiiii, .Lfunc_end147-_ZN4vllm3moe17topkGatingSoftmaxIDF16_Li16ELi16ELi8ELi32ELb0ELi0ELNS0_23SharedExpertScoringFuncE0EEEvPKT_PKbPfiPiS9_iiiiii
                                        ; -- End function
	.section	.AMDGPU.csdata,"",@progbits
; Kernel info:
; codeLenInByte = 3724
; NumSgprs: 58
; NumVgprs: 32
; NumAgprs: 0
; TotalNumVgprs: 32
; ScratchSize: 0
; MemoryBound: 0
; FloatMode: 240
; IeeeMode: 1
; LDSByteSize: 0 bytes/workgroup (compile time only)
; SGPRBlocks: 7
; VGPRBlocks: 3
; NumSGPRsForWavesPerEU: 58
; NumVGPRsForWavesPerEU: 32
; AccumOffset: 32
; Occupancy: 8
; WaveLimiterHint : 0
; COMPUTE_PGM_RSRC2:SCRATCH_EN: 0
; COMPUTE_PGM_RSRC2:USER_SGPR: 6
; COMPUTE_PGM_RSRC2:TRAP_HANDLER: 0
; COMPUTE_PGM_RSRC2:TGID_X_EN: 1
; COMPUTE_PGM_RSRC2:TGID_Y_EN: 0
; COMPUTE_PGM_RSRC2:TGID_Z_EN: 0
; COMPUTE_PGM_RSRC2:TIDIG_COMP_CNT: 1
; COMPUTE_PGM_RSRC3_GFX90A:ACCUM_OFFSET: 7
; COMPUTE_PGM_RSRC3_GFX90A:TG_SPLIT: 0
	.section	.text._ZN4vllm3moe17topkGatingSoftmaxIDF16_Li16ELi16ELi8ELi32ELb1ELi1ELNS0_23SharedExpertScoringFuncE1EEEvPKT_PKbPfiPiS9_iiiiii,"axG",@progbits,_ZN4vllm3moe17topkGatingSoftmaxIDF16_Li16ELi16ELi8ELi32ELb1ELi1ELNS0_23SharedExpertScoringFuncE1EEEvPKT_PKbPfiPiS9_iiiiii,comdat
	.protected	_ZN4vllm3moe17topkGatingSoftmaxIDF16_Li16ELi16ELi8ELi32ELb1ELi1ELNS0_23SharedExpertScoringFuncE1EEEvPKT_PKbPfiPiS9_iiiiii ; -- Begin function _ZN4vllm3moe17topkGatingSoftmaxIDF16_Li16ELi16ELi8ELi32ELb1ELi1ELNS0_23SharedExpertScoringFuncE1EEEvPKT_PKbPfiPiS9_iiiiii
	.globl	_ZN4vllm3moe17topkGatingSoftmaxIDF16_Li16ELi16ELi8ELi32ELb1ELi1ELNS0_23SharedExpertScoringFuncE1EEEvPKT_PKbPfiPiS9_iiiiii
	.p2align	8
	.type	_ZN4vllm3moe17topkGatingSoftmaxIDF16_Li16ELi16ELi8ELi32ELb1ELi1ELNS0_23SharedExpertScoringFuncE1EEEvPKT_PKbPfiPiS9_iiiiii,@function
_ZN4vllm3moe17topkGatingSoftmaxIDF16_Li16ELi16ELi8ELi32ELb1ELi1ELNS0_23SharedExpertScoringFuncE1EEEvPKT_PKbPfiPiS9_iiiiii: ; @_ZN4vllm3moe17topkGatingSoftmaxIDF16_Li16ELi16ELi8ELi32ELb1ELi1ELNS0_23SharedExpertScoringFuncE1EEEvPKT_PKbPfiPiS9_iiiiii
; %bb.0:
	s_load_dword s33, s[4:5], 0x18
	v_bfe_u32 v1, v0, 10, 10
	s_lshl_b32 s34, s6, 9
	v_lshlrev_b32_e32 v8, 6, v1
	v_and_b32_e32 v9, 0x3ff, v0
	v_add3_u32 v10, v8, v9, s34
	s_waitcnt lgkmcnt(0)
	v_cmp_gt_i32_e32 vcc, s33, v10
	s_and_saveexec_b64 s[0:1], vcc
	s_cbranch_execz .LBB148_19
; %bb.1:
	s_load_dwordx4 s[0:3], s[4:5], 0x0
	s_load_dwordx2 s[40:41], s[4:5], 0x10
	s_waitcnt lgkmcnt(0)
	s_cmp_eq_u64 s[2:3], 0
	s_cbranch_scc1 .LBB148_3
; %bb.2:
	v_ashrrev_i32_e32 v1, 31, v10
	v_mov_b32_e32 v2, s3
	v_add_co_u32_e32 v0, vcc, s2, v10
	v_addc_co_u32_e32 v1, vcc, v2, v1, vcc
	global_load_ubyte v0, v[0:1], off
	s_waitcnt vmcnt(0)
	v_and_b32_e32 v0, 1, v0
	v_cmp_eq_u32_e32 vcc, 1, v0
	s_xor_b64 s[2:3], vcc, -1
	s_orn2_b64 s[42:43], s[2:3], exec
	s_branch .LBB148_4
.LBB148_3:
	s_mov_b64 s[42:43], -1
.LBB148_4:
	s_load_dwordx2 s[2:3], s[4:5], 0x40
	s_load_dwordx4 s[36:39], s[4:5], 0x30
	v_mov_b32_e32 v2, s1
	s_mov_b32 s1, 0x32a5705f
	s_mov_b32 s6, 0x42b17218
	s_waitcnt lgkmcnt(0)
	v_mul_lo_u32 v0, v10, s3
	v_ashrrev_i32_e32 v1, 31, v0
	v_lshlrev_b64 v[0:1], 1, v[0:1]
	v_add_co_u32_e32 v12, vcc, s0, v0
	v_addc_co_u32_e32 v13, vcc, v2, v1, vcc
	global_load_ushort v11, v[12:13], off offset:32
	global_load_dwordx4 v[0:3], v[12:13], off offset:16
	global_load_dwordx4 v[4:7], v[12:13], off
	s_mov_b32 s0, 0x3fb8aa3b
	s_mov_b32 s3, 0xc2ce8ed0
	v_mov_b32_e32 v13, 0x7f800000
	v_mul_lo_u32 v16, v10, s39
	v_add_u32_e32 v14, s36, v16
	v_mov_b32_e32 v12, s41
	s_cmp_gt_i32 s36, 0
	v_mov_b32_e32 v24, 0
	s_cselect_b64 s[44:45], -1, 0
	s_cmp_lt_i32 s36, 1
	s_waitcnt vmcnt(2)
	v_cvt_f32_f16_e64 v17, -v11
	v_mul_f32_e32 v15, 0x3fb8aa3b, v17
	v_fma_mix_f32 v18, -v11, s0, -v15 op_sel_hi:[1,0,0]
	v_rndne_f32_e32 v19, v15
	v_fma_mix_f32 v11, -v11, s1, v18 op_sel_hi:[1,0,0]
	v_sub_f32_e32 v15, v15, v19
	v_add_f32_e32 v11, v15, v11
	v_cvt_i32_f32_e32 v18, v19
	v_exp_f32_e32 v11, v11
	v_cmp_ngt_f32_e32 vcc, s3, v17
	v_ashrrev_i32_e32 v15, 31, v14
	v_lshlrev_b64 v[14:15], 2, v[14:15]
	v_ldexp_f32 v11, v11, v18
	v_cndmask_b32_e32 v11, 0, v11, vcc
	v_cmp_nlt_f32_e32 vcc, s6, v17
	v_cndmask_b32_e32 v11, v13, v11, vcc
	v_add_f32_e32 v11, 1.0, v11
	v_div_scale_f32 v17, s[8:9], v11, v11, 1.0
	v_rcp_f32_e32 v18, v17
	v_add_co_u32_e32 v14, vcc, s40, v14
	v_addc_co_u32_e32 v15, vcc, v12, v15, vcc
	v_fma_f32 v19, -v17, v18, 1.0
	v_div_scale_f32 v12, vcc, 1.0, v11, 1.0
	v_fmac_f32_e32 v18, v19, v18
	v_mul_f32_e32 v19, v12, v18
	v_fma_f32 v20, -v17, v19, v12
	v_fmac_f32_e32 v19, v20, v18
	v_fma_f32 v12, -v17, v19, v12
	v_div_fmas_f32 v12, v12, v18, v19
	v_div_fixup_f32 v11, v12, v11, 1.0
	global_store_dword v[14:15], v11, off
	s_cbranch_scc1 .LBB148_8
; %bb.5:
	s_waitcnt vmcnt(1)
	v_cvt_f32_f16_e32 v27, v4
	v_cvt_f32_f16_sdwa v28, v4 dst_sel:DWORD dst_unused:UNUSED_PAD src0_sel:WORD_1
	v_cvt_f32_f16_e32 v31, v5
	v_cvt_f32_f16_sdwa v30, v5 dst_sel:DWORD dst_unused:UNUSED_PAD src0_sel:WORD_1
	v_cmp_lt_f16_sdwa vcc, v4, v4 src0_sel:DWORD src1_sel:WORD_1
	v_cvt_f32_f16_sdwa v11, v1 dst_sel:DWORD dst_unused:UNUSED_PAD src0_sel:WORD_1
	v_cvt_f32_f16_e32 v38, v1
	v_cndmask_b32_e32 v1, v27, v28, vcc
	v_cvt_f32_f16_e32 v33, v6
	v_cvt_f32_f16_sdwa v36, v0 dst_sel:DWORD dst_unused:UNUSED_PAD src0_sel:WORD_1
	v_cvt_f32_f16_e32 v37, v0
	v_cndmask_b32_e64 v0, 0, 1, vcc
	v_cmp_lt_f32_e32 vcc, v1, v31
	v_cndmask_b32_e32 v1, v1, v31, vcc
	v_cvt_f32_f16_sdwa v32, v6 dst_sel:DWORD dst_unused:UNUSED_PAD src0_sel:WORD_1
	v_cndmask_b32_e64 v0, v0, 2, vcc
	v_cmp_lt_f32_e32 vcc, v1, v30
	v_cndmask_b32_e32 v1, v1, v30, vcc
	v_cvt_f32_f16_e32 v35, v7
	v_cndmask_b32_e64 v0, v0, 3, vcc
	v_cmp_lt_f32_e32 vcc, v1, v33
	v_cndmask_b32_e32 v1, v1, v33, vcc
	v_cvt_f32_f16_sdwa v34, v7 dst_sel:DWORD dst_unused:UNUSED_PAD src0_sel:WORD_1
	v_cndmask_b32_e64 v0, v0, 4, vcc
	v_cmp_lt_f32_e32 vcc, v1, v32
	v_cndmask_b32_e32 v1, v1, v32, vcc
	v_cndmask_b32_e64 v0, v0, 5, vcc
	v_cmp_lt_f32_e32 vcc, v1, v35
	v_cndmask_b32_e32 v1, v1, v35, vcc
	;; [unrolled: 3-line block ×5, first 2 shown]
	v_cvt_f32_f16_e32 v39, v2
	v_cndmask_b32_e64 v0, v0, 9, vcc
	v_cmp_lt_f32_e32 vcc, v1, v38
	v_cndmask_b32_e32 v1, v1, v38, vcc
	v_cvt_f32_f16_sdwa v12, v2 dst_sel:DWORD dst_unused:UNUSED_PAD src0_sel:WORD_1
	v_cndmask_b32_e64 v0, v0, 10, vcc
	v_cmp_lt_f32_e32 vcc, v1, v11
	v_cndmask_b32_e32 v1, v1, v11, vcc
	v_cvt_f32_f16_e32 v14, v3
	v_cndmask_b32_e64 v0, v0, 11, vcc
	v_cmp_lt_f32_e32 vcc, v1, v39
	v_cndmask_b32_e32 v1, v1, v39, vcc
	v_cvt_f32_f16_sdwa v15, v3 dst_sel:DWORD dst_unused:UNUSED_PAD src0_sel:WORD_1
	v_cndmask_b32_e64 v0, v0, 12, vcc
	v_cmp_lt_f32_e32 vcc, v1, v12
	v_cndmask_b32_e32 v1, v1, v12, vcc
	v_cndmask_b32_e64 v0, v0, 13, vcc
	v_cmp_lt_f32_e32 vcc, v1, v14
	v_cndmask_b32_e32 v1, v1, v14, vcc
	;; [unrolled: 3-line block ×3, first 2 shown]
	v_cndmask_b32_e64 v40, v0, 15, vcc
	v_sub_f32_e32 v0, v25, v25
	v_mul_f32_e32 v1, 0x3fb8aa3b, v0
	v_fma_f32 v2, v0, s0, -v1
	v_rndne_f32_e32 v3, v1
	v_fmac_f32_e32 v2, 0x32a5705f, v0
	v_sub_f32_e32 v1, v1, v3
	v_add_f32_e32 v1, v1, v2
	v_exp_f32_e32 v1, v1
	v_cvt_i32_f32_e32 v2, v3
	v_cmp_le_i32_e32 vcc, s37, v40
	v_cmp_gt_i32_e64 s[0:1], s38, v40
	s_load_dwordx4 s[28:31], s[4:5], 0x20
	s_and_b64 s[4:5], vcc, s[0:1]
	v_ldexp_f32 v1, v1, v2
	v_cmp_ngt_f32_e32 vcc, s3, v0
	v_cndmask_b32_e32 v1, 0, v1, vcc
	v_cmp_nlt_f32_e32 vcc, s6, v0
	v_ashrrev_i32_e32 v17, 31, v16
	v_cndmask_b32_e32 v24, v13, v1, vcc
	v_lshlrev_b64 v[0:1], 2, v[16:17]
	v_mul_lo_u32 v4, v10, s2
	v_mov_b32_e32 v3, s41
	v_add_co_u32_e32 v2, vcc, s40, v0
	v_addc_co_u32_e64 v3, s[0:1], v3, v1, vcc
	v_ashrrev_i32_e32 v5, 31, v4
	v_mul_lo_u32 v6, v10, s36
	v_subrev_u32_e32 v0, s37, v40
	s_and_b64 s[0:1], s[42:43], s[4:5]
	v_lshlrev_b64 v[4:5], 2, v[4:5]
	global_store_dword v[2:3], v24, off
	v_cndmask_b32_e64 v0, 16, v0, s[0:1]
	s_waitcnt lgkmcnt(0)
	v_mov_b32_e32 v3, s29
	v_add_co_u32_e64 v18, s[0:1], s28, v4
	v_ashrrev_i32_e32 v7, 31, v6
	v_addc_co_u32_e64 v19, s[0:1], v3, v5, s[0:1]
	v_lshlrev_b64 v[6:7], 2, v[6:7]
	global_store_dword v[18:19], v0, off
	v_mov_b32_e32 v0, s31
	v_add_co_u32_e64 v18, s[0:1], s30, v6
	v_addc_co_u32_e64 v19, s[0:1], v0, v7, s[0:1]
	s_cmp_eq_u32 s36, 1
	global_store_dword v[18:19], v10, off
	s_cbranch_scc1 .LBB148_8
; %bb.6:
	v_mov_b32_e32 v0, s31
	v_add_co_u32_e64 v3, s[26:27], s30, v6
	v_addc_co_u32_e64 v0, s[26:27], v7, v0, s[26:27]
	v_add_co_u32_e64 v18, s[26:27], 4, v3
	v_addc_co_u32_e64 v19, s[26:27], 0, v0, s[26:27]
	v_mov_b32_e32 v0, s29
	v_add_co_u32_e64 v3, s[26:27], s28, v4
	v_addc_co_u32_e64 v0, s[26:27], v5, v0, s[26:27]
	v_add_co_u32_e64 v20, s[26:27], 4, v3
	v_addc_co_u32_e64 v21, s[26:27], 0, v0, s[26:27]
	v_mov_b32_e32 v0, s41
	v_addc_co_u32_e32 v0, vcc, v1, v0, vcc
	v_mov_b32_e32 v17, 0xff800000
	v_cmp_ne_u32_e64 s[0:1], 15, v40
	v_add_co_u32_e32 v22, vcc, 4, v2
	v_cndmask_b32_e64 v15, v17, v15, s[0:1]
	v_cmp_ne_u32_e64 s[0:1], 14, v40
	v_addc_co_u32_e32 v23, vcc, 0, v0, vcc
	v_cndmask_b32_e64 v14, v17, v14, s[0:1]
	v_cmp_ne_u32_e64 s[0:1], 12, v40
	v_cmp_ne_u32_e64 s[2:3], 11, v40
	;; [unrolled: 1-line block ×13, first 2 shown]
	s_add_i32 s34, s34, s33
	v_cmp_ne_u32_e32 vcc, 13, v40
	s_add_i32 s39, s36, -1
	v_add3_u32 v26, s34, v9, v8
	s_mov_b32 s46, 0x3fb8aa3b
	s_mov_b32 s47, 0xc2ce8ed0
	;; [unrolled: 1-line block ×3, first 2 shown]
	v_mov_b32_e32 v29, 0x7f800000
	v_cndmask_b32_e32 v13, v17, v12, vcc
	v_cndmask_b32_e64 v12, v17, v39, s[0:1]
	v_cndmask_b32_e64 v11, v17, v11, s[2:3]
	;; [unrolled: 1-line block ×13, first 2 shown]
.LBB148_7:                              ; =>This Inner Loop Header: Depth=1
	v_cmp_gt_f32_e32 vcc, v1, v0
	v_cndmask_b32_e32 v27, v0, v1, vcc
	v_cmp_gt_f32_e64 s[0:1], v2, v27
	v_cndmask_b32_e64 v27, v27, v2, s[0:1]
	v_cmp_gt_f32_e64 s[2:3], v3, v27
	v_cndmask_b32_e64 v27, v27, v3, s[2:3]
	v_cmp_gt_f32_e64 s[4:5], v4, v27
	v_cndmask_b32_e64 v27, v27, v4, s[4:5]
	v_cmp_gt_f32_e64 s[6:7], v5, v27
	v_cndmask_b32_e64 v27, v27, v5, s[6:7]
	v_cmp_gt_f32_e64 s[8:9], v6, v27
	v_cndmask_b32_e64 v27, v27, v6, s[8:9]
	v_cmp_gt_f32_e64 s[10:11], v7, v27
	v_cndmask_b32_e64 v27, v27, v7, s[10:11]
	v_cmp_gt_f32_e64 s[12:13], v8, v27
	v_cndmask_b32_e64 v27, v27, v8, s[12:13]
	v_cmp_gt_f32_e64 s[14:15], v9, v27
	v_cndmask_b32_e64 v27, v27, v9, s[14:15]
	v_cmp_gt_f32_e64 s[16:17], v10, v27
	v_cndmask_b32_e64 v27, v27, v10, s[16:17]
	v_cmp_gt_f32_e64 s[18:19], v11, v27
	v_cndmask_b32_e64 v27, v27, v11, s[18:19]
	v_cmp_gt_f32_e64 s[20:21], v12, v27
	v_cndmask_b32_e64 v27, v27, v12, s[20:21]
	v_cmp_gt_f32_e64 s[22:23], v13, v27
	v_cndmask_b32_e64 v27, v27, v13, s[22:23]
	v_cmp_gt_f32_e64 s[24:25], v14, v27
	v_cndmask_b32_e64 v27, v27, v14, s[24:25]
	v_cmp_gt_f32_e64 s[26:27], v15, v27
	v_cndmask_b32_e64 v27, v27, v15, s[26:27]
	v_sub_f32_e32 v27, v27, v25
	v_mul_f32_e32 v28, 0x3fb8aa3b, v27
	v_fma_f32 v30, v27, s46, -v28
	v_rndne_f32_e32 v31, v28
	v_fmac_f32_e32 v30, 0x32a5705f, v27
	v_sub_f32_e32 v28, v28, v31
	v_add_f32_e32 v28, v28, v30
	v_cndmask_b32_e64 v30, 0, 1, vcc
	v_cndmask_b32_e64 v30, v30, 2, s[0:1]
	v_cndmask_b32_e64 v30, v30, 3, s[2:3]
	;; [unrolled: 1-line block ×14, first 2 shown]
	v_cmp_le_i32_e32 vcc, s37, v30
	v_cmp_gt_i32_e64 s[0:1], s38, v30
	s_and_b64 s[0:1], vcc, s[0:1]
	v_cmp_ne_u32_e64 s[2:3], 15, v30
	v_cmp_ne_u32_e64 s[4:5], 14, v30
	;; [unrolled: 1-line block ×16, first 2 shown]
	v_subrev_u32_e32 v30, s37, v30
	s_and_b64 vcc, s[42:43], s[0:1]
	v_cndmask_b32_e32 v30, 16, v30, vcc
	global_store_dword v[20:21], v30, off
	v_cvt_i32_f32_e32 v30, v31
	v_exp_f32_e32 v28, v28
	v_cmp_ngt_f32_e32 vcc, s47, v27
	global_store_dword v[18:19], v26, off
	s_add_i32 s39, s39, -1
	v_ldexp_f32 v28, v28, v30
	v_cndmask_b32_e32 v28, 0, v28, vcc
	v_cmp_nlt_f32_e32 vcc, s48, v27
	v_cndmask_b32_e32 v27, v29, v28, vcc
	v_add_co_u32_e32 v18, vcc, 4, v18
	v_addc_co_u32_e32 v19, vcc, 0, v19, vcc
	v_add_co_u32_e32 v20, vcc, 4, v20
	v_addc_co_u32_e32 v21, vcc, 0, v21, vcc
	global_store_dword v[22:23], v27, off
	v_add_co_u32_e32 v22, vcc, 4, v22
	v_add_f32_e32 v24, v24, v27
	v_cndmask_b32_e64 v15, v17, v15, s[2:3]
	v_cndmask_b32_e64 v14, v17, v14, s[4:5]
	;; [unrolled: 1-line block ×16, first 2 shown]
	v_add_u32_e32 v26, s33, v26
	s_cmp_eq_u32 s39, 0
	v_addc_co_u32_e32 v23, vcc, 0, v23, vcc
	s_cbranch_scc0 .LBB148_7
.LBB148_8:
	v_cmp_neq_f32_e32 vcc, 0, v24
	s_and_b64 exec, exec, vcc
	s_cbranch_execz .LBB148_19
; %bb.9:
	s_andn2_b64 vcc, exec, s[44:45]
	s_cbranch_vccnz .LBB148_19
; %bb.10:
	s_waitcnt vmcnt(2)
	v_div_scale_f32 v0, s[0:1], v24, v24, 1.0
	v_rcp_f32_e32 v1, v0
	v_div_scale_f32 v2, vcc, 1.0, v24, 1.0
	s_cmp_gt_u32 s36, 3
	v_fma_f32 v3, -v0, v1, 1.0
	v_fmac_f32_e32 v1, v3, v1
	v_mul_f32_e32 v3, v2, v1
	s_waitcnt vmcnt(1)
	v_fma_f32 v4, -v0, v3, v2
	v_fmac_f32_e32 v3, v4, v1
	v_fma_f32 v0, -v0, v3, v2
	v_div_fmas_f32 v0, v0, v1, v3
	v_div_fixup_f32 v0, v0, v24, 1.0
	v_ashrrev_i32_e32 v17, 31, v16
	s_cbranch_scc0 .LBB148_14
; %bb.11:
	v_lshlrev_b64 v[2:3], 2, v[16:17]
	v_mov_b32_e32 v4, s41
	v_add_co_u32_e32 v2, vcc, s40, v2
	v_addc_co_u32_e32 v3, vcc, v3, v4, vcc
	s_and_b32 s4, s36, 0x7ffffffc
	v_add_co_u32_e32 v2, vcc, 8, v2
	v_mov_b32_e32 v1, v0
	v_addc_co_u32_e32 v3, vcc, 0, v3, vcc
	s_mov_b32 s0, s4
.LBB148_12:                             ; =>This Inner Loop Header: Depth=1
	global_load_dwordx4 v[4:7], v[2:3], off offset:-8
	s_add_i32 s0, s0, -4
	s_cmp_lg_u32 s0, 0
	s_waitcnt vmcnt(0)
	v_pk_mul_f32 v[4:5], v[0:1], v[4:5]
	v_pk_mul_f32 v[6:7], v[0:1], v[6:7]
	global_store_dwordx4 v[2:3], v[4:7], off offset:-8
	v_add_co_u32_e32 v2, vcc, 16, v2
	v_addc_co_u32_e32 v3, vcc, 0, v3, vcc
	s_cbranch_scc1 .LBB148_12
; %bb.13:
	s_cmp_lg_u32 s4, s36
	s_cselect_b64 s[0:1], -1, 0
	s_branch .LBB148_16
.LBB148_14:
	s_mov_b64 s[0:1], 0
                                        ; implicit-def: $sgpr4
	s_cbranch_execz .LBB148_16
; %bb.15:
	s_mov_b64 s[0:1], -1
	s_mov_b32 s4, 0
.LBB148_16:
	s_andn2_b64 vcc, exec, s[0:1]
	s_cbranch_vccnz .LBB148_19
; %bb.17:
	v_add_co_u32_e32 v2, vcc, s4, v16
	v_addc_co_u32_e32 v3, vcc, 0, v17, vcc
	v_lshlrev_b64 v[2:3], 2, v[2:3]
	v_mov_b32_e32 v1, s41
	v_add_co_u32_e32 v2, vcc, s40, v2
	s_sub_i32 s0, s36, s4
	v_addc_co_u32_e32 v3, vcc, v1, v3, vcc
.LBB148_18:                             ; =>This Inner Loop Header: Depth=1
	global_load_dword v1, v[2:3], off
	s_add_i32 s0, s0, -1
	s_cmp_lg_u32 s0, 0
	s_waitcnt vmcnt(0)
	v_mul_f32_e32 v1, v0, v1
	global_store_dword v[2:3], v1, off
	v_add_co_u32_e32 v2, vcc, 4, v2
	v_addc_co_u32_e32 v3, vcc, 0, v3, vcc
	s_cbranch_scc1 .LBB148_18
.LBB148_19:
	s_endpgm
	.section	.rodata,"a",@progbits
	.p2align	6, 0x0
	.amdhsa_kernel _ZN4vllm3moe17topkGatingSoftmaxIDF16_Li16ELi16ELi8ELi32ELb1ELi1ELNS0_23SharedExpertScoringFuncE1EEEvPKT_PKbPfiPiS9_iiiiii
		.amdhsa_group_segment_fixed_size 0
		.amdhsa_private_segment_fixed_size 0
		.amdhsa_kernarg_size 72
		.amdhsa_user_sgpr_count 6
		.amdhsa_user_sgpr_private_segment_buffer 1
		.amdhsa_user_sgpr_dispatch_ptr 0
		.amdhsa_user_sgpr_queue_ptr 0
		.amdhsa_user_sgpr_kernarg_segment_ptr 1
		.amdhsa_user_sgpr_dispatch_id 0
		.amdhsa_user_sgpr_flat_scratch_init 0
		.amdhsa_user_sgpr_kernarg_preload_length 0
		.amdhsa_user_sgpr_kernarg_preload_offset 0
		.amdhsa_user_sgpr_private_segment_size 0
		.amdhsa_uses_dynamic_stack 0
		.amdhsa_system_sgpr_private_segment_wavefront_offset 0
		.amdhsa_system_sgpr_workgroup_id_x 1
		.amdhsa_system_sgpr_workgroup_id_y 0
		.amdhsa_system_sgpr_workgroup_id_z 0
		.amdhsa_system_sgpr_workgroup_info 0
		.amdhsa_system_vgpr_workitem_id 1
		.amdhsa_next_free_vgpr 41
		.amdhsa_next_free_sgpr 49
		.amdhsa_accum_offset 44
		.amdhsa_reserve_vcc 1
		.amdhsa_reserve_flat_scratch 0
		.amdhsa_float_round_mode_32 0
		.amdhsa_float_round_mode_16_64 0
		.amdhsa_float_denorm_mode_32 3
		.amdhsa_float_denorm_mode_16_64 3
		.amdhsa_dx10_clamp 1
		.amdhsa_ieee_mode 1
		.amdhsa_fp16_overflow 0
		.amdhsa_tg_split 0
		.amdhsa_exception_fp_ieee_invalid_op 0
		.amdhsa_exception_fp_denorm_src 0
		.amdhsa_exception_fp_ieee_div_zero 0
		.amdhsa_exception_fp_ieee_overflow 0
		.amdhsa_exception_fp_ieee_underflow 0
		.amdhsa_exception_fp_ieee_inexact 0
		.amdhsa_exception_int_div_zero 0
	.end_amdhsa_kernel
	.section	.text._ZN4vllm3moe17topkGatingSoftmaxIDF16_Li16ELi16ELi8ELi32ELb1ELi1ELNS0_23SharedExpertScoringFuncE1EEEvPKT_PKbPfiPiS9_iiiiii,"axG",@progbits,_ZN4vllm3moe17topkGatingSoftmaxIDF16_Li16ELi16ELi8ELi32ELb1ELi1ELNS0_23SharedExpertScoringFuncE1EEEvPKT_PKbPfiPiS9_iiiiii,comdat
.Lfunc_end148:
	.size	_ZN4vllm3moe17topkGatingSoftmaxIDF16_Li16ELi16ELi8ELi32ELb1ELi1ELNS0_23SharedExpertScoringFuncE1EEEvPKT_PKbPfiPiS9_iiiiii, .Lfunc_end148-_ZN4vllm3moe17topkGatingSoftmaxIDF16_Li16ELi16ELi8ELi32ELb1ELi1ELNS0_23SharedExpertScoringFuncE1EEEvPKT_PKbPfiPiS9_iiiiii
                                        ; -- End function
	.section	.AMDGPU.csdata,"",@progbits
; Kernel info:
; codeLenInByte = 2568
; NumSgprs: 53
; NumVgprs: 41
; NumAgprs: 0
; TotalNumVgprs: 41
; ScratchSize: 0
; MemoryBound: 0
; FloatMode: 240
; IeeeMode: 1
; LDSByteSize: 0 bytes/workgroup (compile time only)
; SGPRBlocks: 6
; VGPRBlocks: 5
; NumSGPRsForWavesPerEU: 53
; NumVGPRsForWavesPerEU: 41
; AccumOffset: 44
; Occupancy: 8
; WaveLimiterHint : 0
; COMPUTE_PGM_RSRC2:SCRATCH_EN: 0
; COMPUTE_PGM_RSRC2:USER_SGPR: 6
; COMPUTE_PGM_RSRC2:TRAP_HANDLER: 0
; COMPUTE_PGM_RSRC2:TGID_X_EN: 1
; COMPUTE_PGM_RSRC2:TGID_Y_EN: 0
; COMPUTE_PGM_RSRC2:TGID_Z_EN: 0
; COMPUTE_PGM_RSRC2:TIDIG_COMP_CNT: 1
; COMPUTE_PGM_RSRC3_GFX90A:ACCUM_OFFSET: 10
; COMPUTE_PGM_RSRC3_GFX90A:TG_SPLIT: 0
	.section	.text._ZN4vllm3moe17topkGatingSoftmaxIDF16_Li16ELi16ELi8ELi32ELb0ELi1ELNS0_23SharedExpertScoringFuncE1EEEvPKT_PKbPfiPiS9_iiiiii,"axG",@progbits,_ZN4vllm3moe17topkGatingSoftmaxIDF16_Li16ELi16ELi8ELi32ELb0ELi1ELNS0_23SharedExpertScoringFuncE1EEEvPKT_PKbPfiPiS9_iiiiii,comdat
	.protected	_ZN4vllm3moe17topkGatingSoftmaxIDF16_Li16ELi16ELi8ELi32ELb0ELi1ELNS0_23SharedExpertScoringFuncE1EEEvPKT_PKbPfiPiS9_iiiiii ; -- Begin function _ZN4vllm3moe17topkGatingSoftmaxIDF16_Li16ELi16ELi8ELi32ELb0ELi1ELNS0_23SharedExpertScoringFuncE1EEEvPKT_PKbPfiPiS9_iiiiii
	.globl	_ZN4vllm3moe17topkGatingSoftmaxIDF16_Li16ELi16ELi8ELi32ELb0ELi1ELNS0_23SharedExpertScoringFuncE1EEEvPKT_PKbPfiPiS9_iiiiii
	.p2align	8
	.type	_ZN4vllm3moe17topkGatingSoftmaxIDF16_Li16ELi16ELi8ELi32ELb0ELi1ELNS0_23SharedExpertScoringFuncE1EEEvPKT_PKbPfiPiS9_iiiiii,@function
_ZN4vllm3moe17topkGatingSoftmaxIDF16_Li16ELi16ELi8ELi32ELb0ELi1ELNS0_23SharedExpertScoringFuncE1EEEvPKT_PKbPfiPiS9_iiiiii: ; @_ZN4vllm3moe17topkGatingSoftmaxIDF16_Li16ELi16ELi8ELi32ELb0ELi1ELNS0_23SharedExpertScoringFuncE1EEEvPKT_PKbPfiPiS9_iiiiii
; %bb.0:
	s_load_dword s52, s[4:5], 0x18
	v_bfe_u32 v1, v0, 10, 10
	s_lshl_b32 s53, s6, 9
	v_lshlrev_b32_e32 v28, 6, v1
	v_and_b32_e32 v29, 0x3ff, v0
	v_add3_u32 v22, v28, v29, s53
	s_waitcnt lgkmcnt(0)
	v_cmp_gt_i32_e32 vcc, s52, v22
	s_and_saveexec_b64 s[0:1], vcc
	s_cbranch_execz .LBB149_19
; %bb.1:
	s_load_dwordx4 s[0:3], s[4:5], 0x0
	s_load_dwordx2 s[44:45], s[4:5], 0x10
	s_waitcnt lgkmcnt(0)
	s_cmp_eq_u64 s[2:3], 0
	s_cbranch_scc1 .LBB149_3
; %bb.2:
	v_ashrrev_i32_e32 v1, 31, v22
	v_mov_b32_e32 v2, s3
	v_add_co_u32_e32 v0, vcc, s2, v22
	v_addc_co_u32_e32 v1, vcc, v2, v1, vcc
	global_load_ubyte v0, v[0:1], off
	s_waitcnt vmcnt(0)
	v_and_b32_e32 v0, 1, v0
	v_cmp_eq_u32_e32 vcc, 1, v0
	s_xor_b64 s[2:3], vcc, -1
	s_orn2_b64 s[48:49], s[2:3], exec
	s_branch .LBB149_4
.LBB149_3:
	s_mov_b64 s[48:49], -1
.LBB149_4:
	s_load_dwordx2 s[30:31], s[4:5], 0x40
	s_load_dwordx4 s[36:39], s[4:5], 0x30
	v_mov_b32_e32 v2, s1
	s_mov_b32 s50, 0x3fb8aa3b
	v_mov_b32_e32 v3, s45
	s_waitcnt lgkmcnt(0)
	v_mul_lo_u32 v0, v22, s31
	v_ashrrev_i32_e32 v1, 31, v0
	v_lshlrev_b64 v[0:1], 1, v[0:1]
	v_add_co_u32_e32 v0, vcc, s0, v0
	v_addc_co_u32_e32 v1, vcc, v2, v1, vcc
	global_load_ushort v2, v[0:1], off offset:32
	global_load_dwordx4 v[4:7], v[0:1], off
	global_load_dwordx4 v[12:15], v[0:1], off offset:16
	s_mov_b32 s0, 0x32a5705f
	v_mul_lo_u32 v16, v22, s39
	v_add_u32_e32 v0, s36, v16
	v_ashrrev_i32_e32 v1, 31, v0
	v_lshlrev_b64 v[0:1], 2, v[0:1]
	s_mov_b32 s33, 0xc2ce8ed0
	s_mov_b32 s51, 0x42b17218
	v_mov_b32_e32 v26, 0x7f800000
	s_cmp_gt_i32 s36, 0
	s_cselect_b64 s[46:47], -1, 0
	s_cmp_lt_i32 s36, 1
	s_waitcnt vmcnt(2)
	v_cvt_f32_f16_e64 v8, -v2
	v_mul_f32_e32 v9, 0x3fb8aa3b, v8
	v_fma_mix_f32 v10, -v2, s50, -v9 op_sel_hi:[1,0,0]
	v_rndne_f32_e32 v11, v9
	v_fma_mix_f32 v2, -v2, s0, v10 op_sel_hi:[1,0,0]
	v_sub_f32_e32 v9, v9, v11
	v_add_f32_e32 v2, v9, v2
	v_cvt_i32_f32_e32 v10, v11
	v_exp_f32_e32 v9, v2
	v_add_co_u32_e32 v2, vcc, s44, v0
	v_addc_co_u32_e32 v3, vcc, v3, v1, vcc
	v_ldexp_f32 v1, v9, v10
	v_cmp_ngt_f32_e32 vcc, s33, v8
	v_cndmask_b32_e32 v1, 0, v1, vcc
	v_cmp_nlt_f32_e32 vcc, s51, v8
	v_cndmask_b32_e32 v1, v26, v1, vcc
	v_add_f32_e32 v8, 1.0, v1
	v_div_scale_f32 v9, s[0:1], v8, v8, 1.0
	v_rcp_f32_e32 v10, v9
	v_div_scale_f32 v11, vcc, 1.0, v8, 1.0
	s_waitcnt vmcnt(1)
	v_cvt_f32_f16_e32 v0, v4
	v_fma_f32 v17, -v9, v10, 1.0
	v_fmac_f32_e32 v10, v17, v10
	v_mul_f32_e32 v17, v11, v10
	v_fma_f32 v18, -v9, v17, v11
	v_fmac_f32_e32 v17, v18, v10
	v_fma_f32 v9, -v9, v17, v11
	v_div_fmas_f32 v9, v9, v10, v17
	v_cvt_f32_f16_sdwa v1, v4 dst_sel:DWORD dst_unused:UNUSED_PAD src0_sel:WORD_1
	v_div_fixup_f32 v8, v9, v8, 1.0
	global_store_dword v[2:3], v8, off
	v_cvt_f32_f16_e32 v2, v5
	v_cmp_lt_f16_sdwa vcc, v4, v4 src0_sel:DWORD src1_sel:WORD_1
	v_cndmask_b32_e32 v3, v0, v1, vcc
	v_cmp_lt_f32_e64 s[0:1], v3, v2
	v_cndmask_b32_e64 v4, v3, v2, s[0:1]
	v_cvt_f32_f16_sdwa v3, v5 dst_sel:DWORD dst_unused:UNUSED_PAD src0_sel:WORD_1
	v_cmp_lt_f32_e64 s[2:3], v4, v3
	v_cndmask_b32_e64 v5, v4, v3, s[2:3]
	v_cvt_f32_f16_e32 v4, v6
	v_cmp_lt_f32_e64 s[6:7], v5, v4
	v_cndmask_b32_e64 v8, v5, v4, s[6:7]
	v_cvt_f32_f16_sdwa v5, v6 dst_sel:DWORD dst_unused:UNUSED_PAD src0_sel:WORD_1
	v_cvt_f32_f16_e32 v6, v7
	v_cvt_f32_f16_sdwa v7, v7 dst_sel:DWORD dst_unused:UNUSED_PAD src0_sel:WORD_1
	v_cmp_lt_f32_e64 s[8:9], v8, v5
	v_cndmask_b32_e64 v8, v8, v5, s[8:9]
	v_cmp_lt_f32_e64 s[10:11], v8, v6
	v_cndmask_b32_e64 v8, v8, v6, s[10:11]
	;; [unrolled: 2-line block ×3, first 2 shown]
	s_waitcnt vmcnt(1)
	v_cvt_f32_f16_e32 v8, v12
	v_cmp_lt_f32_e64 s[14:15], v9, v8
	v_cndmask_b32_e64 v10, v9, v8, s[14:15]
	v_cvt_f32_f16_sdwa v9, v12 dst_sel:DWORD dst_unused:UNUSED_PAD src0_sel:WORD_1
	v_cmp_lt_f32_e64 s[16:17], v10, v9
	v_cndmask_b32_e64 v11, v10, v9, s[16:17]
	v_cvt_f32_f16_e32 v10, v13
	v_cmp_lt_f32_e64 s[18:19], v11, v10
	v_cndmask_b32_e64 v12, v11, v10, s[18:19]
	v_cvt_f32_f16_sdwa v11, v13 dst_sel:DWORD dst_unused:UNUSED_PAD src0_sel:WORD_1
	v_cmp_lt_f32_e64 s[20:21], v12, v11
	v_cndmask_b32_e64 v13, v12, v11, s[20:21]
	v_cvt_f32_f16_e32 v12, v14
	v_cmp_lt_f32_e64 s[22:23], v13, v12
	v_cndmask_b32_e64 v17, v13, v12, s[22:23]
	v_cvt_f32_f16_sdwa v13, v14 dst_sel:DWORD dst_unused:UNUSED_PAD src0_sel:WORD_1
	v_cvt_f32_f16_e32 v14, v15
	v_cvt_f32_f16_sdwa v15, v15 dst_sel:DWORD dst_unused:UNUSED_PAD src0_sel:WORD_1
	v_cmp_lt_f32_e64 s[24:25], v17, v13
	v_cndmask_b32_e64 v17, v17, v13, s[24:25]
	v_cmp_lt_f32_e64 s[26:27], v17, v14
	v_cndmask_b32_e64 v17, v17, v14, s[26:27]
	;; [unrolled: 2-line block ×3, first 2 shown]
	v_mov_b32_e32 v17, 0
	s_cbranch_scc1 .LBB149_8
; %bb.5:
	s_load_dwordx4 s[40:43], s[4:5], 0x20
	v_mul_lo_u32 v18, v22, s30
	v_ashrrev_i32_e32 v19, 31, v18
	v_lshlrev_b64 v[20:21], 2, v[18:19]
	v_sub_f32_e32 v32, v27, v27
	s_waitcnt lgkmcnt(0)
	v_mov_b32_e32 v17, s41
	v_add_co_u32_e64 v18, s[4:5], s40, v20
	v_addc_co_u32_e64 v19, s[4:5], v17, v21, s[4:5]
	v_cndmask_b32_e64 v17, 0, 1, vcc
	v_cndmask_b32_e64 v17, v17, 2, s[0:1]
	v_cndmask_b32_e64 v17, v17, 3, s[2:3]
	;; [unrolled: 1-line block ×14, first 2 shown]
	v_cmp_le_i32_e32 vcc, s37, v31
	v_cmp_gt_i32_e64 s[0:1], s38, v31
	s_and_b64 s[0:1], vcc, s[0:1]
	v_subrev_u32_e32 v17, s37, v31
	s_and_b64 vcc, s[48:49], s[0:1]
	v_cndmask_b32_e32 v17, 16, v17, vcc
	global_store_dword v[18:19], v17, off
	v_mul_lo_u32 v18, v22, s36
	v_ashrrev_i32_e32 v19, 31, v18
	v_lshlrev_b64 v[18:19], 2, v[18:19]
	v_mov_b32_e32 v17, s43
	v_add_co_u32_e32 v24, vcc, s42, v18
	v_addc_co_u32_e32 v25, vcc, v17, v19, vcc
	v_mul_f32_e32 v17, 0x3fb8aa3b, v32
	global_store_dword v[24:25], v22, off
	v_rndne_f32_e32 v22, v17
	v_sub_f32_e32 v23, v17, v22
	v_fma_f32 v17, v32, s50, -v17
	v_fmac_f32_e32 v17, 0x32a5705f, v32
	v_add_f32_e32 v17, v23, v17
	v_exp_f32_e32 v17, v17
	v_cvt_i32_f32_e32 v22, v22
	v_mov_b32_e32 v25, s45
	v_cmp_ngt_f32_e64 s[34:35], s33, v32
	v_mov_b32_e32 v30, 0xff800000
	v_ldexp_f32 v33, v17, v22
	v_ashrrev_i32_e32 v17, 31, v16
	v_lshlrev_b64 v[22:23], 2, v[16:17]
	v_add_co_u32_e32 v24, vcc, s44, v22
	v_addc_co_u32_e64 v25, s[0:1], v25, v23, vcc
	v_cmp_ne_u32_e64 s[0:1], 15, v31
	v_cmp_ne_u32_e64 s[2:3], 14, v31
	;; [unrolled: 1-line block ×16, first 2 shown]
	v_cndmask_b32_e64 v17, 0, v33, s[34:35]
	v_cmp_nlt_f32_e64 s[34:35], s51, v32
	v_cndmask_b32_e64 v17, v26, v17, s[34:35]
	v_cndmask_b32_e64 v15, v30, v15, s[0:1]
	;; [unrolled: 1-line block ×16, first 2 shown]
	s_cmp_eq_u32 s36, 1
	v_cndmask_b32_e64 v0, v30, v0, s[30:31]
	global_store_dword v[24:25], v17, off
	s_cbranch_scc1 .LBB149_8
; %bb.6:
	v_mov_b32_e32 v22, s43
	v_add_co_u32_e64 v18, s[0:1], s42, v18
	v_addc_co_u32_e64 v19, s[0:1], v19, v22, s[0:1]
	v_add_co_u32_e64 v18, s[0:1], 4, v18
	v_addc_co_u32_e64 v19, s[0:1], 0, v19, s[0:1]
	v_mov_b32_e32 v22, s41
	v_add_co_u32_e64 v20, s[0:1], s40, v20
	v_addc_co_u32_e64 v21, s[0:1], v21, v22, s[0:1]
	v_mov_b32_e32 v22, s45
	v_addc_co_u32_e32 v23, vcc, v23, v22, vcc
	v_add_co_u32_e64 v20, s[0:1], 4, v20
	v_add_co_u32_e32 v22, vcc, 4, v24
	s_add_i32 s53, s53, s52
	v_addc_co_u32_e64 v21, s[0:1], 0, v21, s[0:1]
	v_addc_co_u32_e32 v23, vcc, 0, v23, vcc
	s_add_i32 s39, s36, -1
	v_add3_u32 v24, s53, v29, v28
	s_mov_b32 s40, 0x3fb8aa3b
	s_mov_b32 s41, 0xc2ce8ed0
	;; [unrolled: 1-line block ×3, first 2 shown]
	v_mov_b32_e32 v25, 0x7f800000
.LBB149_7:                              ; =>This Inner Loop Header: Depth=1
	v_cmp_gt_f32_e32 vcc, v1, v0
	v_cndmask_b32_e32 v28, v0, v1, vcc
	v_cmp_gt_f32_e64 s[0:1], v2, v28
	v_cndmask_b32_e64 v28, v28, v2, s[0:1]
	v_cmp_gt_f32_e64 s[2:3], v3, v28
	v_cndmask_b32_e64 v28, v28, v3, s[2:3]
	;; [unrolled: 2-line block ×14, first 2 shown]
	v_sub_f32_e32 v28, v28, v27
	v_mul_f32_e32 v29, 0x3fb8aa3b, v28
	v_fma_f32 v31, v28, s40, -v29
	v_rndne_f32_e32 v32, v29
	v_fmac_f32_e32 v31, 0x32a5705f, v28
	v_sub_f32_e32 v29, v29, v32
	v_add_f32_e32 v29, v29, v31
	v_cndmask_b32_e64 v31, 0, 1, vcc
	v_cndmask_b32_e64 v31, v31, 2, s[0:1]
	v_cndmask_b32_e64 v31, v31, 3, s[2:3]
	;; [unrolled: 1-line block ×14, first 2 shown]
	v_cmp_le_i32_e32 vcc, s37, v31
	v_cmp_gt_i32_e64 s[0:1], s38, v31
	s_and_b64 s[0:1], vcc, s[0:1]
	v_cmp_ne_u32_e64 s[2:3], 15, v31
	v_cmp_ne_u32_e64 s[4:5], 14, v31
	v_cmp_ne_u32_e64 s[6:7], 13, v31
	v_cmp_ne_u32_e64 s[8:9], 12, v31
	v_cmp_ne_u32_e64 s[10:11], 11, v31
	v_cmp_ne_u32_e64 s[12:13], 10, v31
	v_cmp_ne_u32_e64 s[14:15], 9, v31
	v_cmp_ne_u32_e64 s[16:17], 8, v31
	v_cmp_ne_u32_e64 s[18:19], 7, v31
	v_cmp_ne_u32_e64 s[20:21], 6, v31
	v_cmp_ne_u32_e64 s[22:23], 5, v31
	v_cmp_ne_u32_e64 s[24:25], 4, v31
	v_cmp_ne_u32_e64 s[26:27], 3, v31
	v_cmp_ne_u32_e64 s[28:29], 2, v31
	v_cmp_ne_u32_e64 s[30:31], 1, v31
	v_cmp_ne_u32_e64 s[34:35], 0, v31
	v_subrev_u32_e32 v31, s37, v31
	s_and_b64 vcc, s[48:49], s[0:1]
	v_cndmask_b32_e32 v31, 16, v31, vcc
	global_store_dword v[20:21], v31, off
	v_cvt_i32_f32_e32 v31, v32
	v_exp_f32_e32 v29, v29
	v_cmp_ngt_f32_e32 vcc, s41, v28
	global_store_dword v[18:19], v24, off
	s_add_i32 s39, s39, -1
	v_ldexp_f32 v29, v29, v31
	v_cndmask_b32_e32 v29, 0, v29, vcc
	v_cmp_nlt_f32_e32 vcc, s42, v28
	v_cndmask_b32_e32 v28, v25, v29, vcc
	v_add_co_u32_e32 v18, vcc, 4, v18
	v_addc_co_u32_e32 v19, vcc, 0, v19, vcc
	v_add_co_u32_e32 v20, vcc, 4, v20
	v_addc_co_u32_e32 v21, vcc, 0, v21, vcc
	global_store_dword v[22:23], v28, off
	v_add_co_u32_e32 v22, vcc, 4, v22
	v_add_f32_e32 v17, v17, v28
	v_cndmask_b32_e64 v15, v30, v15, s[2:3]
	v_cndmask_b32_e64 v14, v30, v14, s[4:5]
	v_cndmask_b32_e64 v13, v30, v13, s[6:7]
	v_cndmask_b32_e64 v12, v30, v12, s[8:9]
	v_cndmask_b32_e64 v11, v30, v11, s[10:11]
	v_cndmask_b32_e64 v10, v30, v10, s[12:13]
	v_cndmask_b32_e64 v9, v30, v9, s[14:15]
	v_cndmask_b32_e64 v8, v30, v8, s[16:17]
	v_cndmask_b32_e64 v7, v30, v7, s[18:19]
	v_cndmask_b32_e64 v6, v30, v6, s[20:21]
	v_cndmask_b32_e64 v5, v30, v5, s[22:23]
	v_cndmask_b32_e64 v4, v30, v4, s[24:25]
	v_cndmask_b32_e64 v3, v30, v3, s[26:27]
	v_cndmask_b32_e64 v2, v30, v2, s[28:29]
	v_cndmask_b32_e64 v1, v30, v1, s[30:31]
	v_cndmask_b32_e64 v0, v30, v0, s[34:35]
	v_add_u32_e32 v24, s52, v24
	s_cmp_eq_u32 s39, 0
	v_addc_co_u32_e32 v23, vcc, 0, v23, vcc
	s_cbranch_scc0 .LBB149_7
.LBB149_8:
	v_sub_f32_e32 v0, v0, v27
	v_mul_f32_e32 v18, 0x3fb8aa3b, v0
	v_fma_f32 v19, v0, s50, -v18
	v_rndne_f32_e32 v20, v18
	v_fmac_f32_e32 v19, 0x32a5705f, v0
	v_sub_f32_e32 v18, v18, v20
	v_add_f32_e32 v18, v18, v19
	v_exp_f32_e32 v18, v18
	v_cvt_i32_f32_e32 v19, v20
	v_sub_f32_e32 v1, v1, v27
	v_cmp_ngt_f32_e32 vcc, s33, v1
	v_cmp_ngt_f32_e64 s[0:1], s33, v0
	v_ldexp_f32 v18, v18, v19
	v_mul_f32_e32 v19, 0x3fb8aa3b, v1
	v_fma_f32 v20, v1, s50, -v19
	v_rndne_f32_e32 v21, v19
	v_fmac_f32_e32 v20, 0x32a5705f, v1
	v_sub_f32_e32 v19, v19, v21
	v_add_f32_e32 v19, v19, v20
	v_exp_f32_e32 v19, v19
	v_cvt_i32_f32_e32 v20, v21
	v_sub_f32_e32 v2, v2, v27
	v_sub_f32_e32 v3, v3, v27
	;; [unrolled: 1-line block ×3, first 2 shown]
	v_ldexp_f32 v19, v19, v20
	v_cndmask_b32_e32 v19, 0, v19, vcc
	v_cmp_nlt_f32_e32 vcc, s51, v1
	v_cndmask_b32_e64 v1, 0, v18, s[0:1]
	v_cmp_nlt_f32_e64 s[0:1], s51, v0
	v_cndmask_b32_e64 v0, v26, v1, s[0:1]
	v_cndmask_b32_e32 v1, v26, v19, vcc
	v_add_f32_e32 v0, v0, v1
	v_mul_f32_e32 v1, 0x3fb8aa3b, v2
	v_fma_f32 v18, v2, s50, -v1
	v_rndne_f32_e32 v19, v1
	v_fmac_f32_e32 v18, 0x32a5705f, v2
	v_sub_f32_e32 v1, v1, v19
	v_add_f32_e32 v1, v1, v18
	v_exp_f32_e32 v1, v1
	v_cvt_i32_f32_e32 v18, v19
	v_cmp_ngt_f32_e32 vcc, s33, v2
	v_sub_f32_e32 v5, v5, v27
	v_sub_f32_e32 v6, v6, v27
	v_ldexp_f32 v1, v1, v18
	v_cndmask_b32_e32 v1, 0, v1, vcc
	v_cmp_nlt_f32_e32 vcc, s51, v2
	v_cndmask_b32_e32 v1, v26, v1, vcc
	v_add_f32_e32 v0, v0, v1
	v_mul_f32_e32 v1, 0x3fb8aa3b, v3
	v_fma_f32 v2, v3, s50, -v1
	v_rndne_f32_e32 v18, v1
	v_fmac_f32_e32 v2, 0x32a5705f, v3
	v_sub_f32_e32 v1, v1, v18
	v_add_f32_e32 v1, v1, v2
	v_exp_f32_e32 v1, v1
	v_cvt_i32_f32_e32 v2, v18
	v_cmp_ngt_f32_e32 vcc, s33, v3
	v_sub_f32_e32 v7, v7, v27
	v_sub_f32_e32 v8, v8, v27
	v_ldexp_f32 v1, v1, v2
	v_cndmask_b32_e32 v1, 0, v1, vcc
	v_cmp_nlt_f32_e32 vcc, s51, v3
	;; [unrolled: 16-line block ×4, first 2 shown]
	v_cndmask_b32_e32 v1, v26, v1, vcc
	v_add_f32_e32 v0, v0, v1
	v_mul_f32_e32 v1, 0x3fb8aa3b, v6
	v_fma_f32 v2, v6, s50, -v1
	v_rndne_f32_e32 v3, v1
	v_fmac_f32_e32 v2, 0x32a5705f, v6
	v_sub_f32_e32 v1, v1, v3
	v_add_f32_e32 v1, v1, v2
	v_exp_f32_e32 v1, v1
	v_cvt_i32_f32_e32 v2, v3
	v_cmp_ngt_f32_e32 vcc, s33, v6
	v_ldexp_f32 v1, v1, v2
	v_cndmask_b32_e32 v1, 0, v1, vcc
	v_cmp_nlt_f32_e32 vcc, s51, v6
	v_cndmask_b32_e32 v1, v26, v1, vcc
	v_add_f32_e32 v0, v0, v1
	v_mul_f32_e32 v1, 0x3fb8aa3b, v7
	v_fma_f32 v2, v7, s50, -v1
	v_rndne_f32_e32 v3, v1
	v_fmac_f32_e32 v2, 0x32a5705f, v7
	v_sub_f32_e32 v1, v1, v3
	v_add_f32_e32 v1, v1, v2
	v_exp_f32_e32 v1, v1
	v_cvt_i32_f32_e32 v2, v3
	v_cmp_ngt_f32_e32 vcc, s33, v7
	v_ldexp_f32 v1, v1, v2
	v_mul_f32_e32 v2, 0x3fb8aa3b, v8
	v_fma_f32 v3, v8, s50, -v2
	v_rndne_f32_e32 v4, v2
	v_fmac_f32_e32 v3, 0x32a5705f, v8
	v_sub_f32_e32 v2, v2, v4
	v_add_f32_e32 v2, v2, v3
	v_exp_f32_e32 v2, v2
	v_cvt_i32_f32_e32 v3, v4
	v_cndmask_b32_e32 v1, 0, v1, vcc
	v_cmp_nlt_f32_e32 vcc, s51, v7
	v_cndmask_b32_e32 v1, v26, v1, vcc
	v_add_f32_e32 v0, v0, v1
	v_ldexp_f32 v1, v2, v3
	v_mul_f32_e32 v2, 0x3fb8aa3b, v9
	v_fma_f32 v3, v9, s50, -v2
	v_rndne_f32_e32 v4, v2
	v_fmac_f32_e32 v3, 0x32a5705f, v9
	v_sub_f32_e32 v2, v2, v4
	v_add_f32_e32 v2, v2, v3
	v_exp_f32_e32 v2, v2
	v_cvt_i32_f32_e32 v3, v4
	v_cmp_ngt_f32_e32 vcc, s33, v8
	v_cndmask_b32_e32 v1, 0, v1, vcc
	v_cmp_nlt_f32_e32 vcc, s51, v8
	v_cndmask_b32_e32 v1, v26, v1, vcc
	v_add_f32_e32 v0, v0, v1
	v_ldexp_f32 v1, v2, v3
	v_mul_f32_e32 v2, 0x3fb8aa3b, v10
	v_fma_f32 v3, v10, s50, -v2
	v_rndne_f32_e32 v4, v2
	v_fmac_f32_e32 v3, 0x32a5705f, v10
	v_sub_f32_e32 v2, v2, v4
	v_add_f32_e32 v2, v2, v3
	v_exp_f32_e32 v2, v2
	v_cvt_i32_f32_e32 v3, v4
	v_cmp_ngt_f32_e32 vcc, s33, v9
	;; [unrolled: 14-line block ×4, first 2 shown]
	v_cndmask_b32_e32 v1, 0, v1, vcc
	v_cmp_nlt_f32_e32 vcc, s51, v11
	v_cndmask_b32_e32 v1, v26, v1, vcc
	v_add_f32_e32 v0, v0, v1
	v_ldexp_f32 v1, v2, v3
	v_sub_f32_e32 v2, v13, v27
	v_mul_f32_e32 v3, 0x3fb8aa3b, v2
	v_fma_f32 v4, v2, s50, -v3
	v_rndne_f32_e32 v5, v3
	v_fmac_f32_e32 v4, 0x32a5705f, v2
	v_sub_f32_e32 v3, v3, v5
	v_add_f32_e32 v3, v3, v4
	v_exp_f32_e32 v3, v3
	v_cvt_i32_f32_e32 v4, v5
	v_cmp_ngt_f32_e32 vcc, s33, v12
	v_cndmask_b32_e32 v1, 0, v1, vcc
	v_cmp_nlt_f32_e32 vcc, s51, v12
	v_cndmask_b32_e32 v1, v26, v1, vcc
	v_add_f32_e32 v0, v0, v1
	v_ldexp_f32 v1, v3, v4
	v_sub_f32_e32 v3, v14, v27
	v_mul_f32_e32 v4, 0x3fb8aa3b, v3
	v_fma_f32 v5, v3, s50, -v4
	v_rndne_f32_e32 v6, v4
	v_fmac_f32_e32 v5, 0x32a5705f, v3
	v_sub_f32_e32 v4, v4, v6
	v_add_f32_e32 v4, v4, v5
	v_exp_f32_e32 v4, v4
	v_cvt_i32_f32_e32 v5, v6
	v_cmp_ngt_f32_e32 vcc, s33, v2
	v_cndmask_b32_e32 v1, 0, v1, vcc
	v_cmp_nlt_f32_e32 vcc, s51, v2
	v_cndmask_b32_e32 v1, v26, v1, vcc
	v_sub_f32_e32 v2, v15, v27
	v_add_f32_e32 v0, v0, v1
	v_ldexp_f32 v1, v4, v5
	v_mul_f32_e32 v4, 0x3fb8aa3b, v2
	v_fma_f32 v5, v2, s50, -v4
	v_rndne_f32_e32 v6, v4
	v_fmac_f32_e32 v5, 0x32a5705f, v2
	v_sub_f32_e32 v4, v4, v6
	v_add_f32_e32 v4, v4, v5
	v_exp_f32_e32 v4, v4
	v_cvt_i32_f32_e32 v5, v6
	v_cmp_ngt_f32_e32 vcc, s33, v3
	v_cndmask_b32_e32 v1, 0, v1, vcc
	v_cmp_nlt_f32_e32 vcc, s51, v3
	v_cndmask_b32_e32 v1, v26, v1, vcc
	v_add_f32_e32 v0, v0, v1
	v_ldexp_f32 v1, v4, v5
	v_cmp_ngt_f32_e32 vcc, s33, v2
	v_cndmask_b32_e32 v1, 0, v1, vcc
	v_cmp_nlt_f32_e32 vcc, s51, v2
	v_cndmask_b32_e32 v1, v26, v1, vcc
	v_add_f32_e32 v0, v0, v1
	v_add_f32_e32 v0, v17, v0
	v_cmp_neq_f32_e32 vcc, 0, v0
	s_and_b64 exec, exec, vcc
	s_cbranch_execz .LBB149_19
; %bb.9:
	s_andn2_b64 vcc, exec, s[46:47]
	s_cbranch_vccnz .LBB149_19
; %bb.10:
	v_div_scale_f32 v1, s[0:1], v0, v0, 1.0
	v_rcp_f32_e32 v2, v1
	v_div_scale_f32 v3, vcc, 1.0, v0, 1.0
	s_cmp_gt_u32 s36, 3
	v_fma_f32 v4, -v1, v2, 1.0
	v_fmac_f32_e32 v2, v4, v2
	v_mul_f32_e32 v4, v3, v2
	v_fma_f32 v5, -v1, v4, v3
	v_fmac_f32_e32 v4, v5, v2
	v_fma_f32 v1, -v1, v4, v3
	v_div_fmas_f32 v1, v1, v2, v4
	v_div_fixup_f32 v0, v1, v0, 1.0
	v_ashrrev_i32_e32 v17, 31, v16
	s_cbranch_scc0 .LBB149_14
; %bb.11:
	v_lshlrev_b64 v[2:3], 2, v[16:17]
	v_mov_b32_e32 v4, s45
	v_add_co_u32_e32 v2, vcc, s44, v2
	v_addc_co_u32_e32 v3, vcc, v3, v4, vcc
	s_and_b32 s4, s36, 0x7ffffffc
	v_add_co_u32_e32 v2, vcc, 8, v2
	v_mov_b32_e32 v1, v0
	v_addc_co_u32_e32 v3, vcc, 0, v3, vcc
	s_mov_b32 s0, s4
.LBB149_12:                             ; =>This Inner Loop Header: Depth=1
	global_load_dwordx4 v[4:7], v[2:3], off offset:-8
	s_add_i32 s0, s0, -4
	s_cmp_lg_u32 s0, 0
	s_waitcnt vmcnt(0)
	v_pk_mul_f32 v[4:5], v[0:1], v[4:5]
	v_pk_mul_f32 v[6:7], v[0:1], v[6:7]
	global_store_dwordx4 v[2:3], v[4:7], off offset:-8
	v_add_co_u32_e32 v2, vcc, 16, v2
	v_addc_co_u32_e32 v3, vcc, 0, v3, vcc
	s_cbranch_scc1 .LBB149_12
; %bb.13:
	s_cmp_lg_u32 s4, s36
	s_cselect_b64 s[0:1], -1, 0
	s_branch .LBB149_16
.LBB149_14:
	s_mov_b64 s[0:1], 0
                                        ; implicit-def: $sgpr4
	s_cbranch_execz .LBB149_16
; %bb.15:
	s_mov_b64 s[0:1], -1
	s_mov_b32 s4, 0
.LBB149_16:
	s_andn2_b64 vcc, exec, s[0:1]
	s_cbranch_vccnz .LBB149_19
; %bb.17:
	v_add_co_u32_e32 v2, vcc, s4, v16
	v_addc_co_u32_e32 v3, vcc, 0, v17, vcc
	v_lshlrev_b64 v[2:3], 2, v[2:3]
	v_mov_b32_e32 v1, s45
	v_add_co_u32_e32 v2, vcc, s44, v2
	s_sub_i32 s0, s36, s4
	v_addc_co_u32_e32 v3, vcc, v1, v3, vcc
.LBB149_18:                             ; =>This Inner Loop Header: Depth=1
	global_load_dword v1, v[2:3], off
	s_add_i32 s0, s0, -1
	s_cmp_lg_u32 s0, 0
	s_waitcnt vmcnt(0)
	v_mul_f32_e32 v1, v0, v1
	global_store_dword v[2:3], v1, off
	v_add_co_u32_e32 v2, vcc, 4, v2
	v_addc_co_u32_e32 v3, vcc, 0, v3, vcc
	s_cbranch_scc1 .LBB149_18
.LBB149_19:
	s_endpgm
	.section	.rodata,"a",@progbits
	.p2align	6, 0x0
	.amdhsa_kernel _ZN4vllm3moe17topkGatingSoftmaxIDF16_Li16ELi16ELi8ELi32ELb0ELi1ELNS0_23SharedExpertScoringFuncE1EEEvPKT_PKbPfiPiS9_iiiiii
		.amdhsa_group_segment_fixed_size 0
		.amdhsa_private_segment_fixed_size 0
		.amdhsa_kernarg_size 72
		.amdhsa_user_sgpr_count 6
		.amdhsa_user_sgpr_private_segment_buffer 1
		.amdhsa_user_sgpr_dispatch_ptr 0
		.amdhsa_user_sgpr_queue_ptr 0
		.amdhsa_user_sgpr_kernarg_segment_ptr 1
		.amdhsa_user_sgpr_dispatch_id 0
		.amdhsa_user_sgpr_flat_scratch_init 0
		.amdhsa_user_sgpr_kernarg_preload_length 0
		.amdhsa_user_sgpr_kernarg_preload_offset 0
		.amdhsa_user_sgpr_private_segment_size 0
		.amdhsa_uses_dynamic_stack 0
		.amdhsa_system_sgpr_private_segment_wavefront_offset 0
		.amdhsa_system_sgpr_workgroup_id_x 1
		.amdhsa_system_sgpr_workgroup_id_y 0
		.amdhsa_system_sgpr_workgroup_id_z 0
		.amdhsa_system_sgpr_workgroup_info 0
		.amdhsa_system_vgpr_workitem_id 1
		.amdhsa_next_free_vgpr 34
		.amdhsa_next_free_sgpr 54
		.amdhsa_accum_offset 36
		.amdhsa_reserve_vcc 1
		.amdhsa_reserve_flat_scratch 0
		.amdhsa_float_round_mode_32 0
		.amdhsa_float_round_mode_16_64 0
		.amdhsa_float_denorm_mode_32 3
		.amdhsa_float_denorm_mode_16_64 3
		.amdhsa_dx10_clamp 1
		.amdhsa_ieee_mode 1
		.amdhsa_fp16_overflow 0
		.amdhsa_tg_split 0
		.amdhsa_exception_fp_ieee_invalid_op 0
		.amdhsa_exception_fp_denorm_src 0
		.amdhsa_exception_fp_ieee_div_zero 0
		.amdhsa_exception_fp_ieee_overflow 0
		.amdhsa_exception_fp_ieee_underflow 0
		.amdhsa_exception_fp_ieee_inexact 0
		.amdhsa_exception_int_div_zero 0
	.end_amdhsa_kernel
	.section	.text._ZN4vllm3moe17topkGatingSoftmaxIDF16_Li16ELi16ELi8ELi32ELb0ELi1ELNS0_23SharedExpertScoringFuncE1EEEvPKT_PKbPfiPiS9_iiiiii,"axG",@progbits,_ZN4vllm3moe17topkGatingSoftmaxIDF16_Li16ELi16ELi8ELi32ELb0ELi1ELNS0_23SharedExpertScoringFuncE1EEEvPKT_PKbPfiPiS9_iiiiii,comdat
.Lfunc_end149:
	.size	_ZN4vllm3moe17topkGatingSoftmaxIDF16_Li16ELi16ELi8ELi32ELb0ELi1ELNS0_23SharedExpertScoringFuncE1EEEvPKT_PKbPfiPiS9_iiiiii, .Lfunc_end149-_ZN4vllm3moe17topkGatingSoftmaxIDF16_Li16ELi16ELi8ELi32ELb0ELi1ELNS0_23SharedExpertScoringFuncE1EEEvPKT_PKbPfiPiS9_iiiiii
                                        ; -- End function
	.section	.AMDGPU.csdata,"",@progbits
; Kernel info:
; codeLenInByte = 3920
; NumSgprs: 58
; NumVgprs: 34
; NumAgprs: 0
; TotalNumVgprs: 34
; ScratchSize: 0
; MemoryBound: 0
; FloatMode: 240
; IeeeMode: 1
; LDSByteSize: 0 bytes/workgroup (compile time only)
; SGPRBlocks: 7
; VGPRBlocks: 4
; NumSGPRsForWavesPerEU: 58
; NumVGPRsForWavesPerEU: 34
; AccumOffset: 36
; Occupancy: 8
; WaveLimiterHint : 0
; COMPUTE_PGM_RSRC2:SCRATCH_EN: 0
; COMPUTE_PGM_RSRC2:USER_SGPR: 6
; COMPUTE_PGM_RSRC2:TRAP_HANDLER: 0
; COMPUTE_PGM_RSRC2:TGID_X_EN: 1
; COMPUTE_PGM_RSRC2:TGID_Y_EN: 0
; COMPUTE_PGM_RSRC2:TGID_Z_EN: 0
; COMPUTE_PGM_RSRC2:TIDIG_COMP_CNT: 1
; COMPUTE_PGM_RSRC3_GFX90A:ACCUM_OFFSET: 8
; COMPUTE_PGM_RSRC3_GFX90A:TG_SPLIT: 0
	.section	.text._ZN4vllm3moe17topkGatingSoftmaxIDF16_Li16ELi16ELi8ELi32ELb1ELi2ELNS0_23SharedExpertScoringFuncE1EEEvPKT_PKbPfiPiS9_iiiiii,"axG",@progbits,_ZN4vllm3moe17topkGatingSoftmaxIDF16_Li16ELi16ELi8ELi32ELb1ELi2ELNS0_23SharedExpertScoringFuncE1EEEvPKT_PKbPfiPiS9_iiiiii,comdat
	.protected	_ZN4vllm3moe17topkGatingSoftmaxIDF16_Li16ELi16ELi8ELi32ELb1ELi2ELNS0_23SharedExpertScoringFuncE1EEEvPKT_PKbPfiPiS9_iiiiii ; -- Begin function _ZN4vllm3moe17topkGatingSoftmaxIDF16_Li16ELi16ELi8ELi32ELb1ELi2ELNS0_23SharedExpertScoringFuncE1EEEvPKT_PKbPfiPiS9_iiiiii
	.globl	_ZN4vllm3moe17topkGatingSoftmaxIDF16_Li16ELi16ELi8ELi32ELb1ELi2ELNS0_23SharedExpertScoringFuncE1EEEvPKT_PKbPfiPiS9_iiiiii
	.p2align	8
	.type	_ZN4vllm3moe17topkGatingSoftmaxIDF16_Li16ELi16ELi8ELi32ELb1ELi2ELNS0_23SharedExpertScoringFuncE1EEEvPKT_PKbPfiPiS9_iiiiii,@function
_ZN4vllm3moe17topkGatingSoftmaxIDF16_Li16ELi16ELi8ELi32ELb1ELi2ELNS0_23SharedExpertScoringFuncE1EEEvPKT_PKbPfiPiS9_iiiiii: ; @_ZN4vllm3moe17topkGatingSoftmaxIDF16_Li16ELi16ELi8ELi32ELb1ELi2ELNS0_23SharedExpertScoringFuncE1EEEvPKT_PKbPfiPiS9_iiiiii
; %bb.0:
	s_load_dword s33, s[4:5], 0x18
	v_bfe_u32 v1, v0, 10, 10
	s_lshl_b32 s34, s6, 9
	v_lshlrev_b32_e32 v8, 6, v1
	v_and_b32_e32 v9, 0x3ff, v0
	v_add3_u32 v10, v8, v9, s34
	s_waitcnt lgkmcnt(0)
	v_cmp_gt_i32_e32 vcc, s33, v10
	s_and_saveexec_b64 s[0:1], vcc
	s_cbranch_execz .LBB150_19
; %bb.1:
	s_load_dwordx4 s[0:3], s[4:5], 0x0
	s_load_dwordx2 s[40:41], s[4:5], 0x10
	s_waitcnt lgkmcnt(0)
	s_cmp_eq_u64 s[2:3], 0
	s_cbranch_scc1 .LBB150_3
; %bb.2:
	v_ashrrev_i32_e32 v1, 31, v10
	v_mov_b32_e32 v2, s3
	v_add_co_u32_e32 v0, vcc, s2, v10
	v_addc_co_u32_e32 v1, vcc, v2, v1, vcc
	global_load_ubyte v0, v[0:1], off
	s_waitcnt vmcnt(0)
	v_and_b32_e32 v0, 1, v0
	v_cmp_eq_u32_e32 vcc, 1, v0
	s_xor_b64 s[2:3], vcc, -1
	s_orn2_b64 s[42:43], s[2:3], exec
	s_branch .LBB150_4
.LBB150_3:
	s_mov_b64 s[42:43], -1
.LBB150_4:
	s_load_dwordx2 s[2:3], s[4:5], 0x40
	s_load_dwordx4 s[36:39], s[4:5], 0x30
	v_mov_b32_e32 v2, s1
	s_mov_b32 s6, 0x3fb8aa3b
	v_mov_b32_e32 v15, s41
	s_waitcnt lgkmcnt(0)
	v_mul_lo_u32 v0, v10, s3
	v_ashrrev_i32_e32 v1, 31, v0
	v_lshlrev_b64 v[0:1], 1, v[0:1]
	v_add_co_u32_e32 v12, vcc, s0, v0
	v_addc_co_u32_e32 v13, vcc, v2, v1, vcc
	global_load_dword v14, v[12:13], off offset:32
	global_load_dwordx4 v[0:3], v[12:13], off offset:16
	global_load_dwordx4 v[4:7], v[12:13], off
	s_mov_b32 s0, 0x32a5705f
	v_mul_lo_u32 v16, v10, s39
	v_add_u32_e32 v12, s36, v16
	v_ashrrev_i32_e32 v13, 31, v12
	v_lshlrev_b64 v[12:13], 2, v[12:13]
	v_add_co_u32_e32 v12, vcc, s40, v12
	s_mov_b32 s3, 0xc2ce8ed0
	v_addc_co_u32_e32 v13, vcc, v15, v13, vcc
	s_mov_b32 s7, 0x42b17218
	v_mov_b32_e32 v11, 0x7f800000
	s_cmp_gt_i32 s36, 0
	v_mov_b32_e32 v24, 0
	s_cselect_b64 s[44:45], -1, 0
	s_cmp_lt_i32 s36, 1
	s_waitcnt vmcnt(2)
	v_cvt_f32_f16_e64 v17, -v14
	v_cvt_f32_f16_sdwa v18, -v14 dst_sel:DWORD dst_unused:UNUSED_PAD src0_sel:WORD_1
	v_mul_f32_e32 v19, 0x3fb8aa3b, v17
	v_mul_f32_e32 v20, 0x3fb8aa3b, v18
	v_fma_mix_f32 v21, -v14, s6, -v19 op_sel_hi:[1,0,0]
	v_rndne_f32_e32 v22, v19
	v_fma_mix_f32 v23, -v14, s6, -v20 op_sel:[1,0,0] op_sel_hi:[1,0,0]
	v_rndne_f32_e32 v25, v20
	v_fma_mix_f32 v21, -v14, s0, v21 op_sel_hi:[1,0,0]
	v_sub_f32_e32 v19, v19, v22
	v_fma_mix_f32 v14, -v14, s0, v23 op_sel:[1,0,0] op_sel_hi:[1,0,0]
	v_sub_f32_e32 v20, v20, v25
	v_add_f32_e32 v19, v19, v21
	v_cvt_i32_f32_e32 v22, v22
	v_add_f32_e32 v14, v20, v14
	v_exp_f32_e32 v19, v19
	v_cvt_i32_f32_e32 v23, v25
	v_exp_f32_e32 v14, v14
	v_cmp_ngt_f32_e32 vcc, s3, v17
	v_ldexp_f32 v15, v19, v22
	v_cndmask_b32_e32 v15, 0, v15, vcc
	v_ldexp_f32 v14, v14, v23
	v_cmp_ngt_f32_e32 vcc, s3, v18
	v_cndmask_b32_e32 v19, 0, v14, vcc
	v_cmp_nlt_f32_e32 vcc, s7, v17
	v_cndmask_b32_e32 v14, v11, v15, vcc
	v_cmp_nlt_f32_e32 vcc, s7, v18
	v_cndmask_b32_e32 v15, v11, v19, vcc
	v_pk_add_f32 v[14:15], v[14:15], 1.0 op_sel_hi:[1,0]
	v_div_scale_f32 v17, s[0:1], v15, v15, 1.0
	v_div_scale_f32 v19, s[0:1], v14, v14, 1.0
	v_rcp_f32_e32 v20, v17
	v_rcp_f32_e32 v21, v19
	v_div_scale_f32 v18, vcc, 1.0, v15, 1.0
	v_fma_f32 v23, -v17, v20, 1.0
	v_fma_f32 v25, -v19, v21, 1.0
	v_fmac_f32_e32 v20, v23, v20
	v_div_scale_f32 v22, s[0:1], 1.0, v14, 1.0
	v_fmac_f32_e32 v21, v25, v21
	v_mul_f32_e32 v23, v18, v20
	v_mul_f32_e32 v25, v22, v21
	v_fma_f32 v26, -v17, v23, v18
	v_fma_f32 v27, -v19, v25, v22
	v_fmac_f32_e32 v23, v26, v20
	v_fmac_f32_e32 v25, v27, v21
	v_fma_f32 v17, -v17, v23, v18
	v_fma_f32 v18, -v19, v25, v22
	v_div_fmas_f32 v17, v17, v20, v23
	s_mov_b64 vcc, s[0:1]
	v_div_fixup_f32 v15, v17, v15, 1.0
	v_div_fmas_f32 v17, v18, v21, v25
	v_div_fixup_f32 v14, v17, v14, 1.0
	global_store_dwordx2 v[12:13], v[14:15], off
	s_cbranch_scc1 .LBB150_8
; %bb.5:
	s_waitcnt vmcnt(1)
	v_cvt_f32_f16_e32 v27, v4
	v_cvt_f32_f16_sdwa v28, v4 dst_sel:DWORD dst_unused:UNUSED_PAD src0_sel:WORD_1
	v_cvt_f32_f16_e32 v31, v5
	v_cvt_f32_f16_sdwa v30, v5 dst_sel:DWORD dst_unused:UNUSED_PAD src0_sel:WORD_1
	v_cmp_lt_f16_sdwa vcc, v4, v4 src0_sel:DWORD src1_sel:WORD_1
	v_cvt_f32_f16_sdwa v38, v1 dst_sel:DWORD dst_unused:UNUSED_PAD src0_sel:WORD_1
	v_cvt_f32_f16_e32 v39, v1
	v_cndmask_b32_e32 v1, v27, v28, vcc
	v_cvt_f32_f16_e32 v33, v6
	v_cvt_f32_f16_sdwa v36, v0 dst_sel:DWORD dst_unused:UNUSED_PAD src0_sel:WORD_1
	v_cvt_f32_f16_e32 v37, v0
	v_cndmask_b32_e64 v0, 0, 1, vcc
	v_cmp_lt_f32_e32 vcc, v1, v31
	v_cndmask_b32_e32 v1, v1, v31, vcc
	v_cvt_f32_f16_sdwa v32, v6 dst_sel:DWORD dst_unused:UNUSED_PAD src0_sel:WORD_1
	v_cndmask_b32_e64 v0, v0, 2, vcc
	v_cmp_lt_f32_e32 vcc, v1, v30
	v_cndmask_b32_e32 v1, v1, v30, vcc
	v_cvt_f32_f16_e32 v35, v7
	v_cndmask_b32_e64 v0, v0, 3, vcc
	v_cmp_lt_f32_e32 vcc, v1, v33
	v_cndmask_b32_e32 v1, v1, v33, vcc
	v_cvt_f32_f16_sdwa v34, v7 dst_sel:DWORD dst_unused:UNUSED_PAD src0_sel:WORD_1
	v_cndmask_b32_e64 v0, v0, 4, vcc
	v_cmp_lt_f32_e32 vcc, v1, v32
	v_cndmask_b32_e32 v1, v1, v32, vcc
	v_cndmask_b32_e64 v0, v0, 5, vcc
	v_cmp_lt_f32_e32 vcc, v1, v35
	v_cndmask_b32_e32 v1, v1, v35, vcc
	;; [unrolled: 3-line block ×5, first 2 shown]
	v_cvt_f32_f16_e32 v40, v2
	v_cndmask_b32_e64 v0, v0, 9, vcc
	v_cmp_lt_f32_e32 vcc, v1, v39
	v_cndmask_b32_e32 v1, v1, v39, vcc
	v_cvt_f32_f16_sdwa v12, v2 dst_sel:DWORD dst_unused:UNUSED_PAD src0_sel:WORD_1
	v_cndmask_b32_e64 v0, v0, 10, vcc
	v_cmp_lt_f32_e32 vcc, v1, v38
	v_cndmask_b32_e32 v1, v1, v38, vcc
	v_cvt_f32_f16_e32 v14, v3
	v_cndmask_b32_e64 v0, v0, 11, vcc
	v_cmp_lt_f32_e32 vcc, v1, v40
	v_cndmask_b32_e32 v1, v1, v40, vcc
	v_cvt_f32_f16_sdwa v15, v3 dst_sel:DWORD dst_unused:UNUSED_PAD src0_sel:WORD_1
	v_cndmask_b32_e64 v0, v0, 12, vcc
	v_cmp_lt_f32_e32 vcc, v1, v12
	v_cndmask_b32_e32 v1, v1, v12, vcc
	v_cndmask_b32_e64 v0, v0, 13, vcc
	v_cmp_lt_f32_e32 vcc, v1, v14
	v_cndmask_b32_e32 v1, v1, v14, vcc
	;; [unrolled: 3-line block ×3, first 2 shown]
	v_cndmask_b32_e64 v13, v0, 15, vcc
	v_sub_f32_e32 v0, v25, v25
	v_mul_f32_e32 v1, 0x3fb8aa3b, v0
	v_fma_f32 v2, v0, s6, -v1
	v_rndne_f32_e32 v3, v1
	v_fmac_f32_e32 v2, 0x32a5705f, v0
	v_sub_f32_e32 v1, v1, v3
	v_add_f32_e32 v1, v1, v2
	v_exp_f32_e32 v1, v1
	v_cvt_i32_f32_e32 v2, v3
	v_cmp_le_i32_e32 vcc, s37, v13
	v_cmp_gt_i32_e64 s[0:1], s38, v13
	s_load_dwordx4 s[28:31], s[4:5], 0x20
	s_and_b64 s[4:5], vcc, s[0:1]
	v_ldexp_f32 v1, v1, v2
	v_cmp_ngt_f32_e32 vcc, s3, v0
	v_cndmask_b32_e32 v1, 0, v1, vcc
	v_cmp_nlt_f32_e32 vcc, s7, v0
	v_ashrrev_i32_e32 v17, 31, v16
	v_cndmask_b32_e32 v24, v11, v1, vcc
	v_lshlrev_b64 v[0:1], 2, v[16:17]
	v_mul_lo_u32 v4, v10, s2
	v_mov_b32_e32 v3, s41
	v_add_co_u32_e32 v2, vcc, s40, v0
	v_addc_co_u32_e64 v3, s[0:1], v3, v1, vcc
	v_ashrrev_i32_e32 v5, 31, v4
	v_mul_lo_u32 v6, v10, s36
	v_subrev_u32_e32 v0, s37, v13
	s_and_b64 s[0:1], s[42:43], s[4:5]
	v_lshlrev_b64 v[4:5], 2, v[4:5]
	global_store_dword v[2:3], v24, off
	v_cndmask_b32_e64 v0, 16, v0, s[0:1]
	s_waitcnt lgkmcnt(0)
	v_mov_b32_e32 v3, s29
	v_add_co_u32_e64 v18, s[0:1], s28, v4
	v_ashrrev_i32_e32 v7, 31, v6
	v_addc_co_u32_e64 v19, s[0:1], v3, v5, s[0:1]
	v_lshlrev_b64 v[6:7], 2, v[6:7]
	global_store_dword v[18:19], v0, off
	v_mov_b32_e32 v0, s31
	v_add_co_u32_e64 v18, s[0:1], s30, v6
	v_addc_co_u32_e64 v19, s[0:1], v0, v7, s[0:1]
	s_cmp_eq_u32 s36, 1
	global_store_dword v[18:19], v10, off
	s_cbranch_scc1 .LBB150_8
; %bb.6:
	v_mov_b32_e32 v0, s31
	v_add_co_u32_e64 v3, s[26:27], s30, v6
	v_addc_co_u32_e64 v0, s[26:27], v7, v0, s[26:27]
	v_add_co_u32_e64 v18, s[26:27], 4, v3
	v_addc_co_u32_e64 v19, s[26:27], 0, v0, s[26:27]
	v_mov_b32_e32 v0, s29
	v_add_co_u32_e64 v3, s[26:27], s28, v4
	v_addc_co_u32_e64 v0, s[26:27], v5, v0, s[26:27]
	v_add_co_u32_e64 v20, s[26:27], 4, v3
	v_addc_co_u32_e64 v21, s[26:27], 0, v0, s[26:27]
	v_mov_b32_e32 v0, s41
	v_addc_co_u32_e32 v0, vcc, v1, v0, vcc
	v_mov_b32_e32 v17, 0xff800000
	v_cmp_ne_u32_e64 s[0:1], 15, v13
	v_add_co_u32_e32 v22, vcc, 4, v2
	v_cndmask_b32_e64 v15, v17, v15, s[0:1]
	v_cmp_ne_u32_e64 s[0:1], 14, v13
	v_addc_co_u32_e32 v23, vcc, 0, v0, vcc
	v_cndmask_b32_e64 v14, v17, v14, s[0:1]
	v_cmp_ne_u32_e64 s[0:1], 12, v13
	v_cmp_ne_u32_e64 s[2:3], 11, v13
	;; [unrolled: 1-line block ×13, first 2 shown]
	s_add_i32 s34, s34, s33
	v_cmp_ne_u32_e32 vcc, 13, v13
	s_add_i32 s39, s36, -1
	v_add3_u32 v26, s34, v9, v8
	s_mov_b32 s46, 0x3fb8aa3b
	s_mov_b32 s47, 0xc2ce8ed0
	;; [unrolled: 1-line block ×3, first 2 shown]
	v_mov_b32_e32 v29, 0x7f800000
	v_cndmask_b32_e32 v13, v17, v12, vcc
	v_cndmask_b32_e64 v12, v17, v40, s[0:1]
	v_cndmask_b32_e64 v11, v17, v38, s[2:3]
	;; [unrolled: 1-line block ×13, first 2 shown]
.LBB150_7:                              ; =>This Inner Loop Header: Depth=1
	v_cmp_gt_f32_e32 vcc, v1, v0
	v_cndmask_b32_e32 v27, v0, v1, vcc
	v_cmp_gt_f32_e64 s[0:1], v2, v27
	v_cndmask_b32_e64 v27, v27, v2, s[0:1]
	v_cmp_gt_f32_e64 s[2:3], v3, v27
	v_cndmask_b32_e64 v27, v27, v3, s[2:3]
	v_cmp_gt_f32_e64 s[4:5], v4, v27
	v_cndmask_b32_e64 v27, v27, v4, s[4:5]
	v_cmp_gt_f32_e64 s[6:7], v5, v27
	v_cndmask_b32_e64 v27, v27, v5, s[6:7]
	v_cmp_gt_f32_e64 s[8:9], v6, v27
	v_cndmask_b32_e64 v27, v27, v6, s[8:9]
	v_cmp_gt_f32_e64 s[10:11], v7, v27
	v_cndmask_b32_e64 v27, v27, v7, s[10:11]
	v_cmp_gt_f32_e64 s[12:13], v8, v27
	v_cndmask_b32_e64 v27, v27, v8, s[12:13]
	v_cmp_gt_f32_e64 s[14:15], v9, v27
	v_cndmask_b32_e64 v27, v27, v9, s[14:15]
	v_cmp_gt_f32_e64 s[16:17], v10, v27
	v_cndmask_b32_e64 v27, v27, v10, s[16:17]
	v_cmp_gt_f32_e64 s[18:19], v11, v27
	v_cndmask_b32_e64 v27, v27, v11, s[18:19]
	v_cmp_gt_f32_e64 s[20:21], v12, v27
	v_cndmask_b32_e64 v27, v27, v12, s[20:21]
	v_cmp_gt_f32_e64 s[22:23], v13, v27
	v_cndmask_b32_e64 v27, v27, v13, s[22:23]
	v_cmp_gt_f32_e64 s[24:25], v14, v27
	v_cndmask_b32_e64 v27, v27, v14, s[24:25]
	v_cmp_gt_f32_e64 s[26:27], v15, v27
	v_cndmask_b32_e64 v27, v27, v15, s[26:27]
	v_sub_f32_e32 v27, v27, v25
	v_mul_f32_e32 v28, 0x3fb8aa3b, v27
	v_fma_f32 v30, v27, s46, -v28
	v_rndne_f32_e32 v31, v28
	v_fmac_f32_e32 v30, 0x32a5705f, v27
	v_sub_f32_e32 v28, v28, v31
	v_add_f32_e32 v28, v28, v30
	v_cndmask_b32_e64 v30, 0, 1, vcc
	v_cndmask_b32_e64 v30, v30, 2, s[0:1]
	v_cndmask_b32_e64 v30, v30, 3, s[2:3]
	;; [unrolled: 1-line block ×14, first 2 shown]
	v_cmp_le_i32_e32 vcc, s37, v30
	v_cmp_gt_i32_e64 s[0:1], s38, v30
	s_and_b64 s[0:1], vcc, s[0:1]
	v_cmp_ne_u32_e64 s[2:3], 15, v30
	v_cmp_ne_u32_e64 s[4:5], 14, v30
	;; [unrolled: 1-line block ×16, first 2 shown]
	v_subrev_u32_e32 v30, s37, v30
	s_and_b64 vcc, s[42:43], s[0:1]
	v_cndmask_b32_e32 v30, 16, v30, vcc
	global_store_dword v[20:21], v30, off
	v_cvt_i32_f32_e32 v30, v31
	v_exp_f32_e32 v28, v28
	v_cmp_ngt_f32_e32 vcc, s47, v27
	global_store_dword v[18:19], v26, off
	s_add_i32 s39, s39, -1
	v_ldexp_f32 v28, v28, v30
	v_cndmask_b32_e32 v28, 0, v28, vcc
	v_cmp_nlt_f32_e32 vcc, s48, v27
	v_cndmask_b32_e32 v27, v29, v28, vcc
	v_add_co_u32_e32 v18, vcc, 4, v18
	v_addc_co_u32_e32 v19, vcc, 0, v19, vcc
	v_add_co_u32_e32 v20, vcc, 4, v20
	v_addc_co_u32_e32 v21, vcc, 0, v21, vcc
	global_store_dword v[22:23], v27, off
	v_add_co_u32_e32 v22, vcc, 4, v22
	v_add_f32_e32 v24, v24, v27
	v_cndmask_b32_e64 v15, v17, v15, s[2:3]
	v_cndmask_b32_e64 v14, v17, v14, s[4:5]
	;; [unrolled: 1-line block ×16, first 2 shown]
	v_add_u32_e32 v26, s33, v26
	s_cmp_eq_u32 s39, 0
	v_addc_co_u32_e32 v23, vcc, 0, v23, vcc
	s_cbranch_scc0 .LBB150_7
.LBB150_8:
	v_cmp_neq_f32_e32 vcc, 0, v24
	s_and_b64 exec, exec, vcc
	s_cbranch_execz .LBB150_19
; %bb.9:
	s_andn2_b64 vcc, exec, s[44:45]
	s_cbranch_vccnz .LBB150_19
; %bb.10:
	s_waitcnt vmcnt(2)
	v_div_scale_f32 v0, s[0:1], v24, v24, 1.0
	v_rcp_f32_e32 v1, v0
	v_div_scale_f32 v2, vcc, 1.0, v24, 1.0
	s_cmp_gt_u32 s36, 3
	v_fma_f32 v3, -v0, v1, 1.0
	v_fmac_f32_e32 v1, v3, v1
	v_mul_f32_e32 v3, v2, v1
	s_waitcnt vmcnt(1)
	v_fma_f32 v4, -v0, v3, v2
	v_fmac_f32_e32 v3, v4, v1
	v_fma_f32 v0, -v0, v3, v2
	v_div_fmas_f32 v0, v0, v1, v3
	v_div_fixup_f32 v0, v0, v24, 1.0
	v_ashrrev_i32_e32 v17, 31, v16
	s_cbranch_scc0 .LBB150_14
; %bb.11:
	v_lshlrev_b64 v[2:3], 2, v[16:17]
	v_mov_b32_e32 v4, s41
	v_add_co_u32_e32 v2, vcc, s40, v2
	v_addc_co_u32_e32 v3, vcc, v3, v4, vcc
	s_and_b32 s4, s36, 0x7ffffffc
	v_add_co_u32_e32 v2, vcc, 8, v2
	v_mov_b32_e32 v1, v0
	v_addc_co_u32_e32 v3, vcc, 0, v3, vcc
	s_mov_b32 s0, s4
.LBB150_12:                             ; =>This Inner Loop Header: Depth=1
	global_load_dwordx4 v[4:7], v[2:3], off offset:-8
	s_add_i32 s0, s0, -4
	s_cmp_lg_u32 s0, 0
	s_waitcnt vmcnt(0)
	v_pk_mul_f32 v[4:5], v[0:1], v[4:5]
	v_pk_mul_f32 v[6:7], v[0:1], v[6:7]
	global_store_dwordx4 v[2:3], v[4:7], off offset:-8
	v_add_co_u32_e32 v2, vcc, 16, v2
	v_addc_co_u32_e32 v3, vcc, 0, v3, vcc
	s_cbranch_scc1 .LBB150_12
; %bb.13:
	s_cmp_lg_u32 s4, s36
	s_cselect_b64 s[0:1], -1, 0
	s_branch .LBB150_16
.LBB150_14:
	s_mov_b64 s[0:1], 0
                                        ; implicit-def: $sgpr4
	s_cbranch_execz .LBB150_16
; %bb.15:
	s_mov_b64 s[0:1], -1
	s_mov_b32 s4, 0
.LBB150_16:
	s_andn2_b64 vcc, exec, s[0:1]
	s_cbranch_vccnz .LBB150_19
; %bb.17:
	v_add_co_u32_e32 v2, vcc, s4, v16
	v_addc_co_u32_e32 v3, vcc, 0, v17, vcc
	v_lshlrev_b64 v[2:3], 2, v[2:3]
	v_mov_b32_e32 v1, s41
	v_add_co_u32_e32 v2, vcc, s40, v2
	s_sub_i32 s0, s36, s4
	v_addc_co_u32_e32 v3, vcc, v1, v3, vcc
.LBB150_18:                             ; =>This Inner Loop Header: Depth=1
	global_load_dword v1, v[2:3], off
	s_add_i32 s0, s0, -1
	s_cmp_lg_u32 s0, 0
	s_waitcnt vmcnt(0)
	v_mul_f32_e32 v1, v0, v1
	global_store_dword v[2:3], v1, off
	v_add_co_u32_e32 v2, vcc, 4, v2
	v_addc_co_u32_e32 v3, vcc, 0, v3, vcc
	s_cbranch_scc1 .LBB150_18
.LBB150_19:
	s_endpgm
	.section	.rodata,"a",@progbits
	.p2align	6, 0x0
	.amdhsa_kernel _ZN4vllm3moe17topkGatingSoftmaxIDF16_Li16ELi16ELi8ELi32ELb1ELi2ELNS0_23SharedExpertScoringFuncE1EEEvPKT_PKbPfiPiS9_iiiiii
		.amdhsa_group_segment_fixed_size 0
		.amdhsa_private_segment_fixed_size 0
		.amdhsa_kernarg_size 72
		.amdhsa_user_sgpr_count 6
		.amdhsa_user_sgpr_private_segment_buffer 1
		.amdhsa_user_sgpr_dispatch_ptr 0
		.amdhsa_user_sgpr_queue_ptr 0
		.amdhsa_user_sgpr_kernarg_segment_ptr 1
		.amdhsa_user_sgpr_dispatch_id 0
		.amdhsa_user_sgpr_flat_scratch_init 0
		.amdhsa_user_sgpr_kernarg_preload_length 0
		.amdhsa_user_sgpr_kernarg_preload_offset 0
		.amdhsa_user_sgpr_private_segment_size 0
		.amdhsa_uses_dynamic_stack 0
		.amdhsa_system_sgpr_private_segment_wavefront_offset 0
		.amdhsa_system_sgpr_workgroup_id_x 1
		.amdhsa_system_sgpr_workgroup_id_y 0
		.amdhsa_system_sgpr_workgroup_id_z 0
		.amdhsa_system_sgpr_workgroup_info 0
		.amdhsa_system_vgpr_workitem_id 1
		.amdhsa_next_free_vgpr 41
		.amdhsa_next_free_sgpr 49
		.amdhsa_accum_offset 44
		.amdhsa_reserve_vcc 1
		.amdhsa_reserve_flat_scratch 0
		.amdhsa_float_round_mode_32 0
		.amdhsa_float_round_mode_16_64 0
		.amdhsa_float_denorm_mode_32 3
		.amdhsa_float_denorm_mode_16_64 3
		.amdhsa_dx10_clamp 1
		.amdhsa_ieee_mode 1
		.amdhsa_fp16_overflow 0
		.amdhsa_tg_split 0
		.amdhsa_exception_fp_ieee_invalid_op 0
		.amdhsa_exception_fp_denorm_src 0
		.amdhsa_exception_fp_ieee_div_zero 0
		.amdhsa_exception_fp_ieee_overflow 0
		.amdhsa_exception_fp_ieee_underflow 0
		.amdhsa_exception_fp_ieee_inexact 0
		.amdhsa_exception_int_div_zero 0
	.end_amdhsa_kernel
	.section	.text._ZN4vllm3moe17topkGatingSoftmaxIDF16_Li16ELi16ELi8ELi32ELb1ELi2ELNS0_23SharedExpertScoringFuncE1EEEvPKT_PKbPfiPiS9_iiiiii,"axG",@progbits,_ZN4vllm3moe17topkGatingSoftmaxIDF16_Li16ELi16ELi8ELi32ELb1ELi2ELNS0_23SharedExpertScoringFuncE1EEEvPKT_PKbPfiPiS9_iiiiii,comdat
.Lfunc_end150:
	.size	_ZN4vllm3moe17topkGatingSoftmaxIDF16_Li16ELi16ELi8ELi32ELb1ELi2ELNS0_23SharedExpertScoringFuncE1EEEvPKT_PKbPfiPiS9_iiiiii, .Lfunc_end150-_ZN4vllm3moe17topkGatingSoftmaxIDF16_Li16ELi16ELi8ELi32ELb1ELi2ELNS0_23SharedExpertScoringFuncE1EEEvPKT_PKbPfiPiS9_iiiiii
                                        ; -- End function
	.section	.AMDGPU.csdata,"",@progbits
; Kernel info:
; codeLenInByte = 2724
; NumSgprs: 53
; NumVgprs: 41
; NumAgprs: 0
; TotalNumVgprs: 41
; ScratchSize: 0
; MemoryBound: 0
; FloatMode: 240
; IeeeMode: 1
; LDSByteSize: 0 bytes/workgroup (compile time only)
; SGPRBlocks: 6
; VGPRBlocks: 5
; NumSGPRsForWavesPerEU: 53
; NumVGPRsForWavesPerEU: 41
; AccumOffset: 44
; Occupancy: 8
; WaveLimiterHint : 0
; COMPUTE_PGM_RSRC2:SCRATCH_EN: 0
; COMPUTE_PGM_RSRC2:USER_SGPR: 6
; COMPUTE_PGM_RSRC2:TRAP_HANDLER: 0
; COMPUTE_PGM_RSRC2:TGID_X_EN: 1
; COMPUTE_PGM_RSRC2:TGID_Y_EN: 0
; COMPUTE_PGM_RSRC2:TGID_Z_EN: 0
; COMPUTE_PGM_RSRC2:TIDIG_COMP_CNT: 1
; COMPUTE_PGM_RSRC3_GFX90A:ACCUM_OFFSET: 10
; COMPUTE_PGM_RSRC3_GFX90A:TG_SPLIT: 0
	.section	.text._ZN4vllm3moe17topkGatingSoftmaxIDF16_Li16ELi16ELi8ELi32ELb0ELi2ELNS0_23SharedExpertScoringFuncE1EEEvPKT_PKbPfiPiS9_iiiiii,"axG",@progbits,_ZN4vllm3moe17topkGatingSoftmaxIDF16_Li16ELi16ELi8ELi32ELb0ELi2ELNS0_23SharedExpertScoringFuncE1EEEvPKT_PKbPfiPiS9_iiiiii,comdat
	.protected	_ZN4vllm3moe17topkGatingSoftmaxIDF16_Li16ELi16ELi8ELi32ELb0ELi2ELNS0_23SharedExpertScoringFuncE1EEEvPKT_PKbPfiPiS9_iiiiii ; -- Begin function _ZN4vllm3moe17topkGatingSoftmaxIDF16_Li16ELi16ELi8ELi32ELb0ELi2ELNS0_23SharedExpertScoringFuncE1EEEvPKT_PKbPfiPiS9_iiiiii
	.globl	_ZN4vllm3moe17topkGatingSoftmaxIDF16_Li16ELi16ELi8ELi32ELb0ELi2ELNS0_23SharedExpertScoringFuncE1EEEvPKT_PKbPfiPiS9_iiiiii
	.p2align	8
	.type	_ZN4vllm3moe17topkGatingSoftmaxIDF16_Li16ELi16ELi8ELi32ELb0ELi2ELNS0_23SharedExpertScoringFuncE1EEEvPKT_PKbPfiPiS9_iiiiii,@function
_ZN4vllm3moe17topkGatingSoftmaxIDF16_Li16ELi16ELi8ELi32ELb0ELi2ELNS0_23SharedExpertScoringFuncE1EEEvPKT_PKbPfiPiS9_iiiiii: ; @_ZN4vllm3moe17topkGatingSoftmaxIDF16_Li16ELi16ELi8ELi32ELb0ELi2ELNS0_23SharedExpertScoringFuncE1EEEvPKT_PKbPfiPiS9_iiiiii
; %bb.0:
	s_load_dword s52, s[4:5], 0x18
	v_bfe_u32 v1, v0, 10, 10
	s_lshl_b32 s53, s6, 9
	v_lshlrev_b32_e32 v28, 6, v1
	v_and_b32_e32 v29, 0x3ff, v0
	v_add3_u32 v22, v28, v29, s53
	s_waitcnt lgkmcnt(0)
	v_cmp_gt_i32_e32 vcc, s52, v22
	s_and_saveexec_b64 s[0:1], vcc
	s_cbranch_execz .LBB151_19
; %bb.1:
	s_load_dwordx4 s[0:3], s[4:5], 0x0
	s_load_dwordx2 s[44:45], s[4:5], 0x10
	s_waitcnt lgkmcnt(0)
	s_cmp_eq_u64 s[2:3], 0
	s_cbranch_scc1 .LBB151_3
; %bb.2:
	v_ashrrev_i32_e32 v1, 31, v22
	v_mov_b32_e32 v2, s3
	v_add_co_u32_e32 v0, vcc, s2, v22
	v_addc_co_u32_e32 v1, vcc, v2, v1, vcc
	global_load_ubyte v0, v[0:1], off
	s_waitcnt vmcnt(0)
	v_and_b32_e32 v0, 1, v0
	v_cmp_eq_u32_e32 vcc, 1, v0
	s_xor_b64 s[2:3], vcc, -1
	s_orn2_b64 s[48:49], s[2:3], exec
	s_branch .LBB151_4
.LBB151_3:
	s_mov_b64 s[48:49], -1
.LBB151_4:
	s_load_dwordx2 s[30:31], s[4:5], 0x40
	s_load_dwordx4 s[36:39], s[4:5], 0x30
	v_mov_b32_e32 v2, s1
	v_mov_b32_e32 v3, s45
	s_mov_b32 s50, 0x3fb8aa3b
	s_waitcnt lgkmcnt(0)
	v_mul_lo_u32 v0, v22, s31
	v_ashrrev_i32_e32 v1, 31, v0
	v_lshlrev_b64 v[0:1], 1, v[0:1]
	v_add_co_u32_e32 v0, vcc, s0, v0
	v_addc_co_u32_e32 v1, vcc, v2, v1, vcc
	global_load_dword v8, v[0:1], off offset:32
	global_load_dwordx4 v[4:7], v[0:1], off
	global_load_dwordx4 v[12:15], v[0:1], off offset:16
	v_mul_lo_u32 v16, v22, s39
	v_add_u32_e32 v0, s36, v16
	v_ashrrev_i32_e32 v1, 31, v0
	v_lshlrev_b64 v[0:1], 2, v[0:1]
	v_add_co_u32_e32 v2, vcc, s44, v0
	s_mov_b32 s0, 0x32a5705f
	v_addc_co_u32_e32 v3, vcc, v3, v1, vcc
	s_mov_b32 s33, 0xc2ce8ed0
	s_mov_b32 s51, 0x42b17218
	v_mov_b32_e32 v26, 0x7f800000
	s_cmp_gt_i32 s36, 0
	s_cselect_b64 s[46:47], -1, 0
	s_cmp_lt_i32 s36, 1
	s_waitcnt vmcnt(2)
	v_cvt_f32_f16_e64 v10, -v8
	v_cvt_f32_f16_sdwa v9, -v8 dst_sel:DWORD dst_unused:UNUSED_PAD src0_sel:WORD_1
	v_mul_f32_e32 v0, 0x3fb8aa3b, v10
	v_mul_f32_e32 v1, 0x3fb8aa3b, v9
	v_fma_mix_f32 v11, -v8, s50, -v0 op_sel_hi:[1,0,0]
	v_rndne_f32_e32 v17, v0
	v_fma_mix_f32 v18, -v8, s50, -v1 op_sel:[1,0,0] op_sel_hi:[1,0,0]
	v_rndne_f32_e32 v19, v1
	v_fma_mix_f32 v11, -v8, s0, v11 op_sel_hi:[1,0,0]
	v_sub_f32_e32 v0, v0, v17
	v_fma_mix_f32 v8, -v8, s0, v18 op_sel:[1,0,0] op_sel_hi:[1,0,0]
	v_sub_f32_e32 v1, v1, v19
	v_add_f32_e32 v0, v0, v11
	v_cvt_i32_f32_e32 v17, v17
	v_add_f32_e32 v1, v1, v8
	v_exp_f32_e32 v8, v0
	v_cvt_i32_f32_e32 v18, v19
	v_exp_f32_e32 v11, v1
	v_cmp_ngt_f32_e32 vcc, s33, v10
	v_ldexp_f32 v8, v8, v17
	v_cndmask_b32_e32 v8, 0, v8, vcc
	v_ldexp_f32 v11, v11, v18
	v_cmp_ngt_f32_e32 vcc, s33, v9
	v_cndmask_b32_e32 v11, 0, v11, vcc
	v_cmp_nlt_f32_e32 vcc, s51, v10
	v_cndmask_b32_e32 v8, v26, v8, vcc
	v_cmp_nlt_f32_e32 vcc, s51, v9
	v_cndmask_b32_e32 v9, v26, v11, vcc
	v_pk_add_f32 v[8:9], v[8:9], 1.0 op_sel_hi:[1,0]
	v_div_scale_f32 v10, s[0:1], v9, v9, 1.0
	v_div_scale_f32 v17, s[0:1], v8, v8, 1.0
	v_rcp_f32_e32 v18, v10
	v_rcp_f32_e32 v19, v17
	v_div_scale_f32 v11, vcc, 1.0, v9, 1.0
	v_fma_f32 v21, -v10, v18, 1.0
	v_fma_f32 v23, -v17, v19, 1.0
	v_fmac_f32_e32 v18, v21, v18
	v_div_scale_f32 v20, s[0:1], 1.0, v8, 1.0
	v_fmac_f32_e32 v19, v23, v19
	v_mul_f32_e32 v21, v11, v18
	v_mul_f32_e32 v23, v20, v19
	v_fma_f32 v24, -v10, v21, v11
	v_fma_f32 v25, -v17, v23, v20
	v_fmac_f32_e32 v21, v24, v18
	v_fmac_f32_e32 v23, v25, v19
	v_fma_f32 v10, -v10, v21, v11
	v_fma_f32 v11, -v17, v23, v20
	v_div_fmas_f32 v10, v10, v18, v21
	s_mov_b64 vcc, s[0:1]
	v_div_fixup_f32 v9, v10, v9, 1.0
	v_div_fmas_f32 v10, v11, v19, v23
	s_waitcnt vmcnt(1)
	v_cvt_f32_f16_e32 v0, v4
	v_cvt_f32_f16_sdwa v1, v4 dst_sel:DWORD dst_unused:UNUSED_PAD src0_sel:WORD_1
	v_div_fixup_f32 v8, v10, v8, 1.0
	global_store_dwordx2 v[2:3], v[8:9], off
	v_cvt_f32_f16_e32 v2, v5
	v_cmp_lt_f16_sdwa vcc, v4, v4 src0_sel:DWORD src1_sel:WORD_1
	v_cndmask_b32_e32 v3, v0, v1, vcc
	v_cmp_lt_f32_e64 s[0:1], v3, v2
	v_cndmask_b32_e64 v4, v3, v2, s[0:1]
	v_cvt_f32_f16_sdwa v3, v5 dst_sel:DWORD dst_unused:UNUSED_PAD src0_sel:WORD_1
	v_cmp_lt_f32_e64 s[2:3], v4, v3
	v_cndmask_b32_e64 v5, v4, v3, s[2:3]
	v_cvt_f32_f16_e32 v4, v6
	v_cmp_lt_f32_e64 s[6:7], v5, v4
	v_cndmask_b32_e64 v8, v5, v4, s[6:7]
	v_cvt_f32_f16_sdwa v5, v6 dst_sel:DWORD dst_unused:UNUSED_PAD src0_sel:WORD_1
	v_cvt_f32_f16_e32 v6, v7
	v_cvt_f32_f16_sdwa v7, v7 dst_sel:DWORD dst_unused:UNUSED_PAD src0_sel:WORD_1
	v_cmp_lt_f32_e64 s[8:9], v8, v5
	v_cndmask_b32_e64 v8, v8, v5, s[8:9]
	v_cmp_lt_f32_e64 s[10:11], v8, v6
	v_cndmask_b32_e64 v8, v8, v6, s[10:11]
	;; [unrolled: 2-line block ×3, first 2 shown]
	s_waitcnt vmcnt(1)
	v_cvt_f32_f16_e32 v8, v12
	v_cmp_lt_f32_e64 s[14:15], v9, v8
	v_cndmask_b32_e64 v10, v9, v8, s[14:15]
	v_cvt_f32_f16_sdwa v9, v12 dst_sel:DWORD dst_unused:UNUSED_PAD src0_sel:WORD_1
	v_cmp_lt_f32_e64 s[16:17], v10, v9
	v_cndmask_b32_e64 v11, v10, v9, s[16:17]
	v_cvt_f32_f16_e32 v10, v13
	v_cmp_lt_f32_e64 s[18:19], v11, v10
	v_cndmask_b32_e64 v12, v11, v10, s[18:19]
	v_cvt_f32_f16_sdwa v11, v13 dst_sel:DWORD dst_unused:UNUSED_PAD src0_sel:WORD_1
	v_cmp_lt_f32_e64 s[20:21], v12, v11
	v_cndmask_b32_e64 v13, v12, v11, s[20:21]
	v_cvt_f32_f16_e32 v12, v14
	v_cmp_lt_f32_e64 s[22:23], v13, v12
	v_cndmask_b32_e64 v17, v13, v12, s[22:23]
	v_cvt_f32_f16_sdwa v13, v14 dst_sel:DWORD dst_unused:UNUSED_PAD src0_sel:WORD_1
	v_cvt_f32_f16_e32 v14, v15
	v_cvt_f32_f16_sdwa v15, v15 dst_sel:DWORD dst_unused:UNUSED_PAD src0_sel:WORD_1
	v_cmp_lt_f32_e64 s[24:25], v17, v13
	v_cndmask_b32_e64 v17, v17, v13, s[24:25]
	v_cmp_lt_f32_e64 s[26:27], v17, v14
	v_cndmask_b32_e64 v17, v17, v14, s[26:27]
	;; [unrolled: 2-line block ×3, first 2 shown]
	v_mov_b32_e32 v17, 0
	s_cbranch_scc1 .LBB151_8
; %bb.5:
	s_load_dwordx4 s[40:43], s[4:5], 0x20
	v_mul_lo_u32 v18, v22, s30
	v_ashrrev_i32_e32 v19, 31, v18
	v_lshlrev_b64 v[20:21], 2, v[18:19]
	v_sub_f32_e32 v32, v27, v27
	s_waitcnt lgkmcnt(0)
	v_mov_b32_e32 v17, s41
	v_add_co_u32_e64 v18, s[4:5], s40, v20
	v_addc_co_u32_e64 v19, s[4:5], v17, v21, s[4:5]
	v_cndmask_b32_e64 v17, 0, 1, vcc
	v_cndmask_b32_e64 v17, v17, 2, s[0:1]
	v_cndmask_b32_e64 v17, v17, 3, s[2:3]
	;; [unrolled: 1-line block ×14, first 2 shown]
	v_cmp_le_i32_e32 vcc, s37, v31
	v_cmp_gt_i32_e64 s[0:1], s38, v31
	s_and_b64 s[0:1], vcc, s[0:1]
	v_subrev_u32_e32 v17, s37, v31
	s_and_b64 vcc, s[48:49], s[0:1]
	v_cndmask_b32_e32 v17, 16, v17, vcc
	global_store_dword v[18:19], v17, off
	v_mul_lo_u32 v18, v22, s36
	v_ashrrev_i32_e32 v19, 31, v18
	v_lshlrev_b64 v[18:19], 2, v[18:19]
	v_mov_b32_e32 v17, s43
	v_add_co_u32_e32 v24, vcc, s42, v18
	v_addc_co_u32_e32 v25, vcc, v17, v19, vcc
	v_mul_f32_e32 v17, 0x3fb8aa3b, v32
	global_store_dword v[24:25], v22, off
	v_rndne_f32_e32 v22, v17
	v_sub_f32_e32 v23, v17, v22
	v_fma_f32 v17, v32, s50, -v17
	v_fmac_f32_e32 v17, 0x32a5705f, v32
	v_add_f32_e32 v17, v23, v17
	v_exp_f32_e32 v17, v17
	v_cvt_i32_f32_e32 v22, v22
	v_mov_b32_e32 v25, s45
	v_cmp_ngt_f32_e64 s[34:35], s33, v32
	v_mov_b32_e32 v30, 0xff800000
	v_ldexp_f32 v33, v17, v22
	v_ashrrev_i32_e32 v17, 31, v16
	v_lshlrev_b64 v[22:23], 2, v[16:17]
	v_add_co_u32_e32 v24, vcc, s44, v22
	v_addc_co_u32_e64 v25, s[0:1], v25, v23, vcc
	v_cmp_ne_u32_e64 s[0:1], 15, v31
	v_cmp_ne_u32_e64 s[2:3], 14, v31
	;; [unrolled: 1-line block ×16, first 2 shown]
	v_cndmask_b32_e64 v17, 0, v33, s[34:35]
	v_cmp_nlt_f32_e64 s[34:35], s51, v32
	v_cndmask_b32_e64 v17, v26, v17, s[34:35]
	v_cndmask_b32_e64 v15, v30, v15, s[0:1]
	;; [unrolled: 1-line block ×16, first 2 shown]
	s_cmp_eq_u32 s36, 1
	v_cndmask_b32_e64 v0, v30, v0, s[30:31]
	global_store_dword v[24:25], v17, off
	s_cbranch_scc1 .LBB151_8
; %bb.6:
	v_mov_b32_e32 v22, s43
	v_add_co_u32_e64 v18, s[0:1], s42, v18
	v_addc_co_u32_e64 v19, s[0:1], v19, v22, s[0:1]
	v_add_co_u32_e64 v18, s[0:1], 4, v18
	v_addc_co_u32_e64 v19, s[0:1], 0, v19, s[0:1]
	v_mov_b32_e32 v22, s41
	v_add_co_u32_e64 v20, s[0:1], s40, v20
	v_addc_co_u32_e64 v21, s[0:1], v21, v22, s[0:1]
	v_mov_b32_e32 v22, s45
	v_addc_co_u32_e32 v23, vcc, v23, v22, vcc
	v_add_co_u32_e64 v20, s[0:1], 4, v20
	v_add_co_u32_e32 v22, vcc, 4, v24
	s_add_i32 s53, s53, s52
	v_addc_co_u32_e64 v21, s[0:1], 0, v21, s[0:1]
	v_addc_co_u32_e32 v23, vcc, 0, v23, vcc
	s_add_i32 s39, s36, -1
	v_add3_u32 v24, s53, v29, v28
	s_mov_b32 s40, 0x3fb8aa3b
	s_mov_b32 s41, 0xc2ce8ed0
	;; [unrolled: 1-line block ×3, first 2 shown]
	v_mov_b32_e32 v25, 0x7f800000
.LBB151_7:                              ; =>This Inner Loop Header: Depth=1
	v_cmp_gt_f32_e32 vcc, v1, v0
	v_cndmask_b32_e32 v28, v0, v1, vcc
	v_cmp_gt_f32_e64 s[0:1], v2, v28
	v_cndmask_b32_e64 v28, v28, v2, s[0:1]
	v_cmp_gt_f32_e64 s[2:3], v3, v28
	v_cndmask_b32_e64 v28, v28, v3, s[2:3]
	;; [unrolled: 2-line block ×14, first 2 shown]
	v_sub_f32_e32 v28, v28, v27
	v_mul_f32_e32 v29, 0x3fb8aa3b, v28
	v_fma_f32 v31, v28, s40, -v29
	v_rndne_f32_e32 v32, v29
	v_fmac_f32_e32 v31, 0x32a5705f, v28
	v_sub_f32_e32 v29, v29, v32
	v_add_f32_e32 v29, v29, v31
	v_cndmask_b32_e64 v31, 0, 1, vcc
	v_cndmask_b32_e64 v31, v31, 2, s[0:1]
	v_cndmask_b32_e64 v31, v31, 3, s[2:3]
	;; [unrolled: 1-line block ×14, first 2 shown]
	v_cmp_le_i32_e32 vcc, s37, v31
	v_cmp_gt_i32_e64 s[0:1], s38, v31
	s_and_b64 s[0:1], vcc, s[0:1]
	v_cmp_ne_u32_e64 s[2:3], 15, v31
	v_cmp_ne_u32_e64 s[4:5], 14, v31
	;; [unrolled: 1-line block ×16, first 2 shown]
	v_subrev_u32_e32 v31, s37, v31
	s_and_b64 vcc, s[48:49], s[0:1]
	v_cndmask_b32_e32 v31, 16, v31, vcc
	global_store_dword v[20:21], v31, off
	v_cvt_i32_f32_e32 v31, v32
	v_exp_f32_e32 v29, v29
	v_cmp_ngt_f32_e32 vcc, s41, v28
	global_store_dword v[18:19], v24, off
	s_add_i32 s39, s39, -1
	v_ldexp_f32 v29, v29, v31
	v_cndmask_b32_e32 v29, 0, v29, vcc
	v_cmp_nlt_f32_e32 vcc, s42, v28
	v_cndmask_b32_e32 v28, v25, v29, vcc
	v_add_co_u32_e32 v18, vcc, 4, v18
	v_addc_co_u32_e32 v19, vcc, 0, v19, vcc
	v_add_co_u32_e32 v20, vcc, 4, v20
	v_addc_co_u32_e32 v21, vcc, 0, v21, vcc
	global_store_dword v[22:23], v28, off
	v_add_co_u32_e32 v22, vcc, 4, v22
	v_add_f32_e32 v17, v17, v28
	v_cndmask_b32_e64 v15, v30, v15, s[2:3]
	v_cndmask_b32_e64 v14, v30, v14, s[4:5]
	;; [unrolled: 1-line block ×16, first 2 shown]
	v_add_u32_e32 v24, s52, v24
	s_cmp_eq_u32 s39, 0
	v_addc_co_u32_e32 v23, vcc, 0, v23, vcc
	s_cbranch_scc0 .LBB151_7
.LBB151_8:
	v_sub_f32_e32 v0, v0, v27
	v_mul_f32_e32 v18, 0x3fb8aa3b, v0
	v_fma_f32 v19, v0, s50, -v18
	v_rndne_f32_e32 v20, v18
	v_fmac_f32_e32 v19, 0x32a5705f, v0
	v_sub_f32_e32 v18, v18, v20
	v_add_f32_e32 v18, v18, v19
	v_exp_f32_e32 v18, v18
	v_cvt_i32_f32_e32 v19, v20
	v_sub_f32_e32 v1, v1, v27
	v_cmp_ngt_f32_e32 vcc, s33, v1
	v_cmp_ngt_f32_e64 s[0:1], s33, v0
	v_ldexp_f32 v18, v18, v19
	v_mul_f32_e32 v19, 0x3fb8aa3b, v1
	v_fma_f32 v20, v1, s50, -v19
	v_rndne_f32_e32 v21, v19
	v_fmac_f32_e32 v20, 0x32a5705f, v1
	v_sub_f32_e32 v19, v19, v21
	v_add_f32_e32 v19, v19, v20
	v_exp_f32_e32 v19, v19
	v_cvt_i32_f32_e32 v20, v21
	v_sub_f32_e32 v2, v2, v27
	v_sub_f32_e32 v3, v3, v27
	;; [unrolled: 1-line block ×3, first 2 shown]
	v_ldexp_f32 v19, v19, v20
	v_cndmask_b32_e32 v19, 0, v19, vcc
	v_cmp_nlt_f32_e32 vcc, s51, v1
	v_cndmask_b32_e64 v1, 0, v18, s[0:1]
	v_cmp_nlt_f32_e64 s[0:1], s51, v0
	v_cndmask_b32_e64 v0, v26, v1, s[0:1]
	v_cndmask_b32_e32 v1, v26, v19, vcc
	v_add_f32_e32 v0, v0, v1
	v_mul_f32_e32 v1, 0x3fb8aa3b, v2
	v_fma_f32 v18, v2, s50, -v1
	v_rndne_f32_e32 v19, v1
	v_fmac_f32_e32 v18, 0x32a5705f, v2
	v_sub_f32_e32 v1, v1, v19
	v_add_f32_e32 v1, v1, v18
	v_exp_f32_e32 v1, v1
	v_cvt_i32_f32_e32 v18, v19
	v_cmp_ngt_f32_e32 vcc, s33, v2
	v_sub_f32_e32 v5, v5, v27
	v_sub_f32_e32 v6, v6, v27
	v_ldexp_f32 v1, v1, v18
	v_cndmask_b32_e32 v1, 0, v1, vcc
	v_cmp_nlt_f32_e32 vcc, s51, v2
	v_cndmask_b32_e32 v1, v26, v1, vcc
	v_add_f32_e32 v0, v0, v1
	v_mul_f32_e32 v1, 0x3fb8aa3b, v3
	v_fma_f32 v2, v3, s50, -v1
	v_rndne_f32_e32 v18, v1
	v_fmac_f32_e32 v2, 0x32a5705f, v3
	v_sub_f32_e32 v1, v1, v18
	v_add_f32_e32 v1, v1, v2
	v_exp_f32_e32 v1, v1
	v_cvt_i32_f32_e32 v2, v18
	v_cmp_ngt_f32_e32 vcc, s33, v3
	v_sub_f32_e32 v7, v7, v27
	v_sub_f32_e32 v8, v8, v27
	v_ldexp_f32 v1, v1, v2
	v_cndmask_b32_e32 v1, 0, v1, vcc
	v_cmp_nlt_f32_e32 vcc, s51, v3
	;; [unrolled: 16-line block ×4, first 2 shown]
	v_cndmask_b32_e32 v1, v26, v1, vcc
	v_add_f32_e32 v0, v0, v1
	v_mul_f32_e32 v1, 0x3fb8aa3b, v6
	v_fma_f32 v2, v6, s50, -v1
	v_rndne_f32_e32 v3, v1
	v_fmac_f32_e32 v2, 0x32a5705f, v6
	v_sub_f32_e32 v1, v1, v3
	v_add_f32_e32 v1, v1, v2
	v_exp_f32_e32 v1, v1
	v_cvt_i32_f32_e32 v2, v3
	v_cmp_ngt_f32_e32 vcc, s33, v6
	v_ldexp_f32 v1, v1, v2
	v_cndmask_b32_e32 v1, 0, v1, vcc
	v_cmp_nlt_f32_e32 vcc, s51, v6
	v_cndmask_b32_e32 v1, v26, v1, vcc
	v_add_f32_e32 v0, v0, v1
	v_mul_f32_e32 v1, 0x3fb8aa3b, v7
	v_fma_f32 v2, v7, s50, -v1
	v_rndne_f32_e32 v3, v1
	v_fmac_f32_e32 v2, 0x32a5705f, v7
	v_sub_f32_e32 v1, v1, v3
	v_add_f32_e32 v1, v1, v2
	v_exp_f32_e32 v1, v1
	v_cvt_i32_f32_e32 v2, v3
	v_cmp_ngt_f32_e32 vcc, s33, v7
	v_ldexp_f32 v1, v1, v2
	v_mul_f32_e32 v2, 0x3fb8aa3b, v8
	v_fma_f32 v3, v8, s50, -v2
	v_rndne_f32_e32 v4, v2
	v_fmac_f32_e32 v3, 0x32a5705f, v8
	v_sub_f32_e32 v2, v2, v4
	v_add_f32_e32 v2, v2, v3
	v_exp_f32_e32 v2, v2
	v_cvt_i32_f32_e32 v3, v4
	v_cndmask_b32_e32 v1, 0, v1, vcc
	v_cmp_nlt_f32_e32 vcc, s51, v7
	v_cndmask_b32_e32 v1, v26, v1, vcc
	v_add_f32_e32 v0, v0, v1
	v_ldexp_f32 v1, v2, v3
	v_mul_f32_e32 v2, 0x3fb8aa3b, v9
	v_fma_f32 v3, v9, s50, -v2
	v_rndne_f32_e32 v4, v2
	v_fmac_f32_e32 v3, 0x32a5705f, v9
	v_sub_f32_e32 v2, v2, v4
	v_add_f32_e32 v2, v2, v3
	v_exp_f32_e32 v2, v2
	v_cvt_i32_f32_e32 v3, v4
	v_cmp_ngt_f32_e32 vcc, s33, v8
	v_cndmask_b32_e32 v1, 0, v1, vcc
	v_cmp_nlt_f32_e32 vcc, s51, v8
	v_cndmask_b32_e32 v1, v26, v1, vcc
	v_add_f32_e32 v0, v0, v1
	v_ldexp_f32 v1, v2, v3
	v_mul_f32_e32 v2, 0x3fb8aa3b, v10
	v_fma_f32 v3, v10, s50, -v2
	v_rndne_f32_e32 v4, v2
	v_fmac_f32_e32 v3, 0x32a5705f, v10
	v_sub_f32_e32 v2, v2, v4
	v_add_f32_e32 v2, v2, v3
	v_exp_f32_e32 v2, v2
	v_cvt_i32_f32_e32 v3, v4
	v_cmp_ngt_f32_e32 vcc, s33, v9
	;; [unrolled: 14-line block ×4, first 2 shown]
	v_cndmask_b32_e32 v1, 0, v1, vcc
	v_cmp_nlt_f32_e32 vcc, s51, v11
	v_cndmask_b32_e32 v1, v26, v1, vcc
	v_add_f32_e32 v0, v0, v1
	v_ldexp_f32 v1, v2, v3
	v_sub_f32_e32 v2, v13, v27
	v_mul_f32_e32 v3, 0x3fb8aa3b, v2
	v_fma_f32 v4, v2, s50, -v3
	v_rndne_f32_e32 v5, v3
	v_fmac_f32_e32 v4, 0x32a5705f, v2
	v_sub_f32_e32 v3, v3, v5
	v_add_f32_e32 v3, v3, v4
	v_exp_f32_e32 v3, v3
	v_cvt_i32_f32_e32 v4, v5
	v_cmp_ngt_f32_e32 vcc, s33, v12
	v_cndmask_b32_e32 v1, 0, v1, vcc
	v_cmp_nlt_f32_e32 vcc, s51, v12
	v_cndmask_b32_e32 v1, v26, v1, vcc
	v_add_f32_e32 v0, v0, v1
	v_ldexp_f32 v1, v3, v4
	v_sub_f32_e32 v3, v14, v27
	v_mul_f32_e32 v4, 0x3fb8aa3b, v3
	v_fma_f32 v5, v3, s50, -v4
	v_rndne_f32_e32 v6, v4
	v_fmac_f32_e32 v5, 0x32a5705f, v3
	v_sub_f32_e32 v4, v4, v6
	v_add_f32_e32 v4, v4, v5
	v_exp_f32_e32 v4, v4
	v_cvt_i32_f32_e32 v5, v6
	v_cmp_ngt_f32_e32 vcc, s33, v2
	v_cndmask_b32_e32 v1, 0, v1, vcc
	v_cmp_nlt_f32_e32 vcc, s51, v2
	v_cndmask_b32_e32 v1, v26, v1, vcc
	v_sub_f32_e32 v2, v15, v27
	v_add_f32_e32 v0, v0, v1
	v_ldexp_f32 v1, v4, v5
	v_mul_f32_e32 v4, 0x3fb8aa3b, v2
	v_fma_f32 v5, v2, s50, -v4
	v_rndne_f32_e32 v6, v4
	v_fmac_f32_e32 v5, 0x32a5705f, v2
	v_sub_f32_e32 v4, v4, v6
	v_add_f32_e32 v4, v4, v5
	v_exp_f32_e32 v4, v4
	v_cvt_i32_f32_e32 v5, v6
	v_cmp_ngt_f32_e32 vcc, s33, v3
	v_cndmask_b32_e32 v1, 0, v1, vcc
	v_cmp_nlt_f32_e32 vcc, s51, v3
	v_cndmask_b32_e32 v1, v26, v1, vcc
	v_add_f32_e32 v0, v0, v1
	v_ldexp_f32 v1, v4, v5
	v_cmp_ngt_f32_e32 vcc, s33, v2
	v_cndmask_b32_e32 v1, 0, v1, vcc
	v_cmp_nlt_f32_e32 vcc, s51, v2
	v_cndmask_b32_e32 v1, v26, v1, vcc
	v_add_f32_e32 v0, v0, v1
	v_add_f32_e32 v0, v17, v0
	v_cmp_neq_f32_e32 vcc, 0, v0
	s_and_b64 exec, exec, vcc
	s_cbranch_execz .LBB151_19
; %bb.9:
	s_andn2_b64 vcc, exec, s[46:47]
	s_cbranch_vccnz .LBB151_19
; %bb.10:
	v_div_scale_f32 v1, s[0:1], v0, v0, 1.0
	v_rcp_f32_e32 v2, v1
	v_div_scale_f32 v3, vcc, 1.0, v0, 1.0
	s_cmp_gt_u32 s36, 3
	v_fma_f32 v4, -v1, v2, 1.0
	v_fmac_f32_e32 v2, v4, v2
	v_mul_f32_e32 v4, v3, v2
	v_fma_f32 v5, -v1, v4, v3
	v_fmac_f32_e32 v4, v5, v2
	v_fma_f32 v1, -v1, v4, v3
	v_div_fmas_f32 v1, v1, v2, v4
	v_div_fixup_f32 v0, v1, v0, 1.0
	v_ashrrev_i32_e32 v17, 31, v16
	s_cbranch_scc0 .LBB151_14
; %bb.11:
	v_lshlrev_b64 v[2:3], 2, v[16:17]
	v_mov_b32_e32 v4, s45
	v_add_co_u32_e32 v2, vcc, s44, v2
	v_addc_co_u32_e32 v3, vcc, v3, v4, vcc
	s_and_b32 s4, s36, 0x7ffffffc
	v_add_co_u32_e32 v2, vcc, 8, v2
	v_mov_b32_e32 v1, v0
	v_addc_co_u32_e32 v3, vcc, 0, v3, vcc
	s_mov_b32 s0, s4
.LBB151_12:                             ; =>This Inner Loop Header: Depth=1
	global_load_dwordx4 v[4:7], v[2:3], off offset:-8
	s_add_i32 s0, s0, -4
	s_cmp_lg_u32 s0, 0
	s_waitcnt vmcnt(0)
	v_pk_mul_f32 v[4:5], v[0:1], v[4:5]
	v_pk_mul_f32 v[6:7], v[0:1], v[6:7]
	global_store_dwordx4 v[2:3], v[4:7], off offset:-8
	v_add_co_u32_e32 v2, vcc, 16, v2
	v_addc_co_u32_e32 v3, vcc, 0, v3, vcc
	s_cbranch_scc1 .LBB151_12
; %bb.13:
	s_cmp_lg_u32 s4, s36
	s_cselect_b64 s[0:1], -1, 0
	s_branch .LBB151_16
.LBB151_14:
	s_mov_b64 s[0:1], 0
                                        ; implicit-def: $sgpr4
	s_cbranch_execz .LBB151_16
; %bb.15:
	s_mov_b64 s[0:1], -1
	s_mov_b32 s4, 0
.LBB151_16:
	s_andn2_b64 vcc, exec, s[0:1]
	s_cbranch_vccnz .LBB151_19
; %bb.17:
	v_add_co_u32_e32 v2, vcc, s4, v16
	v_addc_co_u32_e32 v3, vcc, 0, v17, vcc
	v_lshlrev_b64 v[2:3], 2, v[2:3]
	v_mov_b32_e32 v1, s45
	v_add_co_u32_e32 v2, vcc, s44, v2
	s_sub_i32 s0, s36, s4
	v_addc_co_u32_e32 v3, vcc, v1, v3, vcc
.LBB151_18:                             ; =>This Inner Loop Header: Depth=1
	global_load_dword v1, v[2:3], off
	s_add_i32 s0, s0, -1
	s_cmp_lg_u32 s0, 0
	s_waitcnt vmcnt(0)
	v_mul_f32_e32 v1, v0, v1
	global_store_dword v[2:3], v1, off
	v_add_co_u32_e32 v2, vcc, 4, v2
	v_addc_co_u32_e32 v3, vcc, 0, v3, vcc
	s_cbranch_scc1 .LBB151_18
.LBB151_19:
	s_endpgm
	.section	.rodata,"a",@progbits
	.p2align	6, 0x0
	.amdhsa_kernel _ZN4vllm3moe17topkGatingSoftmaxIDF16_Li16ELi16ELi8ELi32ELb0ELi2ELNS0_23SharedExpertScoringFuncE1EEEvPKT_PKbPfiPiS9_iiiiii
		.amdhsa_group_segment_fixed_size 0
		.amdhsa_private_segment_fixed_size 0
		.amdhsa_kernarg_size 72
		.amdhsa_user_sgpr_count 6
		.amdhsa_user_sgpr_private_segment_buffer 1
		.amdhsa_user_sgpr_dispatch_ptr 0
		.amdhsa_user_sgpr_queue_ptr 0
		.amdhsa_user_sgpr_kernarg_segment_ptr 1
		.amdhsa_user_sgpr_dispatch_id 0
		.amdhsa_user_sgpr_flat_scratch_init 0
		.amdhsa_user_sgpr_kernarg_preload_length 0
		.amdhsa_user_sgpr_kernarg_preload_offset 0
		.amdhsa_user_sgpr_private_segment_size 0
		.amdhsa_uses_dynamic_stack 0
		.amdhsa_system_sgpr_private_segment_wavefront_offset 0
		.amdhsa_system_sgpr_workgroup_id_x 1
		.amdhsa_system_sgpr_workgroup_id_y 0
		.amdhsa_system_sgpr_workgroup_id_z 0
		.amdhsa_system_sgpr_workgroup_info 0
		.amdhsa_system_vgpr_workitem_id 1
		.amdhsa_next_free_vgpr 34
		.amdhsa_next_free_sgpr 54
		.amdhsa_accum_offset 36
		.amdhsa_reserve_vcc 1
		.amdhsa_reserve_flat_scratch 0
		.amdhsa_float_round_mode_32 0
		.amdhsa_float_round_mode_16_64 0
		.amdhsa_float_denorm_mode_32 3
		.amdhsa_float_denorm_mode_16_64 3
		.amdhsa_dx10_clamp 1
		.amdhsa_ieee_mode 1
		.amdhsa_fp16_overflow 0
		.amdhsa_tg_split 0
		.amdhsa_exception_fp_ieee_invalid_op 0
		.amdhsa_exception_fp_denorm_src 0
		.amdhsa_exception_fp_ieee_div_zero 0
		.amdhsa_exception_fp_ieee_overflow 0
		.amdhsa_exception_fp_ieee_underflow 0
		.amdhsa_exception_fp_ieee_inexact 0
		.amdhsa_exception_int_div_zero 0
	.end_amdhsa_kernel
	.section	.text._ZN4vllm3moe17topkGatingSoftmaxIDF16_Li16ELi16ELi8ELi32ELb0ELi2ELNS0_23SharedExpertScoringFuncE1EEEvPKT_PKbPfiPiS9_iiiiii,"axG",@progbits,_ZN4vllm3moe17topkGatingSoftmaxIDF16_Li16ELi16ELi8ELi32ELb0ELi2ELNS0_23SharedExpertScoringFuncE1EEEvPKT_PKbPfiPiS9_iiiiii,comdat
.Lfunc_end151:
	.size	_ZN4vllm3moe17topkGatingSoftmaxIDF16_Li16ELi16ELi8ELi32ELb0ELi2ELNS0_23SharedExpertScoringFuncE1EEEvPKT_PKbPfiPiS9_iiiiii, .Lfunc_end151-_ZN4vllm3moe17topkGatingSoftmaxIDF16_Li16ELi16ELi8ELi32ELb0ELi2ELNS0_23SharedExpertScoringFuncE1EEEvPKT_PKbPfiPiS9_iiiiii
                                        ; -- End function
	.section	.AMDGPU.csdata,"",@progbits
; Kernel info:
; codeLenInByte = 4076
; NumSgprs: 58
; NumVgprs: 34
; NumAgprs: 0
; TotalNumVgprs: 34
; ScratchSize: 0
; MemoryBound: 0
; FloatMode: 240
; IeeeMode: 1
; LDSByteSize: 0 bytes/workgroup (compile time only)
; SGPRBlocks: 7
; VGPRBlocks: 4
; NumSGPRsForWavesPerEU: 58
; NumVGPRsForWavesPerEU: 34
; AccumOffset: 36
; Occupancy: 8
; WaveLimiterHint : 0
; COMPUTE_PGM_RSRC2:SCRATCH_EN: 0
; COMPUTE_PGM_RSRC2:USER_SGPR: 6
; COMPUTE_PGM_RSRC2:TRAP_HANDLER: 0
; COMPUTE_PGM_RSRC2:TGID_X_EN: 1
; COMPUTE_PGM_RSRC2:TGID_Y_EN: 0
; COMPUTE_PGM_RSRC2:TGID_Z_EN: 0
; COMPUTE_PGM_RSRC2:TIDIG_COMP_CNT: 1
; COMPUTE_PGM_RSRC3_GFX90A:ACCUM_OFFSET: 8
; COMPUTE_PGM_RSRC3_GFX90A:TG_SPLIT: 0
	.section	.text._ZN4vllm3moe17topkGatingSoftmaxIDF16_Li16ELi16ELi8ELi32ELb1ELi4ELNS0_23SharedExpertScoringFuncE1EEEvPKT_PKbPfiPiS9_iiiiii,"axG",@progbits,_ZN4vllm3moe17topkGatingSoftmaxIDF16_Li16ELi16ELi8ELi32ELb1ELi4ELNS0_23SharedExpertScoringFuncE1EEEvPKT_PKbPfiPiS9_iiiiii,comdat
	.protected	_ZN4vllm3moe17topkGatingSoftmaxIDF16_Li16ELi16ELi8ELi32ELb1ELi4ELNS0_23SharedExpertScoringFuncE1EEEvPKT_PKbPfiPiS9_iiiiii ; -- Begin function _ZN4vllm3moe17topkGatingSoftmaxIDF16_Li16ELi16ELi8ELi32ELb1ELi4ELNS0_23SharedExpertScoringFuncE1EEEvPKT_PKbPfiPiS9_iiiiii
	.globl	_ZN4vllm3moe17topkGatingSoftmaxIDF16_Li16ELi16ELi8ELi32ELb1ELi4ELNS0_23SharedExpertScoringFuncE1EEEvPKT_PKbPfiPiS9_iiiiii
	.p2align	8
	.type	_ZN4vllm3moe17topkGatingSoftmaxIDF16_Li16ELi16ELi8ELi32ELb1ELi4ELNS0_23SharedExpertScoringFuncE1EEEvPKT_PKbPfiPiS9_iiiiii,@function
_ZN4vllm3moe17topkGatingSoftmaxIDF16_Li16ELi16ELi8ELi32ELb1ELi4ELNS0_23SharedExpertScoringFuncE1EEEvPKT_PKbPfiPiS9_iiiiii: ; @_ZN4vllm3moe17topkGatingSoftmaxIDF16_Li16ELi16ELi8ELi32ELb1ELi4ELNS0_23SharedExpertScoringFuncE1EEEvPKT_PKbPfiPiS9_iiiiii
; %bb.0:
	s_load_dword s33, s[4:5], 0x18
	v_bfe_u32 v1, v0, 10, 10
	s_lshl_b32 s34, s6, 9
	v_lshlrev_b32_e32 v8, 6, v1
	v_and_b32_e32 v9, 0x3ff, v0
	v_add3_u32 v10, v8, v9, s34
	s_waitcnt lgkmcnt(0)
	v_cmp_gt_i32_e32 vcc, s33, v10
	s_and_saveexec_b64 s[0:1], vcc
	s_cbranch_execz .LBB152_19
; %bb.1:
	s_load_dwordx4 s[0:3], s[4:5], 0x0
	s_load_dwordx2 s[40:41], s[4:5], 0x10
	s_waitcnt lgkmcnt(0)
	s_cmp_eq_u64 s[2:3], 0
	s_cbranch_scc1 .LBB152_3
; %bb.2:
	v_ashrrev_i32_e32 v1, 31, v10
	v_mov_b32_e32 v2, s3
	v_add_co_u32_e32 v0, vcc, s2, v10
	v_addc_co_u32_e32 v1, vcc, v2, v1, vcc
	global_load_ubyte v0, v[0:1], off
	s_waitcnt vmcnt(0)
	v_and_b32_e32 v0, 1, v0
	v_cmp_eq_u32_e32 vcc, 1, v0
	s_xor_b64 s[2:3], vcc, -1
	s_orn2_b64 s[42:43], s[2:3], exec
	s_branch .LBB152_4
.LBB152_3:
	s_mov_b64 s[42:43], -1
.LBB152_4:
	s_load_dwordx2 s[2:3], s[4:5], 0x40
	s_load_dwordx4 s[36:39], s[4:5], 0x30
	v_mov_b32_e32 v2, s1
	v_mov_b32_e32 v17, s41
	s_mov_b32 s6, 0x3fb8aa3b
	s_waitcnt lgkmcnt(0)
	v_mul_lo_u32 v0, v10, s3
	v_ashrrev_i32_e32 v1, 31, v0
	v_lshlrev_b64 v[0:1], 1, v[0:1]
	v_add_co_u32_e32 v12, vcc, s0, v0
	v_addc_co_u32_e32 v13, vcc, v2, v1, vcc
	global_load_dwordx2 v[14:15], v[12:13], off offset:32
	v_mul_lo_u32 v16, v10, s39
	v_add_u32_e32 v0, s36, v16
	v_ashrrev_i32_e32 v1, 31, v0
	v_lshlrev_b64 v[18:19], 2, v[0:1]
	global_load_dwordx4 v[0:3], v[12:13], off offset:16
	global_load_dwordx4 v[4:7], v[12:13], off
	v_add_co_u32_e32 v18, vcc, s40, v18
	v_addc_co_u32_e32 v19, vcc, v17, v19, vcc
	s_mov_b32 s0, 0x32a5705f
	s_mov_b32 s3, 0xc2ce8ed0
	;; [unrolled: 1-line block ×3, first 2 shown]
	v_mov_b32_e32 v11, 0x7f800000
	s_cmp_gt_i32 s36, 0
	v_mov_b32_e32 v24, 0
	s_cselect_b64 s[44:45], -1, 0
	s_cmp_lt_i32 s36, 1
	s_waitcnt vmcnt(2)
	v_cvt_f32_f16_e64 v12, -v14
	v_cvt_f32_f16_sdwa v13, -v14 dst_sel:DWORD dst_unused:UNUSED_PAD src0_sel:WORD_1
	v_cvt_f32_f16_e64 v17, -v15
	v_cvt_f32_f16_sdwa v20, -v15 dst_sel:DWORD dst_unused:UNUSED_PAD src0_sel:WORD_1
	v_mul_f32_e32 v21, 0x3fb8aa3b, v12
	v_mul_f32_e32 v22, 0x3fb8aa3b, v13
	v_fma_mix_f32 v26, -v14, s6, -v21 op_sel_hi:[1,0,0]
	v_rndne_f32_e32 v27, v21
	v_mul_f32_e32 v23, 0x3fb8aa3b, v17
	v_fma_mix_f32 v28, -v14, s6, -v22 op_sel:[1,0,0] op_sel_hi:[1,0,0]
	v_rndne_f32_e32 v29, v22
	v_fma_mix_f32 v26, -v14, s0, v26 op_sel_hi:[1,0,0]
	v_sub_f32_e32 v21, v21, v27
	v_mul_f32_e32 v25, 0x3fb8aa3b, v20
	v_fma_mix_f32 v30, -v15, s6, -v23 op_sel_hi:[1,0,0]
	v_rndne_f32_e32 v31, v23
	v_fma_mix_f32 v14, -v14, s0, v28 op_sel:[1,0,0] op_sel_hi:[1,0,0]
	v_sub_f32_e32 v22, v22, v29
	v_add_f32_e32 v21, v21, v26
	v_fma_mix_f32 v32, -v15, s6, -v25 op_sel:[1,0,0] op_sel_hi:[1,0,0]
	v_rndne_f32_e32 v33, v25
	v_cvt_i32_f32_e32 v27, v27
	v_cvt_i32_f32_e32 v28, v29
	v_fma_mix_f32 v29, -v15, s0, v30 op_sel_hi:[1,0,0]
	v_sub_f32_e32 v23, v23, v31
	v_add_f32_e32 v14, v22, v14
	v_exp_f32_e32 v21, v21
	v_fma_mix_f32 v15, -v15, s0, v32 op_sel:[1,0,0] op_sel_hi:[1,0,0]
	v_sub_f32_e32 v25, v25, v33
	v_add_f32_e32 v22, v23, v29
	v_exp_f32_e32 v14, v14
	v_cvt_i32_f32_e32 v30, v31
	v_add_f32_e32 v15, v25, v15
	v_exp_f32_e32 v22, v22
	v_cvt_i32_f32_e32 v31, v33
	v_exp_f32_e32 v15, v15
	v_ldexp_f32 v21, v21, v27
	v_cmp_ngt_f32_e32 vcc, s3, v12
	v_ldexp_f32 v14, v14, v28
	v_cndmask_b32_e32 v21, 0, v21, vcc
	v_cmp_ngt_f32_e32 vcc, s3, v13
	v_ldexp_f32 v22, v22, v30
	v_cndmask_b32_e32 v14, 0, v14, vcc
	;; [unrolled: 3-line block ×3, first 2 shown]
	v_cmp_ngt_f32_e32 vcc, s3, v20
	v_cndmask_b32_e32 v15, 0, v15, vcc
	v_cmp_nlt_f32_e32 vcc, s7, v12
	v_cndmask_b32_e32 v12, v11, v21, vcc
	v_cmp_nlt_f32_e32 vcc, s7, v13
	;; [unrolled: 2-line block ×4, first 2 shown]
	v_pk_add_f32 v[12:13], v[12:13], 1.0 op_sel_hi:[1,0]
	v_cndmask_b32_e32 v15, v11, v15, vcc
	v_div_scale_f32 v17, s[0:1], v13, v13, 1.0
	v_pk_add_f32 v[14:15], v[14:15], 1.0 op_sel_hi:[1,0]
	v_div_scale_f32 v21, s[0:1], v12, v12, 1.0
	v_rcp_f32_e32 v23, v17
	v_div_scale_f32 v22, s[0:1], v15, v15, 1.0
	v_rcp_f32_e32 v25, v21
	v_rcp_f32_e32 v26, v22
	v_fma_f32 v28, -v17, v23, 1.0
	v_div_scale_f32 v20, vcc, 1.0, v13, 1.0
	v_fma_f32 v29, -v21, v25, 1.0
	v_fmac_f32_e32 v23, v28, v23
	v_div_scale_f32 v27, s[0:1], 1.0, v12, 1.0
	v_fma_f32 v30, -v22, v26, 1.0
	v_fmac_f32_e32 v25, v29, v25
	v_mul_f32_e32 v28, v20, v23
	v_fmac_f32_e32 v26, v30, v26
	v_mul_f32_e32 v29, v27, v25
	v_fma_f32 v30, -v17, v28, v20
	v_fma_f32 v31, -v21, v29, v27
	v_fmac_f32_e32 v28, v30, v23
	v_fmac_f32_e32 v29, v31, v25
	v_fma_f32 v17, -v17, v28, v20
	v_fma_f32 v20, -v21, v29, v27
	v_div_fmas_f32 v17, v17, v23, v28
	s_mov_b64 vcc, s[0:1]
	v_div_fixup_f32 v13, v17, v13, 1.0
	v_div_fmas_f32 v17, v20, v25, v29
	v_div_fixup_f32 v12, v17, v12, 1.0
	v_div_scale_f32 v17, vcc, 1.0, v15, 1.0
	v_mul_f32_e32 v20, v17, v26
	v_fma_f32 v21, -v22, v20, v17
	v_fmac_f32_e32 v20, v21, v26
	v_div_scale_f32 v21, s[0:1], v14, v14, 1.0
	v_fma_f32 v17, -v22, v20, v17
	v_rcp_f32_e32 v22, v21
	v_div_fmas_f32 v17, v17, v26, v20
	v_div_fixup_f32 v15, v17, v15, 1.0
	v_fma_f32 v17, -v21, v22, 1.0
	v_fmac_f32_e32 v22, v17, v22
	v_div_scale_f32 v17, vcc, 1.0, v14, 1.0
	v_mul_f32_e32 v20, v17, v22
	v_fma_f32 v23, -v21, v20, v17
	v_fmac_f32_e32 v20, v23, v22
	v_fma_f32 v17, -v21, v20, v17
	v_div_fmas_f32 v17, v17, v22, v20
	v_div_fixup_f32 v14, v17, v14, 1.0
	global_store_dwordx4 v[18:19], v[12:15], off
	s_cbranch_scc1 .LBB152_8
; %bb.5:
	s_waitcnt vmcnt(1)
	v_cvt_f32_f16_e32 v27, v4
	v_cvt_f32_f16_sdwa v28, v4 dst_sel:DWORD dst_unused:UNUSED_PAD src0_sel:WORD_1
	v_cvt_f32_f16_e32 v31, v5
	v_cvt_f32_f16_sdwa v30, v5 dst_sel:DWORD dst_unused:UNUSED_PAD src0_sel:WORD_1
	v_cmp_lt_f16_sdwa vcc, v4, v4 src0_sel:DWORD src1_sel:WORD_1
	v_cvt_f32_f16_sdwa v38, v1 dst_sel:DWORD dst_unused:UNUSED_PAD src0_sel:WORD_1
	v_cvt_f32_f16_e32 v39, v1
	v_cndmask_b32_e32 v1, v27, v28, vcc
	v_cvt_f32_f16_e32 v33, v6
	v_cvt_f32_f16_sdwa v36, v0 dst_sel:DWORD dst_unused:UNUSED_PAD src0_sel:WORD_1
	v_cvt_f32_f16_e32 v37, v0
	v_cndmask_b32_e64 v0, 0, 1, vcc
	v_cmp_lt_f32_e32 vcc, v1, v31
	v_cndmask_b32_e32 v1, v1, v31, vcc
	v_cvt_f32_f16_sdwa v32, v6 dst_sel:DWORD dst_unused:UNUSED_PAD src0_sel:WORD_1
	v_cndmask_b32_e64 v0, v0, 2, vcc
	v_cmp_lt_f32_e32 vcc, v1, v30
	v_cndmask_b32_e32 v1, v1, v30, vcc
	v_cvt_f32_f16_e32 v35, v7
	v_cndmask_b32_e64 v0, v0, 3, vcc
	v_cmp_lt_f32_e32 vcc, v1, v33
	v_cndmask_b32_e32 v1, v1, v33, vcc
	v_cvt_f32_f16_sdwa v34, v7 dst_sel:DWORD dst_unused:UNUSED_PAD src0_sel:WORD_1
	v_cndmask_b32_e64 v0, v0, 4, vcc
	v_cmp_lt_f32_e32 vcc, v1, v32
	v_cndmask_b32_e32 v1, v1, v32, vcc
	v_cndmask_b32_e64 v0, v0, 5, vcc
	v_cmp_lt_f32_e32 vcc, v1, v35
	v_cndmask_b32_e32 v1, v1, v35, vcc
	;; [unrolled: 3-line block ×5, first 2 shown]
	v_cvt_f32_f16_e32 v40, v2
	v_cndmask_b32_e64 v0, v0, 9, vcc
	v_cmp_lt_f32_e32 vcc, v1, v39
	v_cndmask_b32_e32 v1, v1, v39, vcc
	v_cvt_f32_f16_sdwa v12, v2 dst_sel:DWORD dst_unused:UNUSED_PAD src0_sel:WORD_1
	v_cndmask_b32_e64 v0, v0, 10, vcc
	v_cmp_lt_f32_e32 vcc, v1, v38
	v_cndmask_b32_e32 v1, v1, v38, vcc
	v_cvt_f32_f16_e32 v14, v3
	v_cndmask_b32_e64 v0, v0, 11, vcc
	v_cmp_lt_f32_e32 vcc, v1, v40
	v_cndmask_b32_e32 v1, v1, v40, vcc
	v_cvt_f32_f16_sdwa v15, v3 dst_sel:DWORD dst_unused:UNUSED_PAD src0_sel:WORD_1
	v_cndmask_b32_e64 v0, v0, 12, vcc
	v_cmp_lt_f32_e32 vcc, v1, v12
	v_cndmask_b32_e32 v1, v1, v12, vcc
	v_cndmask_b32_e64 v0, v0, 13, vcc
	v_cmp_lt_f32_e32 vcc, v1, v14
	v_cndmask_b32_e32 v1, v1, v14, vcc
	;; [unrolled: 3-line block ×3, first 2 shown]
	v_cndmask_b32_e64 v13, v0, 15, vcc
	v_sub_f32_e32 v0, v25, v25
	v_mul_f32_e32 v1, 0x3fb8aa3b, v0
	v_fma_f32 v2, v0, s6, -v1
	v_rndne_f32_e32 v3, v1
	v_fmac_f32_e32 v2, 0x32a5705f, v0
	v_sub_f32_e32 v1, v1, v3
	v_add_f32_e32 v1, v1, v2
	v_exp_f32_e32 v1, v1
	v_cvt_i32_f32_e32 v2, v3
	v_cmp_le_i32_e32 vcc, s37, v13
	v_cmp_gt_i32_e64 s[0:1], s38, v13
	s_load_dwordx4 s[28:31], s[4:5], 0x20
	s_and_b64 s[4:5], vcc, s[0:1]
	v_ldexp_f32 v1, v1, v2
	v_cmp_ngt_f32_e32 vcc, s3, v0
	v_cndmask_b32_e32 v1, 0, v1, vcc
	v_cmp_nlt_f32_e32 vcc, s7, v0
	v_ashrrev_i32_e32 v17, 31, v16
	v_cndmask_b32_e32 v24, v11, v1, vcc
	v_lshlrev_b64 v[0:1], 2, v[16:17]
	v_mul_lo_u32 v4, v10, s2
	v_mov_b32_e32 v3, s41
	v_add_co_u32_e32 v2, vcc, s40, v0
	v_addc_co_u32_e64 v3, s[0:1], v3, v1, vcc
	v_ashrrev_i32_e32 v5, 31, v4
	v_mul_lo_u32 v6, v10, s36
	v_subrev_u32_e32 v0, s37, v13
	s_and_b64 s[0:1], s[42:43], s[4:5]
	v_lshlrev_b64 v[4:5], 2, v[4:5]
	global_store_dword v[2:3], v24, off
	v_cndmask_b32_e64 v0, 16, v0, s[0:1]
	s_waitcnt lgkmcnt(0)
	v_mov_b32_e32 v3, s29
	v_add_co_u32_e64 v18, s[0:1], s28, v4
	v_ashrrev_i32_e32 v7, 31, v6
	v_addc_co_u32_e64 v19, s[0:1], v3, v5, s[0:1]
	v_lshlrev_b64 v[6:7], 2, v[6:7]
	global_store_dword v[18:19], v0, off
	v_mov_b32_e32 v0, s31
	v_add_co_u32_e64 v18, s[0:1], s30, v6
	v_addc_co_u32_e64 v19, s[0:1], v0, v7, s[0:1]
	s_cmp_eq_u32 s36, 1
	global_store_dword v[18:19], v10, off
	s_cbranch_scc1 .LBB152_8
; %bb.6:
	v_mov_b32_e32 v0, s31
	v_add_co_u32_e64 v3, s[26:27], s30, v6
	v_addc_co_u32_e64 v0, s[26:27], v7, v0, s[26:27]
	v_add_co_u32_e64 v18, s[26:27], 4, v3
	v_addc_co_u32_e64 v19, s[26:27], 0, v0, s[26:27]
	v_mov_b32_e32 v0, s29
	v_add_co_u32_e64 v3, s[26:27], s28, v4
	v_addc_co_u32_e64 v0, s[26:27], v5, v0, s[26:27]
	v_add_co_u32_e64 v20, s[26:27], 4, v3
	v_addc_co_u32_e64 v21, s[26:27], 0, v0, s[26:27]
	v_mov_b32_e32 v0, s41
	v_addc_co_u32_e32 v0, vcc, v1, v0, vcc
	v_mov_b32_e32 v17, 0xff800000
	v_cmp_ne_u32_e64 s[0:1], 15, v13
	v_add_co_u32_e32 v22, vcc, 4, v2
	v_cndmask_b32_e64 v15, v17, v15, s[0:1]
	v_cmp_ne_u32_e64 s[0:1], 14, v13
	v_addc_co_u32_e32 v23, vcc, 0, v0, vcc
	v_cndmask_b32_e64 v14, v17, v14, s[0:1]
	v_cmp_ne_u32_e64 s[0:1], 12, v13
	v_cmp_ne_u32_e64 s[2:3], 11, v13
	;; [unrolled: 1-line block ×13, first 2 shown]
	s_add_i32 s34, s34, s33
	v_cmp_ne_u32_e32 vcc, 13, v13
	s_add_i32 s39, s36, -1
	v_add3_u32 v26, s34, v9, v8
	s_mov_b32 s46, 0x3fb8aa3b
	s_mov_b32 s47, 0xc2ce8ed0
	;; [unrolled: 1-line block ×3, first 2 shown]
	v_mov_b32_e32 v29, 0x7f800000
	v_cndmask_b32_e32 v13, v17, v12, vcc
	v_cndmask_b32_e64 v12, v17, v40, s[0:1]
	v_cndmask_b32_e64 v11, v17, v38, s[2:3]
	;; [unrolled: 1-line block ×13, first 2 shown]
.LBB152_7:                              ; =>This Inner Loop Header: Depth=1
	v_cmp_gt_f32_e32 vcc, v1, v0
	v_cndmask_b32_e32 v27, v0, v1, vcc
	v_cmp_gt_f32_e64 s[0:1], v2, v27
	v_cndmask_b32_e64 v27, v27, v2, s[0:1]
	v_cmp_gt_f32_e64 s[2:3], v3, v27
	v_cndmask_b32_e64 v27, v27, v3, s[2:3]
	v_cmp_gt_f32_e64 s[4:5], v4, v27
	v_cndmask_b32_e64 v27, v27, v4, s[4:5]
	v_cmp_gt_f32_e64 s[6:7], v5, v27
	v_cndmask_b32_e64 v27, v27, v5, s[6:7]
	v_cmp_gt_f32_e64 s[8:9], v6, v27
	v_cndmask_b32_e64 v27, v27, v6, s[8:9]
	v_cmp_gt_f32_e64 s[10:11], v7, v27
	v_cndmask_b32_e64 v27, v27, v7, s[10:11]
	v_cmp_gt_f32_e64 s[12:13], v8, v27
	v_cndmask_b32_e64 v27, v27, v8, s[12:13]
	v_cmp_gt_f32_e64 s[14:15], v9, v27
	v_cndmask_b32_e64 v27, v27, v9, s[14:15]
	v_cmp_gt_f32_e64 s[16:17], v10, v27
	v_cndmask_b32_e64 v27, v27, v10, s[16:17]
	v_cmp_gt_f32_e64 s[18:19], v11, v27
	v_cndmask_b32_e64 v27, v27, v11, s[18:19]
	v_cmp_gt_f32_e64 s[20:21], v12, v27
	v_cndmask_b32_e64 v27, v27, v12, s[20:21]
	v_cmp_gt_f32_e64 s[22:23], v13, v27
	v_cndmask_b32_e64 v27, v27, v13, s[22:23]
	v_cmp_gt_f32_e64 s[24:25], v14, v27
	v_cndmask_b32_e64 v27, v27, v14, s[24:25]
	v_cmp_gt_f32_e64 s[26:27], v15, v27
	v_cndmask_b32_e64 v27, v27, v15, s[26:27]
	v_sub_f32_e32 v27, v27, v25
	v_mul_f32_e32 v28, 0x3fb8aa3b, v27
	v_fma_f32 v30, v27, s46, -v28
	v_rndne_f32_e32 v31, v28
	v_fmac_f32_e32 v30, 0x32a5705f, v27
	v_sub_f32_e32 v28, v28, v31
	v_add_f32_e32 v28, v28, v30
	v_cndmask_b32_e64 v30, 0, 1, vcc
	v_cndmask_b32_e64 v30, v30, 2, s[0:1]
	v_cndmask_b32_e64 v30, v30, 3, s[2:3]
	;; [unrolled: 1-line block ×14, first 2 shown]
	v_cmp_le_i32_e32 vcc, s37, v30
	v_cmp_gt_i32_e64 s[0:1], s38, v30
	s_and_b64 s[0:1], vcc, s[0:1]
	v_cmp_ne_u32_e64 s[2:3], 15, v30
	v_cmp_ne_u32_e64 s[4:5], 14, v30
	;; [unrolled: 1-line block ×16, first 2 shown]
	v_subrev_u32_e32 v30, s37, v30
	s_and_b64 vcc, s[42:43], s[0:1]
	v_cndmask_b32_e32 v30, 16, v30, vcc
	global_store_dword v[20:21], v30, off
	v_cvt_i32_f32_e32 v30, v31
	v_exp_f32_e32 v28, v28
	v_cmp_ngt_f32_e32 vcc, s47, v27
	global_store_dword v[18:19], v26, off
	s_add_i32 s39, s39, -1
	v_ldexp_f32 v28, v28, v30
	v_cndmask_b32_e32 v28, 0, v28, vcc
	v_cmp_nlt_f32_e32 vcc, s48, v27
	v_cndmask_b32_e32 v27, v29, v28, vcc
	v_add_co_u32_e32 v18, vcc, 4, v18
	v_addc_co_u32_e32 v19, vcc, 0, v19, vcc
	v_add_co_u32_e32 v20, vcc, 4, v20
	v_addc_co_u32_e32 v21, vcc, 0, v21, vcc
	global_store_dword v[22:23], v27, off
	v_add_co_u32_e32 v22, vcc, 4, v22
	v_add_f32_e32 v24, v24, v27
	v_cndmask_b32_e64 v15, v17, v15, s[2:3]
	v_cndmask_b32_e64 v14, v17, v14, s[4:5]
	;; [unrolled: 1-line block ×16, first 2 shown]
	v_add_u32_e32 v26, s33, v26
	s_cmp_eq_u32 s39, 0
	v_addc_co_u32_e32 v23, vcc, 0, v23, vcc
	s_cbranch_scc0 .LBB152_7
.LBB152_8:
	v_cmp_neq_f32_e32 vcc, 0, v24
	s_and_b64 exec, exec, vcc
	s_cbranch_execz .LBB152_19
; %bb.9:
	s_andn2_b64 vcc, exec, s[44:45]
	s_cbranch_vccnz .LBB152_19
; %bb.10:
	s_waitcnt vmcnt(2)
	v_div_scale_f32 v0, s[0:1], v24, v24, 1.0
	v_rcp_f32_e32 v1, v0
	v_div_scale_f32 v2, vcc, 1.0, v24, 1.0
	s_cmp_gt_u32 s36, 3
	v_fma_f32 v3, -v0, v1, 1.0
	v_fmac_f32_e32 v1, v3, v1
	v_mul_f32_e32 v3, v2, v1
	s_waitcnt vmcnt(1)
	v_fma_f32 v4, -v0, v3, v2
	v_fmac_f32_e32 v3, v4, v1
	v_fma_f32 v0, -v0, v3, v2
	v_div_fmas_f32 v0, v0, v1, v3
	v_div_fixup_f32 v0, v0, v24, 1.0
	v_ashrrev_i32_e32 v17, 31, v16
	s_cbranch_scc0 .LBB152_14
; %bb.11:
	v_lshlrev_b64 v[2:3], 2, v[16:17]
	v_mov_b32_e32 v4, s41
	v_add_co_u32_e32 v2, vcc, s40, v2
	v_addc_co_u32_e32 v3, vcc, v3, v4, vcc
	s_and_b32 s4, s36, 0x7ffffffc
	v_add_co_u32_e32 v2, vcc, 8, v2
	v_mov_b32_e32 v1, v0
	v_addc_co_u32_e32 v3, vcc, 0, v3, vcc
	s_mov_b32 s0, s4
.LBB152_12:                             ; =>This Inner Loop Header: Depth=1
	global_load_dwordx4 v[4:7], v[2:3], off offset:-8
	s_add_i32 s0, s0, -4
	s_cmp_lg_u32 s0, 0
	s_waitcnt vmcnt(0)
	v_pk_mul_f32 v[4:5], v[0:1], v[4:5]
	v_pk_mul_f32 v[6:7], v[0:1], v[6:7]
	global_store_dwordx4 v[2:3], v[4:7], off offset:-8
	v_add_co_u32_e32 v2, vcc, 16, v2
	v_addc_co_u32_e32 v3, vcc, 0, v3, vcc
	s_cbranch_scc1 .LBB152_12
; %bb.13:
	s_cmp_lg_u32 s4, s36
	s_cselect_b64 s[0:1], -1, 0
	s_branch .LBB152_16
.LBB152_14:
	s_mov_b64 s[0:1], 0
                                        ; implicit-def: $sgpr4
	s_cbranch_execz .LBB152_16
; %bb.15:
	s_mov_b64 s[0:1], -1
	s_mov_b32 s4, 0
.LBB152_16:
	s_andn2_b64 vcc, exec, s[0:1]
	s_cbranch_vccnz .LBB152_19
; %bb.17:
	v_add_co_u32_e32 v2, vcc, s4, v16
	v_addc_co_u32_e32 v3, vcc, 0, v17, vcc
	v_lshlrev_b64 v[2:3], 2, v[2:3]
	v_mov_b32_e32 v1, s41
	v_add_co_u32_e32 v2, vcc, s40, v2
	s_sub_i32 s0, s36, s4
	v_addc_co_u32_e32 v3, vcc, v1, v3, vcc
.LBB152_18:                             ; =>This Inner Loop Header: Depth=1
	global_load_dword v1, v[2:3], off
	s_add_i32 s0, s0, -1
	s_cmp_lg_u32 s0, 0
	s_waitcnt vmcnt(0)
	v_mul_f32_e32 v1, v0, v1
	global_store_dword v[2:3], v1, off
	v_add_co_u32_e32 v2, vcc, 4, v2
	v_addc_co_u32_e32 v3, vcc, 0, v3, vcc
	s_cbranch_scc1 .LBB152_18
.LBB152_19:
	s_endpgm
	.section	.rodata,"a",@progbits
	.p2align	6, 0x0
	.amdhsa_kernel _ZN4vllm3moe17topkGatingSoftmaxIDF16_Li16ELi16ELi8ELi32ELb1ELi4ELNS0_23SharedExpertScoringFuncE1EEEvPKT_PKbPfiPiS9_iiiiii
		.amdhsa_group_segment_fixed_size 0
		.amdhsa_private_segment_fixed_size 0
		.amdhsa_kernarg_size 72
		.amdhsa_user_sgpr_count 6
		.amdhsa_user_sgpr_private_segment_buffer 1
		.amdhsa_user_sgpr_dispatch_ptr 0
		.amdhsa_user_sgpr_queue_ptr 0
		.amdhsa_user_sgpr_kernarg_segment_ptr 1
		.amdhsa_user_sgpr_dispatch_id 0
		.amdhsa_user_sgpr_flat_scratch_init 0
		.amdhsa_user_sgpr_kernarg_preload_length 0
		.amdhsa_user_sgpr_kernarg_preload_offset 0
		.amdhsa_user_sgpr_private_segment_size 0
		.amdhsa_uses_dynamic_stack 0
		.amdhsa_system_sgpr_private_segment_wavefront_offset 0
		.amdhsa_system_sgpr_workgroup_id_x 1
		.amdhsa_system_sgpr_workgroup_id_y 0
		.amdhsa_system_sgpr_workgroup_id_z 0
		.amdhsa_system_sgpr_workgroup_info 0
		.amdhsa_system_vgpr_workitem_id 1
		.amdhsa_next_free_vgpr 41
		.amdhsa_next_free_sgpr 49
		.amdhsa_accum_offset 44
		.amdhsa_reserve_vcc 1
		.amdhsa_reserve_flat_scratch 0
		.amdhsa_float_round_mode_32 0
		.amdhsa_float_round_mode_16_64 0
		.amdhsa_float_denorm_mode_32 3
		.amdhsa_float_denorm_mode_16_64 3
		.amdhsa_dx10_clamp 1
		.amdhsa_ieee_mode 1
		.amdhsa_fp16_overflow 0
		.amdhsa_tg_split 0
		.amdhsa_exception_fp_ieee_invalid_op 0
		.amdhsa_exception_fp_denorm_src 0
		.amdhsa_exception_fp_ieee_div_zero 0
		.amdhsa_exception_fp_ieee_overflow 0
		.amdhsa_exception_fp_ieee_underflow 0
		.amdhsa_exception_fp_ieee_inexact 0
		.amdhsa_exception_int_div_zero 0
	.end_amdhsa_kernel
	.section	.text._ZN4vllm3moe17topkGatingSoftmaxIDF16_Li16ELi16ELi8ELi32ELb1ELi4ELNS0_23SharedExpertScoringFuncE1EEEvPKT_PKbPfiPiS9_iiiiii,"axG",@progbits,_ZN4vllm3moe17topkGatingSoftmaxIDF16_Li16ELi16ELi8ELi32ELb1ELi4ELNS0_23SharedExpertScoringFuncE1EEEvPKT_PKbPfiPiS9_iiiiii,comdat
.Lfunc_end152:
	.size	_ZN4vllm3moe17topkGatingSoftmaxIDF16_Li16ELi16ELi8ELi32ELb1ELi4ELNS0_23SharedExpertScoringFuncE1EEEvPKT_PKbPfiPiS9_iiiiii, .Lfunc_end152-_ZN4vllm3moe17topkGatingSoftmaxIDF16_Li16ELi16ELi8ELi32ELb1ELi4ELNS0_23SharedExpertScoringFuncE1EEEvPKT_PKbPfiPiS9_iiiiii
                                        ; -- End function
	.section	.AMDGPU.csdata,"",@progbits
; Kernel info:
; codeLenInByte = 3028
; NumSgprs: 53
; NumVgprs: 41
; NumAgprs: 0
; TotalNumVgprs: 41
; ScratchSize: 0
; MemoryBound: 0
; FloatMode: 240
; IeeeMode: 1
; LDSByteSize: 0 bytes/workgroup (compile time only)
; SGPRBlocks: 6
; VGPRBlocks: 5
; NumSGPRsForWavesPerEU: 53
; NumVGPRsForWavesPerEU: 41
; AccumOffset: 44
; Occupancy: 8
; WaveLimiterHint : 0
; COMPUTE_PGM_RSRC2:SCRATCH_EN: 0
; COMPUTE_PGM_RSRC2:USER_SGPR: 6
; COMPUTE_PGM_RSRC2:TRAP_HANDLER: 0
; COMPUTE_PGM_RSRC2:TGID_X_EN: 1
; COMPUTE_PGM_RSRC2:TGID_Y_EN: 0
; COMPUTE_PGM_RSRC2:TGID_Z_EN: 0
; COMPUTE_PGM_RSRC2:TIDIG_COMP_CNT: 1
; COMPUTE_PGM_RSRC3_GFX90A:ACCUM_OFFSET: 10
; COMPUTE_PGM_RSRC3_GFX90A:TG_SPLIT: 0
	.section	.text._ZN4vllm3moe17topkGatingSoftmaxIDF16_Li16ELi16ELi8ELi32ELb0ELi4ELNS0_23SharedExpertScoringFuncE1EEEvPKT_PKbPfiPiS9_iiiiii,"axG",@progbits,_ZN4vllm3moe17topkGatingSoftmaxIDF16_Li16ELi16ELi8ELi32ELb0ELi4ELNS0_23SharedExpertScoringFuncE1EEEvPKT_PKbPfiPiS9_iiiiii,comdat
	.protected	_ZN4vllm3moe17topkGatingSoftmaxIDF16_Li16ELi16ELi8ELi32ELb0ELi4ELNS0_23SharedExpertScoringFuncE1EEEvPKT_PKbPfiPiS9_iiiiii ; -- Begin function _ZN4vllm3moe17topkGatingSoftmaxIDF16_Li16ELi16ELi8ELi32ELb0ELi4ELNS0_23SharedExpertScoringFuncE1EEEvPKT_PKbPfiPiS9_iiiiii
	.globl	_ZN4vllm3moe17topkGatingSoftmaxIDF16_Li16ELi16ELi8ELi32ELb0ELi4ELNS0_23SharedExpertScoringFuncE1EEEvPKT_PKbPfiPiS9_iiiiii
	.p2align	8
	.type	_ZN4vllm3moe17topkGatingSoftmaxIDF16_Li16ELi16ELi8ELi32ELb0ELi4ELNS0_23SharedExpertScoringFuncE1EEEvPKT_PKbPfiPiS9_iiiiii,@function
_ZN4vllm3moe17topkGatingSoftmaxIDF16_Li16ELi16ELi8ELi32ELb0ELi4ELNS0_23SharedExpertScoringFuncE1EEEvPKT_PKbPfiPiS9_iiiiii: ; @_ZN4vllm3moe17topkGatingSoftmaxIDF16_Li16ELi16ELi8ELi32ELb0ELi4ELNS0_23SharedExpertScoringFuncE1EEEvPKT_PKbPfiPiS9_iiiiii
; %bb.0:
	s_load_dword s52, s[4:5], 0x18
	v_bfe_u32 v1, v0, 10, 10
	s_lshl_b32 s53, s6, 9
	v_lshlrev_b32_e32 v28, 6, v1
	v_and_b32_e32 v29, 0x3ff, v0
	v_add3_u32 v22, v28, v29, s53
	s_waitcnt lgkmcnt(0)
	v_cmp_gt_i32_e32 vcc, s52, v22
	s_and_saveexec_b64 s[0:1], vcc
	s_cbranch_execz .LBB153_19
; %bb.1:
	s_load_dwordx4 s[0:3], s[4:5], 0x0
	s_load_dwordx2 s[44:45], s[4:5], 0x10
	s_waitcnt lgkmcnt(0)
	s_cmp_eq_u64 s[2:3], 0
	s_cbranch_scc1 .LBB153_3
; %bb.2:
	v_ashrrev_i32_e32 v1, 31, v22
	v_mov_b32_e32 v2, s3
	v_add_co_u32_e32 v0, vcc, s2, v22
	v_addc_co_u32_e32 v1, vcc, v2, v1, vcc
	global_load_ubyte v0, v[0:1], off
	s_waitcnt vmcnt(0)
	v_and_b32_e32 v0, 1, v0
	v_cmp_eq_u32_e32 vcc, 1, v0
	s_xor_b64 s[2:3], vcc, -1
	s_orn2_b64 s[48:49], s[2:3], exec
	s_branch .LBB153_4
.LBB153_3:
	s_mov_b64 s[48:49], -1
.LBB153_4:
	s_load_dwordx2 s[30:31], s[4:5], 0x40
	s_load_dwordx4 s[36:39], s[4:5], 0x30
	v_mov_b32_e32 v2, s1
	v_mov_b32_e32 v8, s45
	s_mov_b32 s50, 0x3fb8aa3b
	s_waitcnt lgkmcnt(0)
	v_mul_lo_u32 v0, v22, s31
	v_ashrrev_i32_e32 v1, 31, v0
	v_lshlrev_b64 v[0:1], 1, v[0:1]
	v_add_co_u32_e32 v0, vcc, s0, v0
	v_addc_co_u32_e32 v1, vcc, v2, v1, vcc
	global_load_dwordx4 v[4:7], v[0:1], off
	global_load_dwordx2 v[2:3], v[0:1], off offset:32
	global_load_dwordx4 v[12:15], v[0:1], off offset:16
	v_mul_lo_u32 v16, v22, s39
	v_add_u32_e32 v0, s36, v16
	v_ashrrev_i32_e32 v1, 31, v0
	v_lshlrev_b64 v[0:1], 2, v[0:1]
	v_add_co_u32_e32 v18, vcc, s44, v0
	v_addc_co_u32_e32 v19, vcc, v8, v1, vcc
	s_mov_b32 s0, 0x32a5705f
	s_mov_b32 s33, 0xc2ce8ed0
	;; [unrolled: 1-line block ×3, first 2 shown]
	v_mov_b32_e32 v26, 0x7f800000
	s_cmp_gt_i32 s36, 0
	s_cselect_b64 s[46:47], -1, 0
	s_cmp_lt_i32 s36, 1
	s_waitcnt vmcnt(2)
	v_cvt_f32_f16_e32 v0, v4
	s_waitcnt vmcnt(1)
	v_cvt_f32_f16_e64 v1, -v2
	v_cvt_f32_f16_sdwa v8, -v2 dst_sel:DWORD dst_unused:UNUSED_PAD src0_sel:WORD_1
	v_cvt_f32_f16_e64 v9, -v3
	v_cvt_f32_f16_sdwa v10, -v3 dst_sel:DWORD dst_unused:UNUSED_PAD src0_sel:WORD_1
	v_mul_f32_e32 v11, 0x3fb8aa3b, v1
	v_mul_f32_e32 v17, 0x3fb8aa3b, v8
	v_fma_mix_f32 v23, -v2, s50, -v11 op_sel_hi:[1,0,0]
	v_rndne_f32_e32 v24, v11
	v_mul_f32_e32 v20, 0x3fb8aa3b, v9
	v_fma_mix_f32 v25, -v2, s50, -v17 op_sel:[1,0,0] op_sel_hi:[1,0,0]
	v_rndne_f32_e32 v27, v17
	v_fma_mix_f32 v23, -v2, s0, v23 op_sel_hi:[1,0,0]
	v_sub_f32_e32 v11, v11, v24
	v_mul_f32_e32 v21, 0x3fb8aa3b, v10
	v_fma_mix_f32 v30, -v3, s50, -v20 op_sel_hi:[1,0,0]
	v_rndne_f32_e32 v31, v20
	v_fma_mix_f32 v2, -v2, s0, v25 op_sel:[1,0,0] op_sel_hi:[1,0,0]
	v_sub_f32_e32 v17, v17, v27
	v_add_f32_e32 v11, v11, v23
	v_fma_mix_f32 v32, -v3, s50, -v21 op_sel:[1,0,0] op_sel_hi:[1,0,0]
	v_rndne_f32_e32 v33, v21
	v_cvt_i32_f32_e32 v24, v24
	v_cvt_i32_f32_e32 v25, v27
	v_fma_mix_f32 v27, -v3, s0, v30 op_sel_hi:[1,0,0]
	v_sub_f32_e32 v20, v20, v31
	v_add_f32_e32 v2, v17, v2
	v_exp_f32_e32 v11, v11
	v_fma_mix_f32 v3, -v3, s0, v32 op_sel:[1,0,0] op_sel_hi:[1,0,0]
	v_sub_f32_e32 v21, v21, v33
	v_add_f32_e32 v17, v20, v27
	v_exp_f32_e32 v2, v2
	v_cvt_i32_f32_e32 v30, v31
	v_add_f32_e32 v3, v21, v3
	v_exp_f32_e32 v17, v17
	v_cvt_i32_f32_e32 v31, v33
	v_exp_f32_e32 v3, v3
	v_ldexp_f32 v11, v11, v24
	v_cmp_ngt_f32_e32 vcc, s33, v1
	v_ldexp_f32 v2, v2, v25
	v_cndmask_b32_e32 v11, 0, v11, vcc
	v_cmp_ngt_f32_e32 vcc, s33, v8
	v_ldexp_f32 v17, v17, v30
	v_cndmask_b32_e32 v20, 0, v2, vcc
	;; [unrolled: 3-line block ×3, first 2 shown]
	v_cmp_ngt_f32_e32 vcc, s33, v10
	v_cndmask_b32_e32 v21, 0, v3, vcc
	v_cmp_nlt_f32_e32 vcc, s51, v1
	v_cndmask_b32_e32 v2, v26, v11, vcc
	v_cmp_nlt_f32_e32 vcc, s51, v8
	v_cndmask_b32_e32 v3, v26, v20, vcc
	v_cmp_nlt_f32_e32 vcc, s51, v9
	v_cndmask_b32_e32 v8, v26, v17, vcc
	v_cmp_nlt_f32_e32 vcc, s51, v10
	v_cndmask_b32_e32 v9, v26, v21, vcc
	v_pk_add_f32 v[2:3], v[2:3], 1.0 op_sel_hi:[1,0]
	v_pk_add_f32 v[10:11], v[8:9], 1.0 op_sel_hi:[1,0]
	v_div_scale_f32 v8, s[0:1], v3, v3, 1.0
	v_div_scale_f32 v17, s[0:1], v2, v2, 1.0
	v_rcp_f32_e32 v21, v8
	v_rcp_f32_e32 v23, v17
	v_div_scale_f32 v9, vcc, 1.0, v3, 1.0
	v_fma_f32 v1, -v8, v21, 1.0
	v_fma_f32 v27, -v17, v23, 1.0
	v_fmac_f32_e32 v21, v1, v21
	v_div_scale_f32 v20, s[0:1], 1.0, v2, 1.0
	v_div_scale_f32 v24, s[2:3], v11, v11, 1.0
	v_fmac_f32_e32 v23, v27, v23
	v_mul_f32_e32 v27, v9, v21
	v_rcp_f32_e32 v25, v24
	v_mul_f32_e32 v30, v20, v23
	v_fma_f32 v1, -v8, v27, v9
	v_fma_f32 v31, -v17, v30, v20
	v_fmac_f32_e32 v27, v1, v21
	v_fmac_f32_e32 v30, v31, v23
	v_fma_f32 v8, -v8, v27, v9
	v_fma_f32 v17, -v17, v30, v20
	v_div_fmas_f32 v8, v8, v21, v27
	s_mov_b64 vcc, s[0:1]
	v_fma_f32 v31, -v24, v25, 1.0
	v_div_fixup_f32 v9, v8, v3, 1.0
	v_div_fmas_f32 v3, v17, v23, v30
	v_div_fixup_f32 v8, v3, v2, 1.0
	v_fmac_f32_e32 v25, v31, v25
	v_div_scale_f32 v2, vcc, 1.0, v11, 1.0
	v_mul_f32_e32 v3, v2, v25
	v_fma_f32 v17, -v24, v3, v2
	v_fmac_f32_e32 v3, v17, v25
	v_div_scale_f32 v17, s[0:1], v10, v10, 1.0
	v_rcp_f32_e32 v20, v17
	v_fma_f32 v2, -v24, v3, v2
	v_div_fmas_f32 v2, v2, v25, v3
	v_div_fixup_f32 v11, v2, v11, 1.0
	v_fma_f32 v2, -v17, v20, 1.0
	v_fmac_f32_e32 v20, v2, v20
	v_div_scale_f32 v2, vcc, 1.0, v10, 1.0
	v_mul_f32_e32 v3, v2, v20
	v_fma_f32 v21, -v17, v3, v2
	v_fmac_f32_e32 v3, v21, v20
	v_fma_f32 v2, -v17, v3, v2
	v_cvt_f32_f16_sdwa v1, v4 dst_sel:DWORD dst_unused:UNUSED_PAD src0_sel:WORD_1
	v_div_fmas_f32 v2, v2, v20, v3
	v_div_fixup_f32 v10, v2, v10, 1.0
	v_cvt_f32_f16_e32 v2, v5
	v_cmp_lt_f16_sdwa vcc, v4, v4 src0_sel:DWORD src1_sel:WORD_1
	v_cndmask_b32_e32 v3, v0, v1, vcc
	global_store_dwordx4 v[18:19], v[8:11], off
	v_cmp_lt_f32_e64 s[0:1], v3, v2
	v_cndmask_b32_e64 v4, v3, v2, s[0:1]
	v_cvt_f32_f16_sdwa v3, v5 dst_sel:DWORD dst_unused:UNUSED_PAD src0_sel:WORD_1
	v_cmp_lt_f32_e64 s[2:3], v4, v3
	v_cndmask_b32_e64 v5, v4, v3, s[2:3]
	v_cvt_f32_f16_e32 v4, v6
	v_cmp_lt_f32_e64 s[6:7], v5, v4
	v_cndmask_b32_e64 v8, v5, v4, s[6:7]
	v_cvt_f32_f16_sdwa v5, v6 dst_sel:DWORD dst_unused:UNUSED_PAD src0_sel:WORD_1
	v_cvt_f32_f16_e32 v6, v7
	v_cvt_f32_f16_sdwa v7, v7 dst_sel:DWORD dst_unused:UNUSED_PAD src0_sel:WORD_1
	v_cmp_lt_f32_e64 s[8:9], v8, v5
	v_cndmask_b32_e64 v8, v8, v5, s[8:9]
	v_cmp_lt_f32_e64 s[10:11], v8, v6
	v_cndmask_b32_e64 v8, v8, v6, s[10:11]
	;; [unrolled: 2-line block ×3, first 2 shown]
	s_waitcnt vmcnt(1)
	v_cvt_f32_f16_e32 v8, v12
	v_cmp_lt_f32_e64 s[14:15], v9, v8
	v_cndmask_b32_e64 v10, v9, v8, s[14:15]
	v_cvt_f32_f16_sdwa v9, v12 dst_sel:DWORD dst_unused:UNUSED_PAD src0_sel:WORD_1
	v_cmp_lt_f32_e64 s[16:17], v10, v9
	v_cndmask_b32_e64 v11, v10, v9, s[16:17]
	v_cvt_f32_f16_e32 v10, v13
	v_cmp_lt_f32_e64 s[18:19], v11, v10
	v_cndmask_b32_e64 v12, v11, v10, s[18:19]
	v_cvt_f32_f16_sdwa v11, v13 dst_sel:DWORD dst_unused:UNUSED_PAD src0_sel:WORD_1
	v_cmp_lt_f32_e64 s[20:21], v12, v11
	v_cndmask_b32_e64 v13, v12, v11, s[20:21]
	v_cvt_f32_f16_e32 v12, v14
	v_cmp_lt_f32_e64 s[22:23], v13, v12
	v_cndmask_b32_e64 v17, v13, v12, s[22:23]
	v_cvt_f32_f16_sdwa v13, v14 dst_sel:DWORD dst_unused:UNUSED_PAD src0_sel:WORD_1
	v_cvt_f32_f16_e32 v14, v15
	v_cvt_f32_f16_sdwa v15, v15 dst_sel:DWORD dst_unused:UNUSED_PAD src0_sel:WORD_1
	v_cmp_lt_f32_e64 s[24:25], v17, v13
	v_cndmask_b32_e64 v17, v17, v13, s[24:25]
	v_cmp_lt_f32_e64 s[26:27], v17, v14
	v_cndmask_b32_e64 v17, v17, v14, s[26:27]
	;; [unrolled: 2-line block ×3, first 2 shown]
	v_mov_b32_e32 v17, 0
	s_cbranch_scc1 .LBB153_8
; %bb.5:
	s_load_dwordx4 s[40:43], s[4:5], 0x20
	v_mul_lo_u32 v18, v22, s30
	v_ashrrev_i32_e32 v19, 31, v18
	v_lshlrev_b64 v[20:21], 2, v[18:19]
	v_sub_f32_e32 v32, v27, v27
	s_waitcnt lgkmcnt(0)
	v_mov_b32_e32 v17, s41
	v_add_co_u32_e64 v18, s[4:5], s40, v20
	v_addc_co_u32_e64 v19, s[4:5], v17, v21, s[4:5]
	v_cndmask_b32_e64 v17, 0, 1, vcc
	v_cndmask_b32_e64 v17, v17, 2, s[0:1]
	v_cndmask_b32_e64 v17, v17, 3, s[2:3]
	v_cndmask_b32_e64 v17, v17, 4, s[6:7]
	v_cndmask_b32_e64 v17, v17, 5, s[8:9]
	v_cndmask_b32_e64 v17, v17, 6, s[10:11]
	v_cndmask_b32_e64 v17, v17, 7, s[12:13]
	v_cndmask_b32_e64 v17, v17, 8, s[14:15]
	v_cndmask_b32_e64 v17, v17, 9, s[16:17]
	v_cndmask_b32_e64 v17, v17, 10, s[18:19]
	v_cndmask_b32_e64 v17, v17, 11, s[20:21]
	v_cndmask_b32_e64 v17, v17, 12, s[22:23]
	v_cndmask_b32_e64 v17, v17, 13, s[24:25]
	v_cndmask_b32_e64 v17, v17, 14, s[26:27]
	v_cndmask_b32_e64 v31, v17, 15, s[28:29]
	v_cmp_le_i32_e32 vcc, s37, v31
	v_cmp_gt_i32_e64 s[0:1], s38, v31
	s_and_b64 s[0:1], vcc, s[0:1]
	v_subrev_u32_e32 v17, s37, v31
	s_and_b64 vcc, s[48:49], s[0:1]
	v_cndmask_b32_e32 v17, 16, v17, vcc
	global_store_dword v[18:19], v17, off
	v_mul_lo_u32 v18, v22, s36
	v_ashrrev_i32_e32 v19, 31, v18
	v_lshlrev_b64 v[18:19], 2, v[18:19]
	v_mov_b32_e32 v17, s43
	v_add_co_u32_e32 v24, vcc, s42, v18
	v_addc_co_u32_e32 v25, vcc, v17, v19, vcc
	v_mul_f32_e32 v17, 0x3fb8aa3b, v32
	global_store_dword v[24:25], v22, off
	v_rndne_f32_e32 v22, v17
	v_sub_f32_e32 v23, v17, v22
	v_fma_f32 v17, v32, s50, -v17
	v_fmac_f32_e32 v17, 0x32a5705f, v32
	v_add_f32_e32 v17, v23, v17
	v_exp_f32_e32 v17, v17
	v_cvt_i32_f32_e32 v22, v22
	v_mov_b32_e32 v25, s45
	v_cmp_ngt_f32_e64 s[34:35], s33, v32
	v_mov_b32_e32 v30, 0xff800000
	v_ldexp_f32 v33, v17, v22
	v_ashrrev_i32_e32 v17, 31, v16
	v_lshlrev_b64 v[22:23], 2, v[16:17]
	v_add_co_u32_e32 v24, vcc, s44, v22
	v_addc_co_u32_e64 v25, s[0:1], v25, v23, vcc
	v_cmp_ne_u32_e64 s[0:1], 15, v31
	v_cmp_ne_u32_e64 s[2:3], 14, v31
	;; [unrolled: 1-line block ×16, first 2 shown]
	v_cndmask_b32_e64 v17, 0, v33, s[34:35]
	v_cmp_nlt_f32_e64 s[34:35], s51, v32
	v_cndmask_b32_e64 v17, v26, v17, s[34:35]
	v_cndmask_b32_e64 v15, v30, v15, s[0:1]
	;; [unrolled: 1-line block ×16, first 2 shown]
	s_cmp_eq_u32 s36, 1
	v_cndmask_b32_e64 v0, v30, v0, s[30:31]
	global_store_dword v[24:25], v17, off
	s_cbranch_scc1 .LBB153_8
; %bb.6:
	v_mov_b32_e32 v22, s43
	v_add_co_u32_e64 v18, s[0:1], s42, v18
	v_addc_co_u32_e64 v19, s[0:1], v19, v22, s[0:1]
	v_add_co_u32_e64 v18, s[0:1], 4, v18
	v_addc_co_u32_e64 v19, s[0:1], 0, v19, s[0:1]
	v_mov_b32_e32 v22, s41
	v_add_co_u32_e64 v20, s[0:1], s40, v20
	v_addc_co_u32_e64 v21, s[0:1], v21, v22, s[0:1]
	v_mov_b32_e32 v22, s45
	v_addc_co_u32_e32 v23, vcc, v23, v22, vcc
	v_add_co_u32_e64 v20, s[0:1], 4, v20
	v_add_co_u32_e32 v22, vcc, 4, v24
	s_add_i32 s53, s53, s52
	v_addc_co_u32_e64 v21, s[0:1], 0, v21, s[0:1]
	v_addc_co_u32_e32 v23, vcc, 0, v23, vcc
	s_add_i32 s39, s36, -1
	v_add3_u32 v24, s53, v29, v28
	s_mov_b32 s40, 0x3fb8aa3b
	s_mov_b32 s41, 0xc2ce8ed0
	;; [unrolled: 1-line block ×3, first 2 shown]
	v_mov_b32_e32 v25, 0x7f800000
.LBB153_7:                              ; =>This Inner Loop Header: Depth=1
	v_cmp_gt_f32_e32 vcc, v1, v0
	v_cndmask_b32_e32 v28, v0, v1, vcc
	v_cmp_gt_f32_e64 s[0:1], v2, v28
	v_cndmask_b32_e64 v28, v28, v2, s[0:1]
	v_cmp_gt_f32_e64 s[2:3], v3, v28
	v_cndmask_b32_e64 v28, v28, v3, s[2:3]
	;; [unrolled: 2-line block ×14, first 2 shown]
	v_sub_f32_e32 v28, v28, v27
	v_mul_f32_e32 v29, 0x3fb8aa3b, v28
	v_fma_f32 v31, v28, s40, -v29
	v_rndne_f32_e32 v32, v29
	v_fmac_f32_e32 v31, 0x32a5705f, v28
	v_sub_f32_e32 v29, v29, v32
	v_add_f32_e32 v29, v29, v31
	v_cndmask_b32_e64 v31, 0, 1, vcc
	v_cndmask_b32_e64 v31, v31, 2, s[0:1]
	v_cndmask_b32_e64 v31, v31, 3, s[2:3]
	;; [unrolled: 1-line block ×14, first 2 shown]
	v_cmp_le_i32_e32 vcc, s37, v31
	v_cmp_gt_i32_e64 s[0:1], s38, v31
	s_and_b64 s[0:1], vcc, s[0:1]
	v_cmp_ne_u32_e64 s[2:3], 15, v31
	v_cmp_ne_u32_e64 s[4:5], 14, v31
	;; [unrolled: 1-line block ×16, first 2 shown]
	v_subrev_u32_e32 v31, s37, v31
	s_and_b64 vcc, s[48:49], s[0:1]
	v_cndmask_b32_e32 v31, 16, v31, vcc
	global_store_dword v[20:21], v31, off
	v_cvt_i32_f32_e32 v31, v32
	v_exp_f32_e32 v29, v29
	v_cmp_ngt_f32_e32 vcc, s41, v28
	global_store_dword v[18:19], v24, off
	s_add_i32 s39, s39, -1
	v_ldexp_f32 v29, v29, v31
	v_cndmask_b32_e32 v29, 0, v29, vcc
	v_cmp_nlt_f32_e32 vcc, s42, v28
	v_cndmask_b32_e32 v28, v25, v29, vcc
	v_add_co_u32_e32 v18, vcc, 4, v18
	v_addc_co_u32_e32 v19, vcc, 0, v19, vcc
	v_add_co_u32_e32 v20, vcc, 4, v20
	v_addc_co_u32_e32 v21, vcc, 0, v21, vcc
	global_store_dword v[22:23], v28, off
	v_add_co_u32_e32 v22, vcc, 4, v22
	v_add_f32_e32 v17, v17, v28
	v_cndmask_b32_e64 v15, v30, v15, s[2:3]
	v_cndmask_b32_e64 v14, v30, v14, s[4:5]
	;; [unrolled: 1-line block ×16, first 2 shown]
	v_add_u32_e32 v24, s52, v24
	s_cmp_eq_u32 s39, 0
	v_addc_co_u32_e32 v23, vcc, 0, v23, vcc
	s_cbranch_scc0 .LBB153_7
.LBB153_8:
	v_sub_f32_e32 v0, v0, v27
	v_mul_f32_e32 v18, 0x3fb8aa3b, v0
	v_fma_f32 v19, v0, s50, -v18
	v_rndne_f32_e32 v20, v18
	v_fmac_f32_e32 v19, 0x32a5705f, v0
	v_sub_f32_e32 v18, v18, v20
	v_add_f32_e32 v18, v18, v19
	v_exp_f32_e32 v18, v18
	v_cvt_i32_f32_e32 v19, v20
	v_sub_f32_e32 v1, v1, v27
	v_cmp_ngt_f32_e32 vcc, s33, v1
	v_cmp_ngt_f32_e64 s[0:1], s33, v0
	v_ldexp_f32 v18, v18, v19
	v_mul_f32_e32 v19, 0x3fb8aa3b, v1
	v_fma_f32 v20, v1, s50, -v19
	v_rndne_f32_e32 v21, v19
	v_fmac_f32_e32 v20, 0x32a5705f, v1
	v_sub_f32_e32 v19, v19, v21
	v_add_f32_e32 v19, v19, v20
	v_exp_f32_e32 v19, v19
	v_cvt_i32_f32_e32 v20, v21
	v_sub_f32_e32 v2, v2, v27
	v_sub_f32_e32 v3, v3, v27
	;; [unrolled: 1-line block ×3, first 2 shown]
	v_ldexp_f32 v19, v19, v20
	v_cndmask_b32_e32 v19, 0, v19, vcc
	v_cmp_nlt_f32_e32 vcc, s51, v1
	v_cndmask_b32_e64 v1, 0, v18, s[0:1]
	v_cmp_nlt_f32_e64 s[0:1], s51, v0
	v_cndmask_b32_e64 v0, v26, v1, s[0:1]
	v_cndmask_b32_e32 v1, v26, v19, vcc
	v_add_f32_e32 v0, v0, v1
	v_mul_f32_e32 v1, 0x3fb8aa3b, v2
	v_fma_f32 v18, v2, s50, -v1
	v_rndne_f32_e32 v19, v1
	v_fmac_f32_e32 v18, 0x32a5705f, v2
	v_sub_f32_e32 v1, v1, v19
	v_add_f32_e32 v1, v1, v18
	v_exp_f32_e32 v1, v1
	v_cvt_i32_f32_e32 v18, v19
	v_cmp_ngt_f32_e32 vcc, s33, v2
	v_sub_f32_e32 v5, v5, v27
	v_sub_f32_e32 v6, v6, v27
	v_ldexp_f32 v1, v1, v18
	v_cndmask_b32_e32 v1, 0, v1, vcc
	v_cmp_nlt_f32_e32 vcc, s51, v2
	v_cndmask_b32_e32 v1, v26, v1, vcc
	v_add_f32_e32 v0, v0, v1
	v_mul_f32_e32 v1, 0x3fb8aa3b, v3
	v_fma_f32 v2, v3, s50, -v1
	v_rndne_f32_e32 v18, v1
	v_fmac_f32_e32 v2, 0x32a5705f, v3
	v_sub_f32_e32 v1, v1, v18
	v_add_f32_e32 v1, v1, v2
	v_exp_f32_e32 v1, v1
	v_cvt_i32_f32_e32 v2, v18
	v_cmp_ngt_f32_e32 vcc, s33, v3
	v_sub_f32_e32 v7, v7, v27
	v_sub_f32_e32 v8, v8, v27
	v_ldexp_f32 v1, v1, v2
	v_cndmask_b32_e32 v1, 0, v1, vcc
	v_cmp_nlt_f32_e32 vcc, s51, v3
	;; [unrolled: 16-line block ×4, first 2 shown]
	v_cndmask_b32_e32 v1, v26, v1, vcc
	v_add_f32_e32 v0, v0, v1
	v_mul_f32_e32 v1, 0x3fb8aa3b, v6
	v_fma_f32 v2, v6, s50, -v1
	v_rndne_f32_e32 v3, v1
	v_fmac_f32_e32 v2, 0x32a5705f, v6
	v_sub_f32_e32 v1, v1, v3
	v_add_f32_e32 v1, v1, v2
	v_exp_f32_e32 v1, v1
	v_cvt_i32_f32_e32 v2, v3
	v_cmp_ngt_f32_e32 vcc, s33, v6
	v_ldexp_f32 v1, v1, v2
	v_cndmask_b32_e32 v1, 0, v1, vcc
	v_cmp_nlt_f32_e32 vcc, s51, v6
	v_cndmask_b32_e32 v1, v26, v1, vcc
	v_add_f32_e32 v0, v0, v1
	v_mul_f32_e32 v1, 0x3fb8aa3b, v7
	v_fma_f32 v2, v7, s50, -v1
	v_rndne_f32_e32 v3, v1
	v_fmac_f32_e32 v2, 0x32a5705f, v7
	v_sub_f32_e32 v1, v1, v3
	v_add_f32_e32 v1, v1, v2
	v_exp_f32_e32 v1, v1
	v_cvt_i32_f32_e32 v2, v3
	v_cmp_ngt_f32_e32 vcc, s33, v7
	v_ldexp_f32 v1, v1, v2
	v_mul_f32_e32 v2, 0x3fb8aa3b, v8
	v_fma_f32 v3, v8, s50, -v2
	v_rndne_f32_e32 v4, v2
	v_fmac_f32_e32 v3, 0x32a5705f, v8
	v_sub_f32_e32 v2, v2, v4
	v_add_f32_e32 v2, v2, v3
	v_exp_f32_e32 v2, v2
	v_cvt_i32_f32_e32 v3, v4
	v_cndmask_b32_e32 v1, 0, v1, vcc
	v_cmp_nlt_f32_e32 vcc, s51, v7
	v_cndmask_b32_e32 v1, v26, v1, vcc
	v_add_f32_e32 v0, v0, v1
	v_ldexp_f32 v1, v2, v3
	v_mul_f32_e32 v2, 0x3fb8aa3b, v9
	v_fma_f32 v3, v9, s50, -v2
	v_rndne_f32_e32 v4, v2
	v_fmac_f32_e32 v3, 0x32a5705f, v9
	v_sub_f32_e32 v2, v2, v4
	v_add_f32_e32 v2, v2, v3
	v_exp_f32_e32 v2, v2
	v_cvt_i32_f32_e32 v3, v4
	v_cmp_ngt_f32_e32 vcc, s33, v8
	v_cndmask_b32_e32 v1, 0, v1, vcc
	v_cmp_nlt_f32_e32 vcc, s51, v8
	v_cndmask_b32_e32 v1, v26, v1, vcc
	v_add_f32_e32 v0, v0, v1
	v_ldexp_f32 v1, v2, v3
	v_mul_f32_e32 v2, 0x3fb8aa3b, v10
	v_fma_f32 v3, v10, s50, -v2
	v_rndne_f32_e32 v4, v2
	v_fmac_f32_e32 v3, 0x32a5705f, v10
	v_sub_f32_e32 v2, v2, v4
	v_add_f32_e32 v2, v2, v3
	v_exp_f32_e32 v2, v2
	v_cvt_i32_f32_e32 v3, v4
	v_cmp_ngt_f32_e32 vcc, s33, v9
	;; [unrolled: 14-line block ×4, first 2 shown]
	v_cndmask_b32_e32 v1, 0, v1, vcc
	v_cmp_nlt_f32_e32 vcc, s51, v11
	v_cndmask_b32_e32 v1, v26, v1, vcc
	v_add_f32_e32 v0, v0, v1
	v_ldexp_f32 v1, v2, v3
	v_sub_f32_e32 v2, v13, v27
	v_mul_f32_e32 v3, 0x3fb8aa3b, v2
	v_fma_f32 v4, v2, s50, -v3
	v_rndne_f32_e32 v5, v3
	v_fmac_f32_e32 v4, 0x32a5705f, v2
	v_sub_f32_e32 v3, v3, v5
	v_add_f32_e32 v3, v3, v4
	v_exp_f32_e32 v3, v3
	v_cvt_i32_f32_e32 v4, v5
	v_cmp_ngt_f32_e32 vcc, s33, v12
	v_cndmask_b32_e32 v1, 0, v1, vcc
	v_cmp_nlt_f32_e32 vcc, s51, v12
	v_cndmask_b32_e32 v1, v26, v1, vcc
	v_add_f32_e32 v0, v0, v1
	v_ldexp_f32 v1, v3, v4
	v_sub_f32_e32 v3, v14, v27
	v_mul_f32_e32 v4, 0x3fb8aa3b, v3
	v_fma_f32 v5, v3, s50, -v4
	v_rndne_f32_e32 v6, v4
	v_fmac_f32_e32 v5, 0x32a5705f, v3
	v_sub_f32_e32 v4, v4, v6
	v_add_f32_e32 v4, v4, v5
	v_exp_f32_e32 v4, v4
	v_cvt_i32_f32_e32 v5, v6
	v_cmp_ngt_f32_e32 vcc, s33, v2
	v_cndmask_b32_e32 v1, 0, v1, vcc
	v_cmp_nlt_f32_e32 vcc, s51, v2
	v_cndmask_b32_e32 v1, v26, v1, vcc
	v_sub_f32_e32 v2, v15, v27
	v_add_f32_e32 v0, v0, v1
	v_ldexp_f32 v1, v4, v5
	v_mul_f32_e32 v4, 0x3fb8aa3b, v2
	v_fma_f32 v5, v2, s50, -v4
	v_rndne_f32_e32 v6, v4
	v_fmac_f32_e32 v5, 0x32a5705f, v2
	v_sub_f32_e32 v4, v4, v6
	v_add_f32_e32 v4, v4, v5
	v_exp_f32_e32 v4, v4
	v_cvt_i32_f32_e32 v5, v6
	v_cmp_ngt_f32_e32 vcc, s33, v3
	v_cndmask_b32_e32 v1, 0, v1, vcc
	v_cmp_nlt_f32_e32 vcc, s51, v3
	v_cndmask_b32_e32 v1, v26, v1, vcc
	v_add_f32_e32 v0, v0, v1
	v_ldexp_f32 v1, v4, v5
	v_cmp_ngt_f32_e32 vcc, s33, v2
	v_cndmask_b32_e32 v1, 0, v1, vcc
	v_cmp_nlt_f32_e32 vcc, s51, v2
	v_cndmask_b32_e32 v1, v26, v1, vcc
	v_add_f32_e32 v0, v0, v1
	v_add_f32_e32 v0, v17, v0
	v_cmp_neq_f32_e32 vcc, 0, v0
	s_and_b64 exec, exec, vcc
	s_cbranch_execz .LBB153_19
; %bb.9:
	s_andn2_b64 vcc, exec, s[46:47]
	s_cbranch_vccnz .LBB153_19
; %bb.10:
	v_div_scale_f32 v1, s[0:1], v0, v0, 1.0
	v_rcp_f32_e32 v2, v1
	v_div_scale_f32 v3, vcc, 1.0, v0, 1.0
	s_cmp_gt_u32 s36, 3
	v_fma_f32 v4, -v1, v2, 1.0
	v_fmac_f32_e32 v2, v4, v2
	v_mul_f32_e32 v4, v3, v2
	v_fma_f32 v5, -v1, v4, v3
	v_fmac_f32_e32 v4, v5, v2
	v_fma_f32 v1, -v1, v4, v3
	v_div_fmas_f32 v1, v1, v2, v4
	v_div_fixup_f32 v0, v1, v0, 1.0
	v_ashrrev_i32_e32 v17, 31, v16
	s_cbranch_scc0 .LBB153_14
; %bb.11:
	v_lshlrev_b64 v[2:3], 2, v[16:17]
	v_mov_b32_e32 v4, s45
	v_add_co_u32_e32 v2, vcc, s44, v2
	v_addc_co_u32_e32 v3, vcc, v3, v4, vcc
	s_and_b32 s4, s36, 0x7ffffffc
	v_add_co_u32_e32 v2, vcc, 8, v2
	v_mov_b32_e32 v1, v0
	v_addc_co_u32_e32 v3, vcc, 0, v3, vcc
	s_mov_b32 s0, s4
.LBB153_12:                             ; =>This Inner Loop Header: Depth=1
	global_load_dwordx4 v[4:7], v[2:3], off offset:-8
	s_add_i32 s0, s0, -4
	s_cmp_lg_u32 s0, 0
	s_waitcnt vmcnt(0)
	v_pk_mul_f32 v[4:5], v[0:1], v[4:5]
	v_pk_mul_f32 v[6:7], v[0:1], v[6:7]
	global_store_dwordx4 v[2:3], v[4:7], off offset:-8
	v_add_co_u32_e32 v2, vcc, 16, v2
	v_addc_co_u32_e32 v3, vcc, 0, v3, vcc
	s_cbranch_scc1 .LBB153_12
; %bb.13:
	s_cmp_lg_u32 s4, s36
	s_cselect_b64 s[0:1], -1, 0
	s_branch .LBB153_16
.LBB153_14:
	s_mov_b64 s[0:1], 0
                                        ; implicit-def: $sgpr4
	s_cbranch_execz .LBB153_16
; %bb.15:
	s_mov_b64 s[0:1], -1
	s_mov_b32 s4, 0
.LBB153_16:
	s_andn2_b64 vcc, exec, s[0:1]
	s_cbranch_vccnz .LBB153_19
; %bb.17:
	v_add_co_u32_e32 v2, vcc, s4, v16
	v_addc_co_u32_e32 v3, vcc, 0, v17, vcc
	v_lshlrev_b64 v[2:3], 2, v[2:3]
	v_mov_b32_e32 v1, s45
	v_add_co_u32_e32 v2, vcc, s44, v2
	s_sub_i32 s0, s36, s4
	v_addc_co_u32_e32 v3, vcc, v1, v3, vcc
.LBB153_18:                             ; =>This Inner Loop Header: Depth=1
	global_load_dword v1, v[2:3], off
	s_add_i32 s0, s0, -1
	s_cmp_lg_u32 s0, 0
	s_waitcnt vmcnt(0)
	v_mul_f32_e32 v1, v0, v1
	global_store_dword v[2:3], v1, off
	v_add_co_u32_e32 v2, vcc, 4, v2
	v_addc_co_u32_e32 v3, vcc, 0, v3, vcc
	s_cbranch_scc1 .LBB153_18
.LBB153_19:
	s_endpgm
	.section	.rodata,"a",@progbits
	.p2align	6, 0x0
	.amdhsa_kernel _ZN4vllm3moe17topkGatingSoftmaxIDF16_Li16ELi16ELi8ELi32ELb0ELi4ELNS0_23SharedExpertScoringFuncE1EEEvPKT_PKbPfiPiS9_iiiiii
		.amdhsa_group_segment_fixed_size 0
		.amdhsa_private_segment_fixed_size 0
		.amdhsa_kernarg_size 72
		.amdhsa_user_sgpr_count 6
		.amdhsa_user_sgpr_private_segment_buffer 1
		.amdhsa_user_sgpr_dispatch_ptr 0
		.amdhsa_user_sgpr_queue_ptr 0
		.amdhsa_user_sgpr_kernarg_segment_ptr 1
		.amdhsa_user_sgpr_dispatch_id 0
		.amdhsa_user_sgpr_flat_scratch_init 0
		.amdhsa_user_sgpr_kernarg_preload_length 0
		.amdhsa_user_sgpr_kernarg_preload_offset 0
		.amdhsa_user_sgpr_private_segment_size 0
		.amdhsa_uses_dynamic_stack 0
		.amdhsa_system_sgpr_private_segment_wavefront_offset 0
		.amdhsa_system_sgpr_workgroup_id_x 1
		.amdhsa_system_sgpr_workgroup_id_y 0
		.amdhsa_system_sgpr_workgroup_id_z 0
		.amdhsa_system_sgpr_workgroup_info 0
		.amdhsa_system_vgpr_workitem_id 1
		.amdhsa_next_free_vgpr 34
		.amdhsa_next_free_sgpr 54
		.amdhsa_accum_offset 36
		.amdhsa_reserve_vcc 1
		.amdhsa_reserve_flat_scratch 0
		.amdhsa_float_round_mode_32 0
		.amdhsa_float_round_mode_16_64 0
		.amdhsa_float_denorm_mode_32 3
		.amdhsa_float_denorm_mode_16_64 3
		.amdhsa_dx10_clamp 1
		.amdhsa_ieee_mode 1
		.amdhsa_fp16_overflow 0
		.amdhsa_tg_split 0
		.amdhsa_exception_fp_ieee_invalid_op 0
		.amdhsa_exception_fp_denorm_src 0
		.amdhsa_exception_fp_ieee_div_zero 0
		.amdhsa_exception_fp_ieee_overflow 0
		.amdhsa_exception_fp_ieee_underflow 0
		.amdhsa_exception_fp_ieee_inexact 0
		.amdhsa_exception_int_div_zero 0
	.end_amdhsa_kernel
	.section	.text._ZN4vllm3moe17topkGatingSoftmaxIDF16_Li16ELi16ELi8ELi32ELb0ELi4ELNS0_23SharedExpertScoringFuncE1EEEvPKT_PKbPfiPiS9_iiiiii,"axG",@progbits,_ZN4vllm3moe17topkGatingSoftmaxIDF16_Li16ELi16ELi8ELi32ELb0ELi4ELNS0_23SharedExpertScoringFuncE1EEEvPKT_PKbPfiPiS9_iiiiii,comdat
.Lfunc_end153:
	.size	_ZN4vllm3moe17topkGatingSoftmaxIDF16_Li16ELi16ELi8ELi32ELb0ELi4ELNS0_23SharedExpertScoringFuncE1EEEvPKT_PKbPfiPiS9_iiiiii, .Lfunc_end153-_ZN4vllm3moe17topkGatingSoftmaxIDF16_Li16ELi16ELi8ELi32ELb0ELi4ELNS0_23SharedExpertScoringFuncE1EEEvPKT_PKbPfiPiS9_iiiiii
                                        ; -- End function
	.section	.AMDGPU.csdata,"",@progbits
; Kernel info:
; codeLenInByte = 4380
; NumSgprs: 58
; NumVgprs: 34
; NumAgprs: 0
; TotalNumVgprs: 34
; ScratchSize: 0
; MemoryBound: 0
; FloatMode: 240
; IeeeMode: 1
; LDSByteSize: 0 bytes/workgroup (compile time only)
; SGPRBlocks: 7
; VGPRBlocks: 4
; NumSGPRsForWavesPerEU: 58
; NumVGPRsForWavesPerEU: 34
; AccumOffset: 36
; Occupancy: 8
; WaveLimiterHint : 0
; COMPUTE_PGM_RSRC2:SCRATCH_EN: 0
; COMPUTE_PGM_RSRC2:USER_SGPR: 6
; COMPUTE_PGM_RSRC2:TRAP_HANDLER: 0
; COMPUTE_PGM_RSRC2:TGID_X_EN: 1
; COMPUTE_PGM_RSRC2:TGID_Y_EN: 0
; COMPUTE_PGM_RSRC2:TGID_Z_EN: 0
; COMPUTE_PGM_RSRC2:TIDIG_COMP_CNT: 1
; COMPUTE_PGM_RSRC3_GFX90A:ACCUM_OFFSET: 8
; COMPUTE_PGM_RSRC3_GFX90A:TG_SPLIT: 0
	.section	.text._ZN4vllm3moe17topkGatingSoftmaxIDF16_Li16ELi16ELi8ELi32ELb1ELi8ELNS0_23SharedExpertScoringFuncE1EEEvPKT_PKbPfiPiS9_iiiiii,"axG",@progbits,_ZN4vllm3moe17topkGatingSoftmaxIDF16_Li16ELi16ELi8ELi32ELb1ELi8ELNS0_23SharedExpertScoringFuncE1EEEvPKT_PKbPfiPiS9_iiiiii,comdat
	.protected	_ZN4vllm3moe17topkGatingSoftmaxIDF16_Li16ELi16ELi8ELi32ELb1ELi8ELNS0_23SharedExpertScoringFuncE1EEEvPKT_PKbPfiPiS9_iiiiii ; -- Begin function _ZN4vllm3moe17topkGatingSoftmaxIDF16_Li16ELi16ELi8ELi32ELb1ELi8ELNS0_23SharedExpertScoringFuncE1EEEvPKT_PKbPfiPiS9_iiiiii
	.globl	_ZN4vllm3moe17topkGatingSoftmaxIDF16_Li16ELi16ELi8ELi32ELb1ELi8ELNS0_23SharedExpertScoringFuncE1EEEvPKT_PKbPfiPiS9_iiiiii
	.p2align	8
	.type	_ZN4vllm3moe17topkGatingSoftmaxIDF16_Li16ELi16ELi8ELi32ELb1ELi8ELNS0_23SharedExpertScoringFuncE1EEEvPKT_PKbPfiPiS9_iiiiii,@function
_ZN4vllm3moe17topkGatingSoftmaxIDF16_Li16ELi16ELi8ELi32ELb1ELi8ELNS0_23SharedExpertScoringFuncE1EEEvPKT_PKbPfiPiS9_iiiiii: ; @_ZN4vllm3moe17topkGatingSoftmaxIDF16_Li16ELi16ELi8ELi32ELb1ELi8ELNS0_23SharedExpertScoringFuncE1EEEvPKT_PKbPfiPiS9_iiiiii
; %bb.0:
	s_load_dword s33, s[4:5], 0x18
	v_bfe_u32 v1, v0, 10, 10
	s_lshl_b32 s34, s6, 9
	v_lshlrev_b32_e32 v25, 6, v1
	v_and_b32_e32 v26, 0x3ff, v0
	v_add3_u32 v14, v25, v26, s34
	s_waitcnt lgkmcnt(0)
	v_cmp_gt_i32_e32 vcc, s33, v14
	s_and_saveexec_b64 s[0:1], vcc
	s_cbranch_execz .LBB154_19
; %bb.1:
	s_load_dwordx4 s[0:3], s[4:5], 0x0
	s_load_dwordx2 s[40:41], s[4:5], 0x10
	s_waitcnt lgkmcnt(0)
	s_cmp_eq_u64 s[2:3], 0
	s_cbranch_scc1 .LBB154_3
; %bb.2:
	v_ashrrev_i32_e32 v1, 31, v14
	v_mov_b32_e32 v2, s3
	v_add_co_u32_e32 v0, vcc, s2, v14
	v_addc_co_u32_e32 v1, vcc, v2, v1, vcc
	global_load_ubyte v0, v[0:1], off
	s_waitcnt vmcnt(0)
	v_and_b32_e32 v0, 1, v0
	v_cmp_eq_u32_e32 vcc, 1, v0
	s_xor_b64 s[2:3], vcc, -1
	s_orn2_b64 s[42:43], s[2:3], exec
	s_branch .LBB154_4
.LBB154_3:
	s_mov_b64 s[42:43], -1
.LBB154_4:
	s_load_dwordx2 s[2:3], s[4:5], 0x40
	s_load_dwordx4 s[36:39], s[4:5], 0x30
	v_mov_b32_e32 v2, s1
	v_mov_b32_e32 v17, s41
	s_mov_b32 s6, 0x3fb8aa3b
	s_waitcnt lgkmcnt(0)
	v_mul_lo_u32 v0, v14, s3
	v_ashrrev_i32_e32 v1, 31, v0
	v_lshlrev_b64 v[0:1], 1, v[0:1]
	v_add_co_u32_e32 v12, vcc, s0, v0
	v_addc_co_u32_e32 v13, vcc, v2, v1, vcc
	global_load_dwordx4 v[8:11], v[12:13], off offset:32
	v_mul_lo_u32 v16, v14, s39
	v_add_u32_e32 v0, s36, v16
	v_ashrrev_i32_e32 v1, 31, v0
	v_lshlrev_b64 v[18:19], 2, v[0:1]
	global_load_dwordx4 v[0:3], v[12:13], off offset:16
	global_load_dwordx4 v[4:7], v[12:13], off
	v_add_co_u32_e32 v12, vcc, s40, v18
	v_addc_co_u32_e32 v13, vcc, v17, v19, vcc
	s_mov_b32 s8, 0x32a5705f
	s_mov_b32 s3, 0xc2ce8ed0
	;; [unrolled: 1-line block ×3, first 2 shown]
	v_mov_b32_e32 v15, 0x7f800000
	s_cmp_gt_i32 s36, 0
	v_mov_b32_e32 v24, 0
	s_cselect_b64 s[44:45], -1, 0
	s_cmp_lt_i32 s36, 1
	s_waitcnt vmcnt(2)
	v_cvt_f32_f16_e64 v17, -v8
	v_cvt_f32_f16_sdwa v18, -v8 dst_sel:DWORD dst_unused:UNUSED_PAD src0_sel:WORD_1
	v_cvt_f32_f16_e64 v19, -v9
	v_cvt_f32_f16_sdwa v20, -v9 dst_sel:DWORD dst_unused:UNUSED_PAD src0_sel:WORD_1
	v_mul_f32_e32 v21, 0x3fb8aa3b, v17
	v_mul_f32_e32 v22, 0x3fb8aa3b, v18
	v_fma_mix_f32 v28, -v8, s6, -v21 op_sel_hi:[1,0,0]
	v_rndne_f32_e32 v29, v21
	v_mul_f32_e32 v23, 0x3fb8aa3b, v19
	v_fma_mix_f32 v30, -v8, s6, -v22 op_sel:[1,0,0] op_sel_hi:[1,0,0]
	v_rndne_f32_e32 v31, v22
	v_fma_mix_f32 v28, -v8, s8, v28 op_sel_hi:[1,0,0]
	v_sub_f32_e32 v21, v21, v29
	v_mul_f32_e32 v27, 0x3fb8aa3b, v20
	v_fma_mix_f32 v32, -v9, s6, -v23 op_sel_hi:[1,0,0]
	v_rndne_f32_e32 v33, v23
	v_fma_mix_f32 v8, -v8, s8, v30 op_sel:[1,0,0] op_sel_hi:[1,0,0]
	v_sub_f32_e32 v22, v22, v31
	v_add_f32_e32 v21, v21, v28
	v_fma_mix_f32 v34, -v9, s6, -v27 op_sel:[1,0,0] op_sel_hi:[1,0,0]
	v_rndne_f32_e32 v35, v27
	v_cvt_i32_f32_e32 v29, v29
	v_cvt_i32_f32_e32 v30, v31
	v_fma_mix_f32 v31, -v9, s8, v32 op_sel_hi:[1,0,0]
	v_sub_f32_e32 v23, v23, v33
	v_add_f32_e32 v8, v22, v8
	v_exp_f32_e32 v21, v21
	v_fma_mix_f32 v9, -v9, s8, v34 op_sel:[1,0,0] op_sel_hi:[1,0,0]
	v_sub_f32_e32 v27, v27, v35
	v_add_f32_e32 v22, v23, v31
	v_exp_f32_e32 v8, v8
	v_cvt_i32_f32_e32 v32, v33
	v_add_f32_e32 v9, v27, v9
	v_exp_f32_e32 v22, v22
	v_cvt_i32_f32_e32 v33, v35
	v_exp_f32_e32 v9, v9
	v_ldexp_f32 v21, v21, v29
	v_cmp_ngt_f32_e32 vcc, s3, v17
	v_ldexp_f32 v8, v8, v30
	v_cndmask_b32_e32 v21, 0, v21, vcc
	v_cmp_ngt_f32_e32 vcc, s3, v18
	v_ldexp_f32 v22, v22, v32
	v_cndmask_b32_e32 v23, 0, v8, vcc
	;; [unrolled: 3-line block ×3, first 2 shown]
	v_cmp_ngt_f32_e32 vcc, s3, v20
	v_cndmask_b32_e32 v27, 0, v9, vcc
	v_cmp_nlt_f32_e32 vcc, s7, v17
	v_cndmask_b32_e32 v8, v15, v21, vcc
	v_cmp_nlt_f32_e32 vcc, s7, v18
	;; [unrolled: 2-line block ×4, first 2 shown]
	v_pk_add_f32 v[8:9], v[8:9], 1.0 op_sel_hi:[1,0]
	v_cndmask_b32_e32 v19, v15, v27, vcc
	v_div_scale_f32 v17, s[0:1], v9, v9, 1.0
	v_pk_add_f32 v[20:21], v[18:19], 1.0 op_sel_hi:[1,0]
	v_div_scale_f32 v19, s[0:1], v8, v8, 1.0
	v_rcp_f32_e32 v23, v17
	v_div_scale_f32 v22, s[0:1], v21, v21, 1.0
	v_rcp_f32_e32 v27, v19
	v_rcp_f32_e32 v28, v22
	v_fma_f32 v30, -v17, v23, 1.0
	v_div_scale_f32 v18, vcc, 1.0, v9, 1.0
	v_fma_f32 v31, -v19, v27, 1.0
	v_fmac_f32_e32 v23, v30, v23
	v_div_scale_f32 v29, s[0:1], 1.0, v8, 1.0
	v_fma_f32 v32, -v22, v28, 1.0
	v_fmac_f32_e32 v27, v31, v27
	v_mul_f32_e32 v30, v18, v23
	v_fmac_f32_e32 v28, v32, v28
	v_mul_f32_e32 v31, v29, v27
	v_fma_f32 v32, -v17, v30, v18
	v_fma_f32 v33, -v19, v31, v29
	v_fmac_f32_e32 v30, v32, v23
	v_fmac_f32_e32 v31, v33, v27
	v_fma_f32 v17, -v17, v30, v18
	v_fma_f32 v18, -v19, v31, v29
	v_div_fmas_f32 v17, v17, v23, v30
	s_mov_b64 vcc, s[0:1]
	v_div_fixup_f32 v19, v17, v9, 1.0
	v_div_fmas_f32 v9, v18, v27, v31
	v_div_fixup_f32 v18, v9, v8, 1.0
	v_div_scale_f32 v8, vcc, 1.0, v21, 1.0
	v_mul_f32_e32 v9, v8, v28
	v_fma_f32 v17, -v22, v9, v8
	v_fmac_f32_e32 v9, v17, v28
	v_div_scale_f32 v17, s[0:1], v20, v20, 1.0
	v_fma_f32 v8, -v22, v9, v8
	v_rcp_f32_e32 v22, v17
	v_div_fmas_f32 v8, v8, v28, v9
	v_div_fixup_f32 v21, v8, v21, 1.0
	v_div_scale_f32 v9, vcc, 1.0, v20, 1.0
	v_fma_f32 v8, -v17, v22, 1.0
	v_fmac_f32_e32 v22, v8, v22
	v_cvt_f32_f16_e64 v8, -v10
	v_mul_f32_e32 v23, v9, v22
	v_fma_f32 v27, -v17, v23, v9
	v_fmac_f32_e32 v23, v27, v22
	v_mul_f32_e32 v28, 0x3fb8aa3b, v8
	v_fma_mix_f32 v29, -v10, s6, -v28 op_sel_hi:[1,0,0]
	v_rndne_f32_e32 v30, v28
	v_fma_mix_f32 v29, -v10, s8, v29 op_sel_hi:[1,0,0]
	v_sub_f32_e32 v28, v28, v30
	v_add_f32_e32 v28, v28, v29
	v_cvt_i32_f32_e32 v29, v30
	v_cvt_f32_f16_sdwa v30, -v10 dst_sel:DWORD dst_unused:UNUSED_PAD src0_sel:WORD_1
	v_exp_f32_e32 v28, v28
	v_fma_f32 v17, -v17, v23, v9
	v_cmp_ngt_f32_e64 s[0:1], s3, v8
	v_mul_f32_e32 v27, 0x3fb8aa3b, v30
	v_ldexp_f32 v9, v28, v29
	v_fma_mix_f32 v28, -v10, s6, -v27 op_sel:[1,0,0] op_sel_hi:[1,0,0]
	v_fma_mix_f32 v10, -v10, s8, v28 op_sel:[1,0,0] op_sel_hi:[1,0,0]
	v_rndne_f32_e32 v28, v27
	v_sub_f32_e32 v27, v27, v28
	v_add_f32_e32 v10, v27, v10
	v_exp_f32_e32 v10, v10
	v_cvt_i32_f32_e32 v27, v28
	v_cndmask_b32_e64 v9, 0, v9, s[0:1]
	v_cmp_nlt_f32_e64 s[0:1], s7, v8
	v_cndmask_b32_e64 v8, v15, v9, s[0:1]
	v_ldexp_f32 v9, v10, v27
	v_cmp_ngt_f32_e64 s[0:1], s3, v30
	v_cndmask_b32_e64 v9, 0, v9, s[0:1]
	v_cmp_nlt_f32_e64 s[0:1], s7, v30
	v_cndmask_b32_e64 v9, v15, v9, s[0:1]
	v_pk_add_f32 v[8:9], v[8:9], 1.0 op_sel_hi:[1,0]
	v_div_scale_f32 v10, s[0:1], v9, v9, 1.0
	v_rcp_f32_e32 v27, v10
	v_div_fmas_f32 v17, v17, v22, v23
	v_div_fixup_f32 v20, v17, v20, 1.0
	global_store_dwordx4 v[12:13], v[18:21], off
	v_fma_f32 v17, -v10, v27, 1.0
	v_fmac_f32_e32 v27, v17, v27
	v_div_scale_f32 v17, vcc, 1.0, v9, 1.0
	v_mul_f32_e32 v18, v17, v27
	v_fma_f32 v19, -v10, v18, v17
	v_fmac_f32_e32 v18, v19, v27
	v_fma_f32 v10, -v10, v18, v17
	v_div_scale_f32 v17, s[0:1], v8, v8, 1.0
	v_rcp_f32_e32 v19, v17
	v_div_fmas_f32 v10, v10, v27, v18
	v_div_fixup_f32 v9, v10, v9, 1.0
	v_div_scale_f32 v18, vcc, 1.0, v8, 1.0
	v_fma_f32 v10, -v17, v19, 1.0
	v_fmac_f32_e32 v19, v10, v19
	v_cvt_f32_f16_e64 v10, -v11
	v_mul_f32_e32 v20, v18, v19
	v_fma_f32 v21, -v17, v20, v18
	v_fmac_f32_e32 v20, v21, v19
	v_mul_f32_e32 v22, 0x3fb8aa3b, v10
	v_fma_mix_f32 v23, -v11, s6, -v22 op_sel_hi:[1,0,0]
	v_rndne_f32_e32 v27, v22
	v_fma_mix_f32 v23, -v11, s8, v23 op_sel_hi:[1,0,0]
	v_sub_f32_e32 v22, v22, v27
	v_add_f32_e32 v22, v22, v23
	v_cvt_i32_f32_e32 v23, v27
	v_cvt_f32_f16_sdwa v27, -v11 dst_sel:DWORD dst_unused:UNUSED_PAD src0_sel:WORD_1
	v_exp_f32_e32 v22, v22
	v_fma_f32 v17, -v17, v20, v18
	v_cmp_ngt_f32_e64 s[0:1], s3, v10
	v_mul_f32_e32 v21, 0x3fb8aa3b, v27
	v_ldexp_f32 v18, v22, v23
	v_fma_mix_f32 v22, -v11, s6, -v21 op_sel:[1,0,0] op_sel_hi:[1,0,0]
	v_fma_mix_f32 v11, -v11, s8, v22 op_sel:[1,0,0] op_sel_hi:[1,0,0]
	v_rndne_f32_e32 v22, v21
	v_sub_f32_e32 v21, v21, v22
	v_add_f32_e32 v11, v21, v11
	v_exp_f32_e32 v11, v11
	v_cvt_i32_f32_e32 v21, v22
	v_cndmask_b32_e64 v18, 0, v18, s[0:1]
	v_cmp_nlt_f32_e64 s[0:1], s7, v10
	v_cndmask_b32_e64 v10, v15, v18, s[0:1]
	v_ldexp_f32 v11, v11, v21
	v_cmp_ngt_f32_e64 s[0:1], s3, v27
	v_cndmask_b32_e64 v11, 0, v11, s[0:1]
	v_cmp_nlt_f32_e64 s[0:1], s7, v27
	v_cndmask_b32_e64 v11, v15, v11, s[0:1]
	v_pk_add_f32 v[10:11], v[10:11], 1.0 op_sel_hi:[1,0]
	v_div_scale_f32 v18, s[0:1], v11, v11, 1.0
	v_rcp_f32_e32 v21, v18
	v_div_fmas_f32 v17, v17, v19, v20
	v_div_fixup_f32 v8, v17, v8, 1.0
	v_fma_f32 v17, -v18, v21, 1.0
	v_fmac_f32_e32 v21, v17, v21
	v_div_scale_f32 v17, vcc, 1.0, v11, 1.0
	v_mul_f32_e32 v19, v17, v21
	v_fma_f32 v20, -v18, v19, v17
	v_fmac_f32_e32 v19, v20, v21
	v_fma_f32 v17, -v18, v19, v17
	v_div_scale_f32 v18, s[0:1], v10, v10, 1.0
	v_rcp_f32_e32 v20, v18
	v_div_fmas_f32 v17, v17, v21, v19
	v_div_fixup_f32 v11, v17, v11, 1.0
	v_fma_f32 v17, -v18, v20, 1.0
	v_fmac_f32_e32 v20, v17, v20
	v_div_scale_f32 v17, vcc, 1.0, v10, 1.0
	v_mul_f32_e32 v19, v17, v20
	v_fma_f32 v21, -v18, v19, v17
	v_fmac_f32_e32 v19, v21, v20
	v_fma_f32 v17, -v18, v19, v17
	v_div_fmas_f32 v17, v17, v20, v19
	v_div_fixup_f32 v10, v17, v10, 1.0
	global_store_dwordx4 v[12:13], v[8:11], off offset:16
	s_cbranch_scc1 .LBB154_8
; %bb.5:
	s_waitcnt vmcnt(2)
	v_cvt_f32_f16_e32 v28, v4
	v_cvt_f32_f16_sdwa v29, v4 dst_sel:DWORD dst_unused:UNUSED_PAD src0_sel:WORD_1
	v_cvt_f32_f16_e32 v31, v5
	v_cvt_f32_f16_sdwa v30, v5 dst_sel:DWORD dst_unused:UNUSED_PAD src0_sel:WORD_1
	v_cmp_lt_f16_sdwa vcc, v4, v4 src0_sel:DWORD src1_sel:WORD_1
	v_cvt_f32_f16_sdwa v9, v1 dst_sel:DWORD dst_unused:UNUSED_PAD src0_sel:WORD_1
	v_cvt_f32_f16_e32 v10, v1
	v_cndmask_b32_e32 v1, v28, v29, vcc
	v_cvt_f32_f16_e32 v33, v6
	v_cvt_f32_f16_sdwa v8, v0 dst_sel:DWORD dst_unused:UNUSED_PAD src0_sel:WORD_1
	v_cvt_f32_f16_e32 v36, v0
	v_cndmask_b32_e64 v0, 0, 1, vcc
	v_cmp_lt_f32_e32 vcc, v1, v31
	v_cndmask_b32_e32 v1, v1, v31, vcc
	v_cvt_f32_f16_sdwa v32, v6 dst_sel:DWORD dst_unused:UNUSED_PAD src0_sel:WORD_1
	v_cndmask_b32_e64 v0, v0, 2, vcc
	v_cmp_lt_f32_e32 vcc, v1, v30
	v_cndmask_b32_e32 v1, v1, v30, vcc
	v_cvt_f32_f16_e32 v35, v7
	v_cndmask_b32_e64 v0, v0, 3, vcc
	v_cmp_lt_f32_e32 vcc, v1, v33
	v_cndmask_b32_e32 v1, v1, v33, vcc
	v_cvt_f32_f16_sdwa v34, v7 dst_sel:DWORD dst_unused:UNUSED_PAD src0_sel:WORD_1
	v_cndmask_b32_e64 v0, v0, 4, vcc
	v_cmp_lt_f32_e32 vcc, v1, v32
	v_cndmask_b32_e32 v1, v1, v32, vcc
	v_cndmask_b32_e64 v0, v0, 5, vcc
	v_cmp_lt_f32_e32 vcc, v1, v35
	v_cndmask_b32_e32 v1, v1, v35, vcc
	;; [unrolled: 3-line block ×5, first 2 shown]
	v_cvt_f32_f16_e32 v12, v2
	v_cndmask_b32_e64 v0, v0, 9, vcc
	v_cmp_lt_f32_e32 vcc, v1, v10
	v_cndmask_b32_e32 v1, v1, v10, vcc
	v_cvt_f32_f16_sdwa v11, v2 dst_sel:DWORD dst_unused:UNUSED_PAD src0_sel:WORD_1
	v_cndmask_b32_e64 v0, v0, 10, vcc
	v_cmp_lt_f32_e32 vcc, v1, v9
	v_cndmask_b32_e32 v1, v1, v9, vcc
	v_cvt_f32_f16_e32 v18, v3
	v_cndmask_b32_e64 v0, v0, 11, vcc
	v_cmp_lt_f32_e32 vcc, v1, v12
	v_cndmask_b32_e32 v1, v1, v12, vcc
	v_cvt_f32_f16_sdwa v19, v3 dst_sel:DWORD dst_unused:UNUSED_PAD src0_sel:WORD_1
	v_cndmask_b32_e64 v0, v0, 12, vcc
	v_cmp_lt_f32_e32 vcc, v1, v11
	v_cndmask_b32_e32 v1, v1, v11, vcc
	v_cndmask_b32_e64 v0, v0, 13, vcc
	v_cmp_lt_f32_e32 vcc, v1, v18
	v_cndmask_b32_e32 v1, v1, v18, vcc
	;; [unrolled: 3-line block ×3, first 2 shown]
	v_cndmask_b32_e64 v13, v0, 15, vcc
	v_sub_f32_e32 v0, v27, v27
	v_mul_f32_e32 v1, 0x3fb8aa3b, v0
	v_fma_f32 v2, v0, s6, -v1
	v_rndne_f32_e32 v3, v1
	v_fmac_f32_e32 v2, 0x32a5705f, v0
	v_sub_f32_e32 v1, v1, v3
	v_add_f32_e32 v1, v1, v2
	v_exp_f32_e32 v1, v1
	v_cvt_i32_f32_e32 v2, v3
	v_cmp_le_i32_e32 vcc, s37, v13
	v_cmp_gt_i32_e64 s[0:1], s38, v13
	s_load_dwordx4 s[28:31], s[4:5], 0x20
	s_and_b64 s[4:5], vcc, s[0:1]
	v_ldexp_f32 v1, v1, v2
	v_cmp_ngt_f32_e32 vcc, s3, v0
	v_cndmask_b32_e32 v1, 0, v1, vcc
	v_cmp_nlt_f32_e32 vcc, s7, v0
	v_ashrrev_i32_e32 v17, 31, v16
	v_cndmask_b32_e32 v24, v15, v1, vcc
	v_lshlrev_b64 v[0:1], 2, v[16:17]
	v_mul_lo_u32 v4, v14, s2
	v_mov_b32_e32 v3, s41
	v_add_co_u32_e32 v2, vcc, s40, v0
	v_addc_co_u32_e64 v3, s[0:1], v3, v1, vcc
	v_ashrrev_i32_e32 v5, 31, v4
	v_mul_lo_u32 v6, v14, s36
	v_subrev_u32_e32 v0, s37, v13
	s_and_b64 s[0:1], s[42:43], s[4:5]
	v_lshlrev_b64 v[4:5], 2, v[4:5]
	global_store_dword v[2:3], v24, off
	v_cndmask_b32_e64 v0, 16, v0, s[0:1]
	s_waitcnt lgkmcnt(0)
	v_mov_b32_e32 v3, s29
	v_add_co_u32_e64 v20, s[0:1], s28, v4
	v_ashrrev_i32_e32 v7, 31, v6
	v_addc_co_u32_e64 v21, s[0:1], v3, v5, s[0:1]
	v_lshlrev_b64 v[6:7], 2, v[6:7]
	global_store_dword v[20:21], v0, off
	v_mov_b32_e32 v0, s31
	v_add_co_u32_e64 v20, s[0:1], s30, v6
	v_addc_co_u32_e64 v21, s[0:1], v0, v7, s[0:1]
	s_cmp_eq_u32 s36, 1
	global_store_dword v[20:21], v14, off
	s_cbranch_scc1 .LBB154_8
; %bb.6:
	v_mov_b32_e32 v17, 0xff800000
	v_cmp_ne_u32_e64 s[0:1], 15, v13
	v_mov_b32_e32 v0, s31
	v_add_co_u32_e64 v3, s[26:27], s30, v6
	v_cndmask_b32_e64 v15, v17, v19, s[0:1]
	v_cmp_ne_u32_e64 s[0:1], 14, v13
	v_addc_co_u32_e64 v0, s[26:27], v7, v0, s[26:27]
	v_cndmask_b32_e64 v14, v17, v18, s[0:1]
	v_add_co_u32_e64 v18, s[26:27], 4, v3
	v_addc_co_u32_e64 v19, s[26:27], 0, v0, s[26:27]
	v_mov_b32_e32 v0, s29
	v_add_co_u32_e64 v3, s[26:27], s28, v4
	v_addc_co_u32_e64 v0, s[26:27], v5, v0, s[26:27]
	v_add_co_u32_e64 v20, s[26:27], 4, v3
	v_addc_co_u32_e64 v21, s[26:27], 0, v0, s[26:27]
	v_mov_b32_e32 v0, s41
	v_addc_co_u32_e32 v0, vcc, v1, v0, vcc
	v_add_co_u32_e32 v22, vcc, 4, v2
	v_addc_co_u32_e32 v23, vcc, 0, v0, vcc
	v_cmp_ne_u32_e64 s[0:1], 12, v13
	v_cmp_ne_u32_e64 s[2:3], 11, v13
	;; [unrolled: 1-line block ×13, first 2 shown]
	s_add_i32 s34, s34, s33
	v_cmp_ne_u32_e32 vcc, 13, v13
	s_add_i32 s39, s36, -1
	v_add3_u32 v25, s34, v26, v25
	s_mov_b32 s46, 0x3fb8aa3b
	s_mov_b32 s47, 0xc2ce8ed0
	;; [unrolled: 1-line block ×3, first 2 shown]
	v_mov_b32_e32 v26, 0x7f800000
	v_cndmask_b32_e32 v13, v17, v11, vcc
	v_cndmask_b32_e64 v12, v17, v12, s[0:1]
	v_cndmask_b32_e64 v11, v17, v9, s[2:3]
	;; [unrolled: 1-line block ×13, first 2 shown]
.LBB154_7:                              ; =>This Inner Loop Header: Depth=1
	v_cmp_gt_f32_e32 vcc, v1, v0
	v_cndmask_b32_e32 v28, v0, v1, vcc
	v_cmp_gt_f32_e64 s[0:1], v2, v28
	v_cndmask_b32_e64 v28, v28, v2, s[0:1]
	v_cmp_gt_f32_e64 s[2:3], v3, v28
	v_cndmask_b32_e64 v28, v28, v3, s[2:3]
	;; [unrolled: 2-line block ×14, first 2 shown]
	v_sub_f32_e32 v28, v28, v27
	v_mul_f32_e32 v29, 0x3fb8aa3b, v28
	v_fma_f32 v30, v28, s46, -v29
	v_rndne_f32_e32 v31, v29
	v_fmac_f32_e32 v30, 0x32a5705f, v28
	v_sub_f32_e32 v29, v29, v31
	v_add_f32_e32 v29, v29, v30
	v_cndmask_b32_e64 v30, 0, 1, vcc
	v_cndmask_b32_e64 v30, v30, 2, s[0:1]
	v_cndmask_b32_e64 v30, v30, 3, s[2:3]
	;; [unrolled: 1-line block ×14, first 2 shown]
	v_cmp_le_i32_e32 vcc, s37, v30
	v_cmp_gt_i32_e64 s[0:1], s38, v30
	s_and_b64 s[0:1], vcc, s[0:1]
	v_cmp_ne_u32_e64 s[2:3], 15, v30
	v_cmp_ne_u32_e64 s[4:5], 14, v30
	;; [unrolled: 1-line block ×16, first 2 shown]
	v_subrev_u32_e32 v30, s37, v30
	s_and_b64 vcc, s[42:43], s[0:1]
	v_cndmask_b32_e32 v30, 16, v30, vcc
	global_store_dword v[20:21], v30, off
	v_cvt_i32_f32_e32 v30, v31
	v_exp_f32_e32 v29, v29
	v_cmp_ngt_f32_e32 vcc, s47, v28
	global_store_dword v[18:19], v25, off
	s_add_i32 s39, s39, -1
	v_ldexp_f32 v29, v29, v30
	v_cndmask_b32_e32 v29, 0, v29, vcc
	v_cmp_nlt_f32_e32 vcc, s48, v28
	v_cndmask_b32_e32 v28, v26, v29, vcc
	v_add_co_u32_e32 v18, vcc, 4, v18
	v_addc_co_u32_e32 v19, vcc, 0, v19, vcc
	v_add_co_u32_e32 v20, vcc, 4, v20
	v_addc_co_u32_e32 v21, vcc, 0, v21, vcc
	global_store_dword v[22:23], v28, off
	v_add_co_u32_e32 v22, vcc, 4, v22
	v_add_f32_e32 v24, v24, v28
	v_cndmask_b32_e64 v15, v17, v15, s[2:3]
	v_cndmask_b32_e64 v14, v17, v14, s[4:5]
	;; [unrolled: 1-line block ×16, first 2 shown]
	v_add_u32_e32 v25, s33, v25
	s_cmp_eq_u32 s39, 0
	v_addc_co_u32_e32 v23, vcc, 0, v23, vcc
	s_cbranch_scc0 .LBB154_7
.LBB154_8:
	v_cmp_neq_f32_e32 vcc, 0, v24
	s_and_b64 exec, exec, vcc
	s_cbranch_execz .LBB154_19
; %bb.9:
	s_andn2_b64 vcc, exec, s[44:45]
	s_cbranch_vccnz .LBB154_19
; %bb.10:
	s_waitcnt vmcnt(3)
	v_div_scale_f32 v0, s[0:1], v24, v24, 1.0
	v_rcp_f32_e32 v1, v0
	v_div_scale_f32 v2, vcc, 1.0, v24, 1.0
	s_cmp_gt_u32 s36, 3
	v_fma_f32 v3, -v0, v1, 1.0
	v_fmac_f32_e32 v1, v3, v1
	v_mul_f32_e32 v3, v2, v1
	s_waitcnt vmcnt(2)
	v_fma_f32 v4, -v0, v3, v2
	v_fmac_f32_e32 v3, v4, v1
	v_fma_f32 v0, -v0, v3, v2
	v_div_fmas_f32 v0, v0, v1, v3
	v_div_fixup_f32 v0, v0, v24, 1.0
	v_ashrrev_i32_e32 v17, 31, v16
	s_cbranch_scc0 .LBB154_14
; %bb.11:
	v_lshlrev_b64 v[2:3], 2, v[16:17]
	v_mov_b32_e32 v4, s41
	v_add_co_u32_e32 v2, vcc, s40, v2
	v_addc_co_u32_e32 v3, vcc, v3, v4, vcc
	s_and_b32 s4, s36, 0x7ffffffc
	v_add_co_u32_e32 v2, vcc, 8, v2
	v_mov_b32_e32 v1, v0
	v_addc_co_u32_e32 v3, vcc, 0, v3, vcc
	s_mov_b32 s0, s4
.LBB154_12:                             ; =>This Inner Loop Header: Depth=1
	global_load_dwordx4 v[4:7], v[2:3], off offset:-8
	s_add_i32 s0, s0, -4
	s_cmp_lg_u32 s0, 0
	s_waitcnt vmcnt(0)
	v_pk_mul_f32 v[4:5], v[0:1], v[4:5]
	v_pk_mul_f32 v[6:7], v[0:1], v[6:7]
	global_store_dwordx4 v[2:3], v[4:7], off offset:-8
	v_add_co_u32_e32 v2, vcc, 16, v2
	v_addc_co_u32_e32 v3, vcc, 0, v3, vcc
	s_cbranch_scc1 .LBB154_12
; %bb.13:
	s_cmp_lg_u32 s4, s36
	s_cselect_b64 s[0:1], -1, 0
	s_branch .LBB154_16
.LBB154_14:
	s_mov_b64 s[0:1], 0
                                        ; implicit-def: $sgpr4
	s_cbranch_execz .LBB154_16
; %bb.15:
	s_mov_b64 s[0:1], -1
	s_mov_b32 s4, 0
.LBB154_16:
	s_andn2_b64 vcc, exec, s[0:1]
	s_cbranch_vccnz .LBB154_19
; %bb.17:
	v_add_co_u32_e32 v2, vcc, s4, v16
	v_addc_co_u32_e32 v3, vcc, 0, v17, vcc
	v_lshlrev_b64 v[2:3], 2, v[2:3]
	v_mov_b32_e32 v1, s41
	v_add_co_u32_e32 v2, vcc, s40, v2
	s_sub_i32 s0, s36, s4
	v_addc_co_u32_e32 v3, vcc, v1, v3, vcc
.LBB154_18:                             ; =>This Inner Loop Header: Depth=1
	global_load_dword v1, v[2:3], off
	s_add_i32 s0, s0, -1
	s_cmp_lg_u32 s0, 0
	s_waitcnt vmcnt(0)
	v_mul_f32_e32 v1, v0, v1
	global_store_dword v[2:3], v1, off
	v_add_co_u32_e32 v2, vcc, 4, v2
	v_addc_co_u32_e32 v3, vcc, 0, v3, vcc
	s_cbranch_scc1 .LBB154_18
.LBB154_19:
	s_endpgm
	.section	.rodata,"a",@progbits
	.p2align	6, 0x0
	.amdhsa_kernel _ZN4vllm3moe17topkGatingSoftmaxIDF16_Li16ELi16ELi8ELi32ELb1ELi8ELNS0_23SharedExpertScoringFuncE1EEEvPKT_PKbPfiPiS9_iiiiii
		.amdhsa_group_segment_fixed_size 0
		.amdhsa_private_segment_fixed_size 0
		.amdhsa_kernarg_size 72
		.amdhsa_user_sgpr_count 6
		.amdhsa_user_sgpr_private_segment_buffer 1
		.amdhsa_user_sgpr_dispatch_ptr 0
		.amdhsa_user_sgpr_queue_ptr 0
		.amdhsa_user_sgpr_kernarg_segment_ptr 1
		.amdhsa_user_sgpr_dispatch_id 0
		.amdhsa_user_sgpr_flat_scratch_init 0
		.amdhsa_user_sgpr_kernarg_preload_length 0
		.amdhsa_user_sgpr_kernarg_preload_offset 0
		.amdhsa_user_sgpr_private_segment_size 0
		.amdhsa_uses_dynamic_stack 0
		.amdhsa_system_sgpr_private_segment_wavefront_offset 0
		.amdhsa_system_sgpr_workgroup_id_x 1
		.amdhsa_system_sgpr_workgroup_id_y 0
		.amdhsa_system_sgpr_workgroup_id_z 0
		.amdhsa_system_sgpr_workgroup_info 0
		.amdhsa_system_vgpr_workitem_id 1
		.amdhsa_next_free_vgpr 37
		.amdhsa_next_free_sgpr 49
		.amdhsa_accum_offset 40
		.amdhsa_reserve_vcc 1
		.amdhsa_reserve_flat_scratch 0
		.amdhsa_float_round_mode_32 0
		.amdhsa_float_round_mode_16_64 0
		.amdhsa_float_denorm_mode_32 3
		.amdhsa_float_denorm_mode_16_64 3
		.amdhsa_dx10_clamp 1
		.amdhsa_ieee_mode 1
		.amdhsa_fp16_overflow 0
		.amdhsa_tg_split 0
		.amdhsa_exception_fp_ieee_invalid_op 0
		.amdhsa_exception_fp_denorm_src 0
		.amdhsa_exception_fp_ieee_div_zero 0
		.amdhsa_exception_fp_ieee_overflow 0
		.amdhsa_exception_fp_ieee_underflow 0
		.amdhsa_exception_fp_ieee_inexact 0
		.amdhsa_exception_int_div_zero 0
	.end_amdhsa_kernel
	.section	.text._ZN4vllm3moe17topkGatingSoftmaxIDF16_Li16ELi16ELi8ELi32ELb1ELi8ELNS0_23SharedExpertScoringFuncE1EEEvPKT_PKbPfiPiS9_iiiiii,"axG",@progbits,_ZN4vllm3moe17topkGatingSoftmaxIDF16_Li16ELi16ELi8ELi32ELb1ELi8ELNS0_23SharedExpertScoringFuncE1EEEvPKT_PKbPfiPiS9_iiiiii,comdat
.Lfunc_end154:
	.size	_ZN4vllm3moe17topkGatingSoftmaxIDF16_Li16ELi16ELi8ELi32ELb1ELi8ELNS0_23SharedExpertScoringFuncE1EEEvPKT_PKbPfiPiS9_iiiiii, .Lfunc_end154-_ZN4vllm3moe17topkGatingSoftmaxIDF16_Li16ELi16ELi8ELi32ELb1ELi8ELNS0_23SharedExpertScoringFuncE1EEEvPKT_PKbPfiPiS9_iiiiii
                                        ; -- End function
	.section	.AMDGPU.csdata,"",@progbits
; Kernel info:
; codeLenInByte = 3708
; NumSgprs: 53
; NumVgprs: 37
; NumAgprs: 0
; TotalNumVgprs: 37
; ScratchSize: 0
; MemoryBound: 0
; FloatMode: 240
; IeeeMode: 1
; LDSByteSize: 0 bytes/workgroup (compile time only)
; SGPRBlocks: 6
; VGPRBlocks: 4
; NumSGPRsForWavesPerEU: 53
; NumVGPRsForWavesPerEU: 37
; AccumOffset: 40
; Occupancy: 8
; WaveLimiterHint : 0
; COMPUTE_PGM_RSRC2:SCRATCH_EN: 0
; COMPUTE_PGM_RSRC2:USER_SGPR: 6
; COMPUTE_PGM_RSRC2:TRAP_HANDLER: 0
; COMPUTE_PGM_RSRC2:TGID_X_EN: 1
; COMPUTE_PGM_RSRC2:TGID_Y_EN: 0
; COMPUTE_PGM_RSRC2:TGID_Z_EN: 0
; COMPUTE_PGM_RSRC2:TIDIG_COMP_CNT: 1
; COMPUTE_PGM_RSRC3_GFX90A:ACCUM_OFFSET: 9
; COMPUTE_PGM_RSRC3_GFX90A:TG_SPLIT: 0
	.section	.text._ZN4vllm3moe17topkGatingSoftmaxIDF16_Li16ELi16ELi8ELi32ELb0ELi8ELNS0_23SharedExpertScoringFuncE1EEEvPKT_PKbPfiPiS9_iiiiii,"axG",@progbits,_ZN4vllm3moe17topkGatingSoftmaxIDF16_Li16ELi16ELi8ELi32ELb0ELi8ELNS0_23SharedExpertScoringFuncE1EEEvPKT_PKbPfiPiS9_iiiiii,comdat
	.protected	_ZN4vllm3moe17topkGatingSoftmaxIDF16_Li16ELi16ELi8ELi32ELb0ELi8ELNS0_23SharedExpertScoringFuncE1EEEvPKT_PKbPfiPiS9_iiiiii ; -- Begin function _ZN4vllm3moe17topkGatingSoftmaxIDF16_Li16ELi16ELi8ELi32ELb0ELi8ELNS0_23SharedExpertScoringFuncE1EEEvPKT_PKbPfiPiS9_iiiiii
	.globl	_ZN4vllm3moe17topkGatingSoftmaxIDF16_Li16ELi16ELi8ELi32ELb0ELi8ELNS0_23SharedExpertScoringFuncE1EEEvPKT_PKbPfiPiS9_iiiiii
	.p2align	8
	.type	_ZN4vllm3moe17topkGatingSoftmaxIDF16_Li16ELi16ELi8ELi32ELb0ELi8ELNS0_23SharedExpertScoringFuncE1EEEvPKT_PKbPfiPiS9_iiiiii,@function
_ZN4vllm3moe17topkGatingSoftmaxIDF16_Li16ELi16ELi8ELi32ELb0ELi8ELNS0_23SharedExpertScoringFuncE1EEEvPKT_PKbPfiPiS9_iiiiii: ; @_ZN4vllm3moe17topkGatingSoftmaxIDF16_Li16ELi16ELi8ELi32ELb0ELi8ELNS0_23SharedExpertScoringFuncE1EEEvPKT_PKbPfiPiS9_iiiiii
; %bb.0:
	s_load_dword s52, s[4:5], 0x18
	v_bfe_u32 v1, v0, 10, 10
	s_lshl_b32 s53, s6, 9
	v_lshlrev_b32_e32 v28, 6, v1
	v_and_b32_e32 v29, 0x3ff, v0
	v_add3_u32 v22, v28, v29, s53
	s_waitcnt lgkmcnt(0)
	v_cmp_gt_i32_e32 vcc, s52, v22
	s_and_saveexec_b64 s[0:1], vcc
	s_cbranch_execz .LBB155_19
; %bb.1:
	s_load_dwordx4 s[0:3], s[4:5], 0x0
	s_load_dwordx2 s[44:45], s[4:5], 0x10
	s_waitcnt lgkmcnt(0)
	s_cmp_eq_u64 s[2:3], 0
	s_cbranch_scc1 .LBB155_3
; %bb.2:
	v_ashrrev_i32_e32 v1, 31, v22
	v_mov_b32_e32 v2, s3
	v_add_co_u32_e32 v0, vcc, s2, v22
	v_addc_co_u32_e32 v1, vcc, v2, v1, vcc
	global_load_ubyte v0, v[0:1], off
	s_waitcnt vmcnt(0)
	v_and_b32_e32 v0, 1, v0
	v_cmp_eq_u32_e32 vcc, 1, v0
	s_xor_b64 s[2:3], vcc, -1
	s_orn2_b64 s[48:49], s[2:3], exec
	s_branch .LBB155_4
.LBB155_3:
	s_mov_b64 s[48:49], -1
.LBB155_4:
	s_load_dwordx2 s[30:31], s[4:5], 0x40
	s_load_dwordx4 s[36:39], s[4:5], 0x30
	v_mov_b32_e32 v2, s1
	v_mov_b32_e32 v3, s45
	s_mov_b32 s50, 0x3fb8aa3b
	s_waitcnt lgkmcnt(0)
	v_mul_lo_u32 v0, v22, s31
	v_ashrrev_i32_e32 v1, 31, v0
	v_lshlrev_b64 v[0:1], 1, v[0:1]
	v_add_co_u32_e32 v0, vcc, s0, v0
	v_addc_co_u32_e32 v1, vcc, v2, v1, vcc
	global_load_dwordx4 v[4:7], v[0:1], off
	global_load_dwordx4 v[8:11], v[0:1], off offset:32
	v_mul_lo_u32 v16, v22, s39
	global_load_dwordx4 v[12:15], v[0:1], off offset:16
	v_add_u32_e32 v0, s36, v16
	v_ashrrev_i32_e32 v1, 31, v0
	v_lshlrev_b64 v[0:1], 2, v[0:1]
	v_add_co_u32_e32 v2, vcc, s44, v0
	v_addc_co_u32_e32 v3, vcc, v3, v1, vcc
	s_mov_b32 s2, 0x32a5705f
	s_mov_b32 s33, 0xc2ce8ed0
	;; [unrolled: 1-line block ×3, first 2 shown]
	v_mov_b32_e32 v26, 0x7f800000
	s_cmp_gt_i32 s36, 0
	s_cselect_b64 s[46:47], -1, 0
	s_cmp_lt_i32 s36, 1
	s_waitcnt vmcnt(2)
	v_cvt_f32_f16_e32 v0, v4
	s_waitcnt vmcnt(1)
	v_cvt_f32_f16_e64 v1, -v8
	v_cvt_f32_f16_sdwa v17, -v8 dst_sel:DWORD dst_unused:UNUSED_PAD src0_sel:WORD_1
	v_cvt_f32_f16_e64 v18, -v9
	v_cvt_f32_f16_sdwa v19, -v9 dst_sel:DWORD dst_unused:UNUSED_PAD src0_sel:WORD_1
	v_mul_f32_e32 v20, 0x3fb8aa3b, v1
	v_mul_f32_e32 v21, 0x3fb8aa3b, v17
	v_fma_mix_f32 v25, -v8, s50, -v20 op_sel_hi:[1,0,0]
	v_rndne_f32_e32 v27, v20
	v_mul_f32_e32 v23, 0x3fb8aa3b, v18
	v_fma_mix_f32 v30, -v8, s50, -v21 op_sel:[1,0,0] op_sel_hi:[1,0,0]
	v_rndne_f32_e32 v31, v21
	v_fma_mix_f32 v25, -v8, s2, v25 op_sel_hi:[1,0,0]
	v_sub_f32_e32 v20, v20, v27
	v_mul_f32_e32 v24, 0x3fb8aa3b, v19
	v_fma_mix_f32 v32, -v9, s50, -v23 op_sel_hi:[1,0,0]
	v_rndne_f32_e32 v33, v23
	v_fma_mix_f32 v8, -v8, s2, v30 op_sel:[1,0,0] op_sel_hi:[1,0,0]
	v_sub_f32_e32 v21, v21, v31
	v_add_f32_e32 v20, v20, v25
	v_fma_mix_f32 v34, -v9, s50, -v24 op_sel:[1,0,0] op_sel_hi:[1,0,0]
	v_rndne_f32_e32 v35, v24
	v_cvt_i32_f32_e32 v27, v27
	v_cvt_i32_f32_e32 v30, v31
	v_fma_mix_f32 v31, -v9, s2, v32 op_sel_hi:[1,0,0]
	v_sub_f32_e32 v23, v23, v33
	v_add_f32_e32 v8, v21, v8
	v_exp_f32_e32 v20, v20
	v_fma_mix_f32 v9, -v9, s2, v34 op_sel:[1,0,0] op_sel_hi:[1,0,0]
	v_sub_f32_e32 v24, v24, v35
	v_add_f32_e32 v21, v23, v31
	v_exp_f32_e32 v8, v8
	v_cvt_i32_f32_e32 v32, v33
	v_add_f32_e32 v9, v24, v9
	v_exp_f32_e32 v21, v21
	v_cvt_i32_f32_e32 v33, v35
	v_exp_f32_e32 v9, v9
	v_ldexp_f32 v20, v20, v27
	v_cmp_ngt_f32_e32 vcc, s33, v1
	v_ldexp_f32 v8, v8, v30
	v_cndmask_b32_e32 v20, 0, v20, vcc
	v_cmp_ngt_f32_e32 vcc, s33, v17
	v_ldexp_f32 v21, v21, v32
	v_cndmask_b32_e32 v23, 0, v8, vcc
	;; [unrolled: 3-line block ×3, first 2 shown]
	v_cmp_ngt_f32_e32 vcc, s33, v19
	v_cndmask_b32_e32 v24, 0, v9, vcc
	v_cmp_nlt_f32_e32 vcc, s51, v1
	v_cndmask_b32_e32 v8, v26, v20, vcc
	v_cmp_nlt_f32_e32 vcc, s51, v17
	;; [unrolled: 2-line block ×4, first 2 shown]
	v_pk_add_f32 v[8:9], v[8:9], 1.0 op_sel_hi:[1,0]
	v_cndmask_b32_e32 v19, v26, v24, vcc
	v_div_scale_f32 v1, s[0:1], v9, v9, 1.0
	v_pk_add_f32 v[20:21], v[18:19], 1.0 op_sel_hi:[1,0]
	v_div_scale_f32 v18, s[0:1], v8, v8, 1.0
	v_rcp_f32_e32 v19, v1
	v_div_scale_f32 v23, s[0:1], v21, v21, 1.0
	v_rcp_f32_e32 v24, v18
	v_rcp_f32_e32 v25, v23
	v_fma_f32 v30, -v1, v19, 1.0
	v_div_scale_f32 v17, vcc, 1.0, v9, 1.0
	v_fma_f32 v31, -v18, v24, 1.0
	v_fmac_f32_e32 v19, v30, v19
	v_div_scale_f32 v27, s[0:1], 1.0, v8, 1.0
	v_fma_f32 v32, -v23, v25, 1.0
	v_fmac_f32_e32 v24, v31, v24
	v_mul_f32_e32 v30, v17, v19
	v_fmac_f32_e32 v25, v32, v25
	v_mul_f32_e32 v31, v27, v24
	v_fma_f32 v32, -v1, v30, v17
	v_fma_f32 v33, -v18, v31, v27
	v_fmac_f32_e32 v30, v32, v19
	v_fmac_f32_e32 v31, v33, v24
	v_fma_f32 v1, -v1, v30, v17
	v_fma_f32 v17, -v18, v31, v27
	v_div_fmas_f32 v1, v1, v19, v30
	s_mov_b64 vcc, s[0:1]
	v_div_fixup_f32 v19, v1, v9, 1.0
	v_div_fmas_f32 v1, v17, v24, v31
	v_div_fixup_f32 v18, v1, v8, 1.0
	v_div_scale_f32 v1, vcc, 1.0, v21, 1.0
	v_mul_f32_e32 v8, v1, v25
	v_fma_f32 v9, -v23, v8, v1
	v_fmac_f32_e32 v8, v9, v25
	v_div_scale_f32 v9, s[0:1], v20, v20, 1.0
	v_rcp_f32_e32 v17, v9
	v_fma_f32 v1, -v23, v8, v1
	v_div_fmas_f32 v1, v1, v25, v8
	v_div_fixup_f32 v21, v1, v21, 1.0
	v_fma_f32 v1, -v9, v17, 1.0
	v_fmac_f32_e32 v17, v1, v17
	v_div_scale_f32 v1, vcc, 1.0, v20, 1.0
	v_mul_f32_e32 v8, v1, v17
	v_fma_f32 v23, -v9, v8, v1
	v_cvt_f32_f16_e64 v24, -v10
	v_fmac_f32_e32 v8, v23, v17
	v_fma_f32 v1, -v9, v8, v1
	v_cvt_f32_f16_sdwa v9, -v10 dst_sel:DWORD dst_unused:UNUSED_PAD src0_sel:WORD_1
	v_mul_f32_e32 v23, 0x3fb8aa3b, v24
	v_fma_mix_f32 v25, -v10, s50, -v23 op_sel_hi:[1,0,0]
	v_rndne_f32_e32 v27, v23
	v_div_fmas_f32 v1, v1, v17, v8
	v_mul_f32_e32 v8, 0x3fb8aa3b, v9
	v_fma_mix_f32 v25, -v10, s2, v25 op_sel_hi:[1,0,0]
	v_sub_f32_e32 v23, v23, v27
	v_fma_mix_f32 v17, -v10, s50, -v8 op_sel:[1,0,0] op_sel_hi:[1,0,0]
	v_add_f32_e32 v23, v23, v25
	v_fma_mix_f32 v10, -v10, s2, v17 op_sel:[1,0,0] op_sel_hi:[1,0,0]
	v_rndne_f32_e32 v17, v8
	v_exp_f32_e32 v23, v23
	v_cvt_i32_f32_e32 v25, v27
	v_sub_f32_e32 v8, v8, v17
	v_add_f32_e32 v8, v8, v10
	v_exp_f32_e32 v10, v8
	v_cvt_i32_f32_e32 v17, v17
	v_div_fixup_f32 v20, v1, v20, 1.0
	v_ldexp_f32 v1, v23, v25
	v_cmp_ngt_f32_e32 vcc, s33, v24
	v_cndmask_b32_e32 v1, 0, v1, vcc
	v_cmp_nlt_f32_e32 vcc, s51, v24
	v_cndmask_b32_e32 v8, v26, v1, vcc
	v_ldexp_f32 v1, v10, v17
	v_cmp_ngt_f32_e32 vcc, s33, v9
	v_cndmask_b32_e32 v1, 0, v1, vcc
	v_cmp_nlt_f32_e32 vcc, s51, v9
	v_cndmask_b32_e32 v9, v26, v1, vcc
	v_pk_add_f32 v[8:9], v[8:9], 1.0 op_sel_hi:[1,0]
	v_div_scale_f32 v10, s[0:1], v9, v9, 1.0
	v_rcp_f32_e32 v17, v10
	global_store_dwordx4 v[2:3], v[18:21], off
	v_cvt_f32_f16_sdwa v1, v4 dst_sel:DWORD dst_unused:UNUSED_PAD src0_sel:WORD_1
	v_cvt_f32_f16_e64 v18, -v11
	v_fma_f32 v19, -v10, v17, 1.0
	v_fmac_f32_e32 v17, v19, v17
	v_cvt_f32_f16_sdwa v19, -v11 dst_sel:DWORD dst_unused:UNUSED_PAD src0_sel:WORD_1
	v_mul_f32_e32 v20, 0x3fb8aa3b, v18
	v_fma_mix_f32 v21, -v11, s50, -v20 op_sel_hi:[1,0,0]
	v_fma_mix_f32 v21, -v11, s2, v21 op_sel_hi:[1,0,0]
	v_mul_f32_e32 v23, 0x3fb8aa3b, v19
	v_fma_mix_f32 v24, -v11, s50, -v23 op_sel:[1,0,0] op_sel_hi:[1,0,0]
	v_fma_mix_f32 v11, -v11, s2, v24 op_sel:[1,0,0] op_sel_hi:[1,0,0]
	v_div_scale_f32 v24, vcc, 1.0, v9, 1.0
	v_mul_f32_e32 v25, v24, v17
	v_fma_f32 v27, -v10, v25, v24
	v_fmac_f32_e32 v25, v27, v17
	v_fma_f32 v10, -v10, v25, v24
	v_div_fmas_f32 v10, v10, v17, v25
	v_rndne_f32_e32 v25, v20
	v_sub_f32_e32 v20, v20, v25
	v_add_f32_e32 v20, v20, v21
	v_exp_f32_e32 v20, v20
	v_cvt_i32_f32_e32 v21, v25
	v_div_scale_f32 v27, s[0:1], v8, v8, 1.0
	v_rcp_f32_e32 v30, v27
	v_ldexp_f32 v20, v20, v21
	v_rndne_f32_e32 v21, v23
	v_sub_f32_e32 v23, v23, v21
	v_add_f32_e32 v11, v23, v11
	v_exp_f32_e32 v11, v11
	v_cvt_i32_f32_e32 v21, v21
	v_cmp_ngt_f32_e64 s[0:1], s33, v18
	v_div_fixup_f32 v9, v10, v9, 1.0
	v_cndmask_b32_e64 v10, 0, v20, s[0:1]
	v_cmp_nlt_f32_e64 s[0:1], s51, v18
	v_cndmask_b32_e64 v10, v26, v10, s[0:1]
	v_ldexp_f32 v11, v11, v21
	v_cmp_ngt_f32_e64 s[0:1], s33, v19
	v_cndmask_b32_e64 v11, 0, v11, s[0:1]
	v_cmp_nlt_f32_e64 s[0:1], s51, v19
	v_fma_f32 v17, -v27, v30, 1.0
	v_cndmask_b32_e64 v11, v26, v11, s[0:1]
	v_fmac_f32_e32 v30, v17, v30
	v_div_scale_f32 v17, vcc, 1.0, v8, 1.0
	v_pk_add_f32 v[10:11], v[10:11], 1.0 op_sel_hi:[1,0]
	v_mul_f32_e32 v24, v17, v30
	v_div_scale_f32 v18, s[0:1], v11, v11, 1.0
	v_fma_f32 v25, -v27, v24, v17
	v_rcp_f32_e32 v19, v18
	v_fmac_f32_e32 v24, v25, v30
	v_fma_f32 v17, -v27, v24, v17
	v_div_fmas_f32 v17, v17, v30, v24
	v_div_fixup_f32 v8, v17, v8, 1.0
	v_fma_f32 v17, -v18, v19, 1.0
	v_fmac_f32_e32 v19, v17, v19
	v_div_scale_f32 v17, vcc, 1.0, v11, 1.0
	v_mul_f32_e32 v20, v17, v19
	v_fma_f32 v21, -v18, v20, v17
	v_fmac_f32_e32 v20, v21, v19
	v_fma_f32 v17, -v18, v20, v17
	v_div_scale_f32 v18, s[0:1], v10, v10, 1.0
	v_rcp_f32_e32 v21, v18
	v_div_fmas_f32 v17, v17, v19, v20
	v_div_fixup_f32 v11, v17, v11, 1.0
	v_fma_f32 v17, -v18, v21, 1.0
	v_fmac_f32_e32 v21, v17, v21
	v_div_scale_f32 v17, vcc, 1.0, v10, 1.0
	v_mul_f32_e32 v19, v17, v21
	v_fma_f32 v20, -v18, v19, v17
	v_fmac_f32_e32 v19, v20, v21
	v_fma_f32 v17, -v18, v19, v17
	v_div_fmas_f32 v17, v17, v21, v19
	v_div_fixup_f32 v10, v17, v10, 1.0
	global_store_dwordx4 v[2:3], v[8:11], off offset:16
	v_cvt_f32_f16_e32 v2, v5
	v_cmp_lt_f16_sdwa vcc, v4, v4 src0_sel:DWORD src1_sel:WORD_1
	v_cndmask_b32_e32 v3, v0, v1, vcc
	v_cmp_lt_f32_e64 s[0:1], v3, v2
	v_cndmask_b32_e64 v4, v3, v2, s[0:1]
	v_cvt_f32_f16_sdwa v3, v5 dst_sel:DWORD dst_unused:UNUSED_PAD src0_sel:WORD_1
	v_cmp_lt_f32_e64 s[2:3], v4, v3
	v_cndmask_b32_e64 v5, v4, v3, s[2:3]
	v_cvt_f32_f16_e32 v4, v6
	v_cmp_lt_f32_e64 s[6:7], v5, v4
	v_cndmask_b32_e64 v8, v5, v4, s[6:7]
	v_cvt_f32_f16_sdwa v5, v6 dst_sel:DWORD dst_unused:UNUSED_PAD src0_sel:WORD_1
	v_cvt_f32_f16_e32 v6, v7
	v_cvt_f32_f16_sdwa v7, v7 dst_sel:DWORD dst_unused:UNUSED_PAD src0_sel:WORD_1
	v_cmp_lt_f32_e64 s[8:9], v8, v5
	v_cndmask_b32_e64 v8, v8, v5, s[8:9]
	v_cmp_lt_f32_e64 s[10:11], v8, v6
	v_cndmask_b32_e64 v8, v8, v6, s[10:11]
	;; [unrolled: 2-line block ×3, first 2 shown]
	s_waitcnt vmcnt(2)
	v_cvt_f32_f16_e32 v8, v12
	v_cmp_lt_f32_e64 s[14:15], v9, v8
	v_cndmask_b32_e64 v10, v9, v8, s[14:15]
	v_cvt_f32_f16_sdwa v9, v12 dst_sel:DWORD dst_unused:UNUSED_PAD src0_sel:WORD_1
	v_cmp_lt_f32_e64 s[16:17], v10, v9
	v_cndmask_b32_e64 v11, v10, v9, s[16:17]
	v_cvt_f32_f16_e32 v10, v13
	v_cmp_lt_f32_e64 s[18:19], v11, v10
	v_cndmask_b32_e64 v12, v11, v10, s[18:19]
	v_cvt_f32_f16_sdwa v11, v13 dst_sel:DWORD dst_unused:UNUSED_PAD src0_sel:WORD_1
	v_cmp_lt_f32_e64 s[20:21], v12, v11
	v_cndmask_b32_e64 v13, v12, v11, s[20:21]
	v_cvt_f32_f16_e32 v12, v14
	v_cmp_lt_f32_e64 s[22:23], v13, v12
	v_cndmask_b32_e64 v17, v13, v12, s[22:23]
	v_cvt_f32_f16_sdwa v13, v14 dst_sel:DWORD dst_unused:UNUSED_PAD src0_sel:WORD_1
	v_cvt_f32_f16_e32 v14, v15
	v_cvt_f32_f16_sdwa v15, v15 dst_sel:DWORD dst_unused:UNUSED_PAD src0_sel:WORD_1
	v_cmp_lt_f32_e64 s[24:25], v17, v13
	v_cndmask_b32_e64 v17, v17, v13, s[24:25]
	v_cmp_lt_f32_e64 s[26:27], v17, v14
	v_cndmask_b32_e64 v17, v17, v14, s[26:27]
	;; [unrolled: 2-line block ×3, first 2 shown]
	v_mov_b32_e32 v17, 0
	s_cbranch_scc1 .LBB155_8
; %bb.5:
	s_load_dwordx4 s[40:43], s[4:5], 0x20
	v_mul_lo_u32 v18, v22, s30
	v_ashrrev_i32_e32 v19, 31, v18
	v_lshlrev_b64 v[20:21], 2, v[18:19]
	v_sub_f32_e32 v32, v27, v27
	s_waitcnt lgkmcnt(0)
	v_mov_b32_e32 v17, s41
	v_add_co_u32_e64 v18, s[4:5], s40, v20
	v_addc_co_u32_e64 v19, s[4:5], v17, v21, s[4:5]
	v_cndmask_b32_e64 v17, 0, 1, vcc
	v_cndmask_b32_e64 v17, v17, 2, s[0:1]
	v_cndmask_b32_e64 v17, v17, 3, s[2:3]
	;; [unrolled: 1-line block ×14, first 2 shown]
	v_cmp_le_i32_e32 vcc, s37, v31
	v_cmp_gt_i32_e64 s[0:1], s38, v31
	s_and_b64 s[0:1], vcc, s[0:1]
	v_subrev_u32_e32 v17, s37, v31
	s_and_b64 vcc, s[48:49], s[0:1]
	v_cndmask_b32_e32 v17, 16, v17, vcc
	global_store_dword v[18:19], v17, off
	v_mul_lo_u32 v18, v22, s36
	v_ashrrev_i32_e32 v19, 31, v18
	v_lshlrev_b64 v[18:19], 2, v[18:19]
	v_mov_b32_e32 v17, s43
	v_add_co_u32_e32 v24, vcc, s42, v18
	v_addc_co_u32_e32 v25, vcc, v17, v19, vcc
	v_mul_f32_e32 v17, 0x3fb8aa3b, v32
	global_store_dword v[24:25], v22, off
	v_rndne_f32_e32 v22, v17
	v_sub_f32_e32 v23, v17, v22
	v_fma_f32 v17, v32, s50, -v17
	v_fmac_f32_e32 v17, 0x32a5705f, v32
	v_add_f32_e32 v17, v23, v17
	v_exp_f32_e32 v17, v17
	v_cvt_i32_f32_e32 v22, v22
	v_mov_b32_e32 v25, s45
	v_cmp_ngt_f32_e64 s[34:35], s33, v32
	v_mov_b32_e32 v30, 0xff800000
	v_ldexp_f32 v33, v17, v22
	v_ashrrev_i32_e32 v17, 31, v16
	v_lshlrev_b64 v[22:23], 2, v[16:17]
	v_add_co_u32_e32 v24, vcc, s44, v22
	v_addc_co_u32_e64 v25, s[0:1], v25, v23, vcc
	v_cmp_ne_u32_e64 s[0:1], 15, v31
	v_cmp_ne_u32_e64 s[2:3], 14, v31
	;; [unrolled: 1-line block ×16, first 2 shown]
	v_cndmask_b32_e64 v17, 0, v33, s[34:35]
	v_cmp_nlt_f32_e64 s[34:35], s51, v32
	v_cndmask_b32_e64 v17, v26, v17, s[34:35]
	v_cndmask_b32_e64 v15, v30, v15, s[0:1]
	;; [unrolled: 1-line block ×16, first 2 shown]
	s_cmp_eq_u32 s36, 1
	v_cndmask_b32_e64 v0, v30, v0, s[30:31]
	global_store_dword v[24:25], v17, off
	s_cbranch_scc1 .LBB155_8
; %bb.6:
	v_mov_b32_e32 v22, s43
	v_add_co_u32_e64 v18, s[0:1], s42, v18
	v_addc_co_u32_e64 v19, s[0:1], v19, v22, s[0:1]
	v_add_co_u32_e64 v18, s[0:1], 4, v18
	v_addc_co_u32_e64 v19, s[0:1], 0, v19, s[0:1]
	v_mov_b32_e32 v22, s41
	v_add_co_u32_e64 v20, s[0:1], s40, v20
	v_addc_co_u32_e64 v21, s[0:1], v21, v22, s[0:1]
	v_mov_b32_e32 v22, s45
	v_addc_co_u32_e32 v23, vcc, v23, v22, vcc
	v_add_co_u32_e64 v20, s[0:1], 4, v20
	v_add_co_u32_e32 v22, vcc, 4, v24
	s_add_i32 s53, s53, s52
	v_addc_co_u32_e64 v21, s[0:1], 0, v21, s[0:1]
	v_addc_co_u32_e32 v23, vcc, 0, v23, vcc
	s_add_i32 s39, s36, -1
	v_add3_u32 v24, s53, v29, v28
	s_mov_b32 s40, 0x3fb8aa3b
	s_mov_b32 s41, 0xc2ce8ed0
	;; [unrolled: 1-line block ×3, first 2 shown]
	v_mov_b32_e32 v25, 0x7f800000
.LBB155_7:                              ; =>This Inner Loop Header: Depth=1
	v_cmp_gt_f32_e32 vcc, v1, v0
	v_cndmask_b32_e32 v28, v0, v1, vcc
	v_cmp_gt_f32_e64 s[0:1], v2, v28
	v_cndmask_b32_e64 v28, v28, v2, s[0:1]
	v_cmp_gt_f32_e64 s[2:3], v3, v28
	v_cndmask_b32_e64 v28, v28, v3, s[2:3]
	;; [unrolled: 2-line block ×14, first 2 shown]
	v_sub_f32_e32 v28, v28, v27
	v_mul_f32_e32 v29, 0x3fb8aa3b, v28
	v_fma_f32 v31, v28, s40, -v29
	v_rndne_f32_e32 v32, v29
	v_fmac_f32_e32 v31, 0x32a5705f, v28
	v_sub_f32_e32 v29, v29, v32
	v_add_f32_e32 v29, v29, v31
	v_cndmask_b32_e64 v31, 0, 1, vcc
	v_cndmask_b32_e64 v31, v31, 2, s[0:1]
	v_cndmask_b32_e64 v31, v31, 3, s[2:3]
	;; [unrolled: 1-line block ×14, first 2 shown]
	v_cmp_le_i32_e32 vcc, s37, v31
	v_cmp_gt_i32_e64 s[0:1], s38, v31
	s_and_b64 s[0:1], vcc, s[0:1]
	v_cmp_ne_u32_e64 s[2:3], 15, v31
	v_cmp_ne_u32_e64 s[4:5], 14, v31
	v_cmp_ne_u32_e64 s[6:7], 13, v31
	v_cmp_ne_u32_e64 s[8:9], 12, v31
	v_cmp_ne_u32_e64 s[10:11], 11, v31
	v_cmp_ne_u32_e64 s[12:13], 10, v31
	v_cmp_ne_u32_e64 s[14:15], 9, v31
	v_cmp_ne_u32_e64 s[16:17], 8, v31
	v_cmp_ne_u32_e64 s[18:19], 7, v31
	v_cmp_ne_u32_e64 s[20:21], 6, v31
	v_cmp_ne_u32_e64 s[22:23], 5, v31
	v_cmp_ne_u32_e64 s[24:25], 4, v31
	v_cmp_ne_u32_e64 s[26:27], 3, v31
	v_cmp_ne_u32_e64 s[28:29], 2, v31
	v_cmp_ne_u32_e64 s[30:31], 1, v31
	v_cmp_ne_u32_e64 s[34:35], 0, v31
	v_subrev_u32_e32 v31, s37, v31
	s_and_b64 vcc, s[48:49], s[0:1]
	v_cndmask_b32_e32 v31, 16, v31, vcc
	global_store_dword v[20:21], v31, off
	v_cvt_i32_f32_e32 v31, v32
	v_exp_f32_e32 v29, v29
	v_cmp_ngt_f32_e32 vcc, s41, v28
	global_store_dword v[18:19], v24, off
	s_add_i32 s39, s39, -1
	v_ldexp_f32 v29, v29, v31
	v_cndmask_b32_e32 v29, 0, v29, vcc
	v_cmp_nlt_f32_e32 vcc, s42, v28
	v_cndmask_b32_e32 v28, v25, v29, vcc
	v_add_co_u32_e32 v18, vcc, 4, v18
	v_addc_co_u32_e32 v19, vcc, 0, v19, vcc
	v_add_co_u32_e32 v20, vcc, 4, v20
	v_addc_co_u32_e32 v21, vcc, 0, v21, vcc
	global_store_dword v[22:23], v28, off
	v_add_co_u32_e32 v22, vcc, 4, v22
	v_add_f32_e32 v17, v17, v28
	v_cndmask_b32_e64 v15, v30, v15, s[2:3]
	v_cndmask_b32_e64 v14, v30, v14, s[4:5]
	v_cndmask_b32_e64 v13, v30, v13, s[6:7]
	v_cndmask_b32_e64 v12, v30, v12, s[8:9]
	v_cndmask_b32_e64 v11, v30, v11, s[10:11]
	v_cndmask_b32_e64 v10, v30, v10, s[12:13]
	v_cndmask_b32_e64 v9, v30, v9, s[14:15]
	v_cndmask_b32_e64 v8, v30, v8, s[16:17]
	v_cndmask_b32_e64 v7, v30, v7, s[18:19]
	v_cndmask_b32_e64 v6, v30, v6, s[20:21]
	v_cndmask_b32_e64 v5, v30, v5, s[22:23]
	v_cndmask_b32_e64 v4, v30, v4, s[24:25]
	v_cndmask_b32_e64 v3, v30, v3, s[26:27]
	v_cndmask_b32_e64 v2, v30, v2, s[28:29]
	v_cndmask_b32_e64 v1, v30, v1, s[30:31]
	v_cndmask_b32_e64 v0, v30, v0, s[34:35]
	v_add_u32_e32 v24, s52, v24
	s_cmp_eq_u32 s39, 0
	v_addc_co_u32_e32 v23, vcc, 0, v23, vcc
	s_cbranch_scc0 .LBB155_7
.LBB155_8:
	v_sub_f32_e32 v0, v0, v27
	v_mul_f32_e32 v18, 0x3fb8aa3b, v0
	v_fma_f32 v19, v0, s50, -v18
	v_rndne_f32_e32 v20, v18
	v_fmac_f32_e32 v19, 0x32a5705f, v0
	v_sub_f32_e32 v18, v18, v20
	v_add_f32_e32 v18, v18, v19
	v_exp_f32_e32 v18, v18
	v_cvt_i32_f32_e32 v19, v20
	v_sub_f32_e32 v1, v1, v27
	v_cmp_ngt_f32_e32 vcc, s33, v1
	v_cmp_ngt_f32_e64 s[0:1], s33, v0
	v_ldexp_f32 v18, v18, v19
	v_mul_f32_e32 v19, 0x3fb8aa3b, v1
	v_fma_f32 v20, v1, s50, -v19
	v_rndne_f32_e32 v21, v19
	v_fmac_f32_e32 v20, 0x32a5705f, v1
	v_sub_f32_e32 v19, v19, v21
	v_add_f32_e32 v19, v19, v20
	v_exp_f32_e32 v19, v19
	v_cvt_i32_f32_e32 v20, v21
	v_sub_f32_e32 v2, v2, v27
	v_sub_f32_e32 v3, v3, v27
	;; [unrolled: 1-line block ×3, first 2 shown]
	v_ldexp_f32 v19, v19, v20
	v_cndmask_b32_e32 v19, 0, v19, vcc
	v_cmp_nlt_f32_e32 vcc, s51, v1
	v_cndmask_b32_e64 v1, 0, v18, s[0:1]
	v_cmp_nlt_f32_e64 s[0:1], s51, v0
	v_cndmask_b32_e64 v0, v26, v1, s[0:1]
	v_cndmask_b32_e32 v1, v26, v19, vcc
	v_add_f32_e32 v0, v0, v1
	v_mul_f32_e32 v1, 0x3fb8aa3b, v2
	v_fma_f32 v18, v2, s50, -v1
	v_rndne_f32_e32 v19, v1
	v_fmac_f32_e32 v18, 0x32a5705f, v2
	v_sub_f32_e32 v1, v1, v19
	v_add_f32_e32 v1, v1, v18
	v_exp_f32_e32 v1, v1
	v_cvt_i32_f32_e32 v18, v19
	v_cmp_ngt_f32_e32 vcc, s33, v2
	v_sub_f32_e32 v5, v5, v27
	v_sub_f32_e32 v6, v6, v27
	v_ldexp_f32 v1, v1, v18
	v_cndmask_b32_e32 v1, 0, v1, vcc
	v_cmp_nlt_f32_e32 vcc, s51, v2
	v_cndmask_b32_e32 v1, v26, v1, vcc
	v_add_f32_e32 v0, v0, v1
	v_mul_f32_e32 v1, 0x3fb8aa3b, v3
	v_fma_f32 v2, v3, s50, -v1
	v_rndne_f32_e32 v18, v1
	v_fmac_f32_e32 v2, 0x32a5705f, v3
	v_sub_f32_e32 v1, v1, v18
	v_add_f32_e32 v1, v1, v2
	v_exp_f32_e32 v1, v1
	v_cvt_i32_f32_e32 v2, v18
	v_cmp_ngt_f32_e32 vcc, s33, v3
	v_sub_f32_e32 v7, v7, v27
	v_sub_f32_e32 v8, v8, v27
	v_ldexp_f32 v1, v1, v2
	v_cndmask_b32_e32 v1, 0, v1, vcc
	v_cmp_nlt_f32_e32 vcc, s51, v3
	;; [unrolled: 16-line block ×4, first 2 shown]
	v_cndmask_b32_e32 v1, v26, v1, vcc
	v_add_f32_e32 v0, v0, v1
	v_mul_f32_e32 v1, 0x3fb8aa3b, v6
	v_fma_f32 v2, v6, s50, -v1
	v_rndne_f32_e32 v3, v1
	v_fmac_f32_e32 v2, 0x32a5705f, v6
	v_sub_f32_e32 v1, v1, v3
	v_add_f32_e32 v1, v1, v2
	v_exp_f32_e32 v1, v1
	v_cvt_i32_f32_e32 v2, v3
	v_cmp_ngt_f32_e32 vcc, s33, v6
	v_ldexp_f32 v1, v1, v2
	v_cndmask_b32_e32 v1, 0, v1, vcc
	v_cmp_nlt_f32_e32 vcc, s51, v6
	v_cndmask_b32_e32 v1, v26, v1, vcc
	v_add_f32_e32 v0, v0, v1
	v_mul_f32_e32 v1, 0x3fb8aa3b, v7
	v_fma_f32 v2, v7, s50, -v1
	v_rndne_f32_e32 v3, v1
	v_fmac_f32_e32 v2, 0x32a5705f, v7
	v_sub_f32_e32 v1, v1, v3
	v_add_f32_e32 v1, v1, v2
	v_exp_f32_e32 v1, v1
	v_cvt_i32_f32_e32 v2, v3
	v_cmp_ngt_f32_e32 vcc, s33, v7
	v_ldexp_f32 v1, v1, v2
	v_mul_f32_e32 v2, 0x3fb8aa3b, v8
	v_fma_f32 v3, v8, s50, -v2
	v_rndne_f32_e32 v4, v2
	v_fmac_f32_e32 v3, 0x32a5705f, v8
	v_sub_f32_e32 v2, v2, v4
	v_add_f32_e32 v2, v2, v3
	v_exp_f32_e32 v2, v2
	v_cvt_i32_f32_e32 v3, v4
	v_cndmask_b32_e32 v1, 0, v1, vcc
	v_cmp_nlt_f32_e32 vcc, s51, v7
	v_cndmask_b32_e32 v1, v26, v1, vcc
	v_add_f32_e32 v0, v0, v1
	v_ldexp_f32 v1, v2, v3
	v_mul_f32_e32 v2, 0x3fb8aa3b, v9
	v_fma_f32 v3, v9, s50, -v2
	v_rndne_f32_e32 v4, v2
	v_fmac_f32_e32 v3, 0x32a5705f, v9
	v_sub_f32_e32 v2, v2, v4
	v_add_f32_e32 v2, v2, v3
	v_exp_f32_e32 v2, v2
	v_cvt_i32_f32_e32 v3, v4
	v_cmp_ngt_f32_e32 vcc, s33, v8
	v_cndmask_b32_e32 v1, 0, v1, vcc
	v_cmp_nlt_f32_e32 vcc, s51, v8
	v_cndmask_b32_e32 v1, v26, v1, vcc
	v_add_f32_e32 v0, v0, v1
	v_ldexp_f32 v1, v2, v3
	v_mul_f32_e32 v2, 0x3fb8aa3b, v10
	v_fma_f32 v3, v10, s50, -v2
	v_rndne_f32_e32 v4, v2
	v_fmac_f32_e32 v3, 0x32a5705f, v10
	v_sub_f32_e32 v2, v2, v4
	v_add_f32_e32 v2, v2, v3
	v_exp_f32_e32 v2, v2
	v_cvt_i32_f32_e32 v3, v4
	v_cmp_ngt_f32_e32 vcc, s33, v9
	;; [unrolled: 14-line block ×4, first 2 shown]
	v_cndmask_b32_e32 v1, 0, v1, vcc
	v_cmp_nlt_f32_e32 vcc, s51, v11
	v_cndmask_b32_e32 v1, v26, v1, vcc
	v_add_f32_e32 v0, v0, v1
	v_ldexp_f32 v1, v2, v3
	v_sub_f32_e32 v2, v13, v27
	v_mul_f32_e32 v3, 0x3fb8aa3b, v2
	v_fma_f32 v4, v2, s50, -v3
	v_rndne_f32_e32 v5, v3
	v_fmac_f32_e32 v4, 0x32a5705f, v2
	v_sub_f32_e32 v3, v3, v5
	v_add_f32_e32 v3, v3, v4
	v_exp_f32_e32 v3, v3
	v_cvt_i32_f32_e32 v4, v5
	v_cmp_ngt_f32_e32 vcc, s33, v12
	v_cndmask_b32_e32 v1, 0, v1, vcc
	v_cmp_nlt_f32_e32 vcc, s51, v12
	v_cndmask_b32_e32 v1, v26, v1, vcc
	v_add_f32_e32 v0, v0, v1
	v_ldexp_f32 v1, v3, v4
	v_sub_f32_e32 v3, v14, v27
	v_mul_f32_e32 v4, 0x3fb8aa3b, v3
	v_fma_f32 v5, v3, s50, -v4
	v_rndne_f32_e32 v6, v4
	v_fmac_f32_e32 v5, 0x32a5705f, v3
	v_sub_f32_e32 v4, v4, v6
	v_add_f32_e32 v4, v4, v5
	v_exp_f32_e32 v4, v4
	v_cvt_i32_f32_e32 v5, v6
	v_cmp_ngt_f32_e32 vcc, s33, v2
	v_cndmask_b32_e32 v1, 0, v1, vcc
	v_cmp_nlt_f32_e32 vcc, s51, v2
	v_cndmask_b32_e32 v1, v26, v1, vcc
	v_sub_f32_e32 v2, v15, v27
	v_add_f32_e32 v0, v0, v1
	v_ldexp_f32 v1, v4, v5
	v_mul_f32_e32 v4, 0x3fb8aa3b, v2
	v_fma_f32 v5, v2, s50, -v4
	v_rndne_f32_e32 v6, v4
	v_fmac_f32_e32 v5, 0x32a5705f, v2
	v_sub_f32_e32 v4, v4, v6
	v_add_f32_e32 v4, v4, v5
	v_exp_f32_e32 v4, v4
	v_cvt_i32_f32_e32 v5, v6
	v_cmp_ngt_f32_e32 vcc, s33, v3
	v_cndmask_b32_e32 v1, 0, v1, vcc
	v_cmp_nlt_f32_e32 vcc, s51, v3
	v_cndmask_b32_e32 v1, v26, v1, vcc
	v_add_f32_e32 v0, v0, v1
	v_ldexp_f32 v1, v4, v5
	v_cmp_ngt_f32_e32 vcc, s33, v2
	v_cndmask_b32_e32 v1, 0, v1, vcc
	v_cmp_nlt_f32_e32 vcc, s51, v2
	v_cndmask_b32_e32 v1, v26, v1, vcc
	v_add_f32_e32 v0, v0, v1
	v_add_f32_e32 v0, v17, v0
	v_cmp_neq_f32_e32 vcc, 0, v0
	s_and_b64 exec, exec, vcc
	s_cbranch_execz .LBB155_19
; %bb.9:
	s_andn2_b64 vcc, exec, s[46:47]
	s_cbranch_vccnz .LBB155_19
; %bb.10:
	v_div_scale_f32 v1, s[0:1], v0, v0, 1.0
	v_rcp_f32_e32 v2, v1
	v_div_scale_f32 v3, vcc, 1.0, v0, 1.0
	s_cmp_gt_u32 s36, 3
	v_fma_f32 v4, -v1, v2, 1.0
	v_fmac_f32_e32 v2, v4, v2
	v_mul_f32_e32 v4, v3, v2
	v_fma_f32 v5, -v1, v4, v3
	v_fmac_f32_e32 v4, v5, v2
	v_fma_f32 v1, -v1, v4, v3
	v_div_fmas_f32 v1, v1, v2, v4
	v_div_fixup_f32 v0, v1, v0, 1.0
	v_ashrrev_i32_e32 v17, 31, v16
	s_cbranch_scc0 .LBB155_14
; %bb.11:
	v_lshlrev_b64 v[2:3], 2, v[16:17]
	v_mov_b32_e32 v4, s45
	v_add_co_u32_e32 v2, vcc, s44, v2
	v_addc_co_u32_e32 v3, vcc, v3, v4, vcc
	s_and_b32 s4, s36, 0x7ffffffc
	v_add_co_u32_e32 v2, vcc, 8, v2
	v_mov_b32_e32 v1, v0
	v_addc_co_u32_e32 v3, vcc, 0, v3, vcc
	s_mov_b32 s0, s4
.LBB155_12:                             ; =>This Inner Loop Header: Depth=1
	global_load_dwordx4 v[4:7], v[2:3], off offset:-8
	s_add_i32 s0, s0, -4
	s_cmp_lg_u32 s0, 0
	s_waitcnt vmcnt(0)
	v_pk_mul_f32 v[4:5], v[0:1], v[4:5]
	v_pk_mul_f32 v[6:7], v[0:1], v[6:7]
	global_store_dwordx4 v[2:3], v[4:7], off offset:-8
	v_add_co_u32_e32 v2, vcc, 16, v2
	v_addc_co_u32_e32 v3, vcc, 0, v3, vcc
	s_cbranch_scc1 .LBB155_12
; %bb.13:
	s_cmp_lg_u32 s4, s36
	s_cselect_b64 s[0:1], -1, 0
	s_branch .LBB155_16
.LBB155_14:
	s_mov_b64 s[0:1], 0
                                        ; implicit-def: $sgpr4
	s_cbranch_execz .LBB155_16
; %bb.15:
	s_mov_b64 s[0:1], -1
	s_mov_b32 s4, 0
.LBB155_16:
	s_andn2_b64 vcc, exec, s[0:1]
	s_cbranch_vccnz .LBB155_19
; %bb.17:
	v_add_co_u32_e32 v2, vcc, s4, v16
	v_addc_co_u32_e32 v3, vcc, 0, v17, vcc
	v_lshlrev_b64 v[2:3], 2, v[2:3]
	v_mov_b32_e32 v1, s45
	v_add_co_u32_e32 v2, vcc, s44, v2
	s_sub_i32 s0, s36, s4
	v_addc_co_u32_e32 v3, vcc, v1, v3, vcc
.LBB155_18:                             ; =>This Inner Loop Header: Depth=1
	global_load_dword v1, v[2:3], off
	s_add_i32 s0, s0, -1
	s_cmp_lg_u32 s0, 0
	s_waitcnt vmcnt(0)
	v_mul_f32_e32 v1, v0, v1
	global_store_dword v[2:3], v1, off
	v_add_co_u32_e32 v2, vcc, 4, v2
	v_addc_co_u32_e32 v3, vcc, 0, v3, vcc
	s_cbranch_scc1 .LBB155_18
.LBB155_19:
	s_endpgm
	.section	.rodata,"a",@progbits
	.p2align	6, 0x0
	.amdhsa_kernel _ZN4vllm3moe17topkGatingSoftmaxIDF16_Li16ELi16ELi8ELi32ELb0ELi8ELNS0_23SharedExpertScoringFuncE1EEEvPKT_PKbPfiPiS9_iiiiii
		.amdhsa_group_segment_fixed_size 0
		.amdhsa_private_segment_fixed_size 0
		.amdhsa_kernarg_size 72
		.amdhsa_user_sgpr_count 6
		.amdhsa_user_sgpr_private_segment_buffer 1
		.amdhsa_user_sgpr_dispatch_ptr 0
		.amdhsa_user_sgpr_queue_ptr 0
		.amdhsa_user_sgpr_kernarg_segment_ptr 1
		.amdhsa_user_sgpr_dispatch_id 0
		.amdhsa_user_sgpr_flat_scratch_init 0
		.amdhsa_user_sgpr_kernarg_preload_length 0
		.amdhsa_user_sgpr_kernarg_preload_offset 0
		.amdhsa_user_sgpr_private_segment_size 0
		.amdhsa_uses_dynamic_stack 0
		.amdhsa_system_sgpr_private_segment_wavefront_offset 0
		.amdhsa_system_sgpr_workgroup_id_x 1
		.amdhsa_system_sgpr_workgroup_id_y 0
		.amdhsa_system_sgpr_workgroup_id_z 0
		.amdhsa_system_sgpr_workgroup_info 0
		.amdhsa_system_vgpr_workitem_id 1
		.amdhsa_next_free_vgpr 36
		.amdhsa_next_free_sgpr 54
		.amdhsa_accum_offset 36
		.amdhsa_reserve_vcc 1
		.amdhsa_reserve_flat_scratch 0
		.amdhsa_float_round_mode_32 0
		.amdhsa_float_round_mode_16_64 0
		.amdhsa_float_denorm_mode_32 3
		.amdhsa_float_denorm_mode_16_64 3
		.amdhsa_dx10_clamp 1
		.amdhsa_ieee_mode 1
		.amdhsa_fp16_overflow 0
		.amdhsa_tg_split 0
		.amdhsa_exception_fp_ieee_invalid_op 0
		.amdhsa_exception_fp_denorm_src 0
		.amdhsa_exception_fp_ieee_div_zero 0
		.amdhsa_exception_fp_ieee_overflow 0
		.amdhsa_exception_fp_ieee_underflow 0
		.amdhsa_exception_fp_ieee_inexact 0
		.amdhsa_exception_int_div_zero 0
	.end_amdhsa_kernel
	.section	.text._ZN4vllm3moe17topkGatingSoftmaxIDF16_Li16ELi16ELi8ELi32ELb0ELi8ELNS0_23SharedExpertScoringFuncE1EEEvPKT_PKbPfiPiS9_iiiiii,"axG",@progbits,_ZN4vllm3moe17topkGatingSoftmaxIDF16_Li16ELi16ELi8ELi32ELb0ELi8ELNS0_23SharedExpertScoringFuncE1EEEvPKT_PKbPfiPiS9_iiiiii,comdat
.Lfunc_end155:
	.size	_ZN4vllm3moe17topkGatingSoftmaxIDF16_Li16ELi16ELi8ELi32ELb0ELi8ELNS0_23SharedExpertScoringFuncE1EEEvPKT_PKbPfiPiS9_iiiiii, .Lfunc_end155-_ZN4vllm3moe17topkGatingSoftmaxIDF16_Li16ELi16ELi8ELi32ELb0ELi8ELNS0_23SharedExpertScoringFuncE1EEEvPKT_PKbPfiPiS9_iiiiii
                                        ; -- End function
	.section	.AMDGPU.csdata,"",@progbits
; Kernel info:
; codeLenInByte = 5028
; NumSgprs: 58
; NumVgprs: 36
; NumAgprs: 0
; TotalNumVgprs: 36
; ScratchSize: 0
; MemoryBound: 0
; FloatMode: 240
; IeeeMode: 1
; LDSByteSize: 0 bytes/workgroup (compile time only)
; SGPRBlocks: 7
; VGPRBlocks: 4
; NumSGPRsForWavesPerEU: 58
; NumVGPRsForWavesPerEU: 36
; AccumOffset: 36
; Occupancy: 8
; WaveLimiterHint : 0
; COMPUTE_PGM_RSRC2:SCRATCH_EN: 0
; COMPUTE_PGM_RSRC2:USER_SGPR: 6
; COMPUTE_PGM_RSRC2:TRAP_HANDLER: 0
; COMPUTE_PGM_RSRC2:TGID_X_EN: 1
; COMPUTE_PGM_RSRC2:TGID_Y_EN: 0
; COMPUTE_PGM_RSRC2:TGID_Z_EN: 0
; COMPUTE_PGM_RSRC2:TIDIG_COMP_CNT: 1
; COMPUTE_PGM_RSRC3_GFX90A:ACCUM_OFFSET: 8
; COMPUTE_PGM_RSRC3_GFX90A:TG_SPLIT: 0
	.section	.text._ZN4vllm3moe17topkGatingSoftmaxIDF16_Li16ELi32ELi8ELi32ELb1ELi0ELNS0_23SharedExpertScoringFuncE0EEEvPKT_PKbPfiPiS9_iiiiii,"axG",@progbits,_ZN4vllm3moe17topkGatingSoftmaxIDF16_Li16ELi32ELi8ELi32ELb1ELi0ELNS0_23SharedExpertScoringFuncE0EEEvPKT_PKbPfiPiS9_iiiiii,comdat
	.protected	_ZN4vllm3moe17topkGatingSoftmaxIDF16_Li16ELi32ELi8ELi32ELb1ELi0ELNS0_23SharedExpertScoringFuncE0EEEvPKT_PKbPfiPiS9_iiiiii ; -- Begin function _ZN4vllm3moe17topkGatingSoftmaxIDF16_Li16ELi32ELi8ELi32ELb1ELi0ELNS0_23SharedExpertScoringFuncE0EEEvPKT_PKbPfiPiS9_iiiiii
	.globl	_ZN4vllm3moe17topkGatingSoftmaxIDF16_Li16ELi32ELi8ELi32ELb1ELi0ELNS0_23SharedExpertScoringFuncE0EEEvPKT_PKbPfiPiS9_iiiiii
	.p2align	8
	.type	_ZN4vllm3moe17topkGatingSoftmaxIDF16_Li16ELi32ELi8ELi32ELb1ELi0ELNS0_23SharedExpertScoringFuncE0EEEvPKT_PKbPfiPiS9_iiiiii,@function
_ZN4vllm3moe17topkGatingSoftmaxIDF16_Li16ELi32ELi8ELi32ELb1ELi0ELNS0_23SharedExpertScoringFuncE0EEEvPKT_PKbPfiPiS9_iiiiii: ; @_ZN4vllm3moe17topkGatingSoftmaxIDF16_Li16ELi32ELi8ELi32ELb1ELi0ELNS0_23SharedExpertScoringFuncE0EEEvPKT_PKbPfiPiS9_iiiiii
; %bb.0:
	s_load_dword s33, s[4:5], 0x18
	v_bfe_u32 v1, v0, 10, 10
	v_and_b32_e32 v0, 0x3ff, v0
	s_lshl_b32 s50, s6, 8
	v_lshlrev_b32_e32 v42, 5, v1
	v_lshrrev_b32_e32 v43, 1, v0
	v_add3_u32 v22, s50, v42, v43
	s_waitcnt lgkmcnt(0)
	v_cmp_gt_i32_e32 vcc, s33, v22
	s_and_saveexec_b64 s[0:1], vcc
	s_cbranch_execz .LBB156_27
; %bb.1:
	s_load_dwordx4 s[0:3], s[4:5], 0x0
	s_load_dwordx2 s[34:35], s[4:5], 0x10
	s_waitcnt lgkmcnt(0)
	s_cmp_eq_u64 s[2:3], 0
	s_cbranch_scc1 .LBB156_3
; %bb.2:
	v_ashrrev_i32_e32 v1, 31, v22
	v_mov_b32_e32 v3, s3
	v_add_co_u32_e32 v2, vcc, s2, v22
	v_addc_co_u32_e32 v3, vcc, v3, v1, vcc
	global_load_ubyte v1, v[2:3], off
	s_waitcnt vmcnt(0)
	v_and_b32_e32 v1, 1, v1
	v_cmp_eq_u32_e32 vcc, 1, v1
	s_xor_b64 s[2:3], vcc, -1
	s_orn2_b64 s[44:45], s[2:3], exec
	s_branch .LBB156_4
.LBB156_3:
	s_mov_b64 s[44:45], -1
.LBB156_4:
	s_load_dwordx2 s[8:9], s[4:5], 0x40
	s_load_dwordx4 s[36:39], s[4:5], 0x30
	v_mov_b32_e32 v1, s1
	v_and_b32_e32 v23, 1, v0
	v_lshlrev_b32_e32 v0, 5, v23
	s_waitcnt lgkmcnt(0)
	v_mul_lo_u32 v2, v22, s9
	v_ashrrev_i32_e32 v3, 31, v2
	v_lshlrev_b64 v[2:3], 1, v[2:3]
	v_add_co_u32_e32 v2, vcc, s0, v2
	v_addc_co_u32_e32 v1, vcc, v1, v3, vcc
	v_add_co_u32_e32 v8, vcc, v2, v0
	v_addc_co_u32_e32 v9, vcc, 0, v1, vcc
	global_load_dwordx4 v[4:7], v[8:9], off
	global_load_dwordx4 v[12:15], v[8:9], off offset:16
	v_lshlrev_b32_e32 v24, 4, v23
	v_or_b32_e32 v25, 1, v24
	v_or_b32_e32 v26, 2, v24
	;; [unrolled: 1-line block ×15, first 2 shown]
	s_cmp_gt_i32 s36, 0
	v_cmp_eq_u32_e32 vcc, 0, v23
	s_cselect_b64 s[46:47], -1, 0
	s_cmp_lt_i32 s36, 1
	v_mov_b32_e32 v40, 0
	s_waitcnt vmcnt(1)
	v_cvt_f32_f16_e32 v0, v4
	v_cvt_f32_f16_sdwa v1, v4 dst_sel:DWORD dst_unused:UNUSED_PAD src0_sel:WORD_1
	v_cvt_f32_f16_e32 v2, v5
	v_cmp_lt_f16_sdwa s[0:1], v4, v4 src0_sel:DWORD src1_sel:WORD_1
	v_cndmask_b32_e64 v3, v24, v25, s[0:1]
	v_cndmask_b32_e64 v4, v0, v1, s[0:1]
	v_cmp_lt_f32_e64 s[0:1], v4, v2
	v_cndmask_b32_e64 v10, v3, v26, s[0:1]
	v_cvt_f32_f16_sdwa v3, v5 dst_sel:DWORD dst_unused:UNUSED_PAD src0_sel:WORD_1
	v_cndmask_b32_e64 v4, v4, v2, s[0:1]
	s_waitcnt vmcnt(0)
	v_cvt_f32_f16_e32 v8, v12
	v_cvt_f32_f16_sdwa v9, v12 dst_sel:DWORD dst_unused:UNUSED_PAD src0_sel:WORD_1
	v_cmp_lt_f32_e64 s[0:1], v4, v3
	v_cndmask_b32_e64 v5, v10, v27, s[0:1]
	v_cndmask_b32_e64 v10, v4, v3, s[0:1]
	v_cvt_f32_f16_e32 v4, v6
	v_cmp_lt_f32_e64 s[0:1], v10, v4
	v_cndmask_b32_e64 v11, v5, v28, s[0:1]
	v_cvt_f32_f16_sdwa v5, v6 dst_sel:DWORD dst_unused:UNUSED_PAD src0_sel:WORD_1
	v_cvt_f32_f16_e32 v6, v7
	v_cndmask_b32_e64 v10, v10, v4, s[0:1]
	v_cvt_f32_f16_sdwa v7, v7 dst_sel:DWORD dst_unused:UNUSED_PAD src0_sel:WORD_1
	v_cmp_lt_f32_e64 s[0:1], v10, v5
	v_cndmask_b32_e64 v10, v10, v5, s[0:1]
	v_cndmask_b32_e64 v11, v11, v29, s[0:1]
	v_cmp_lt_f32_e64 s[0:1], v10, v6
	v_cndmask_b32_e64 v10, v10, v6, s[0:1]
	v_cndmask_b32_e64 v11, v11, v30, s[0:1]
	;; [unrolled: 3-line block ×4, first 2 shown]
	v_cmp_lt_f32_e64 s[0:1], v10, v9
	v_cndmask_b32_e64 v12, v10, v9, s[0:1]
	v_cvt_f32_f16_e32 v10, v13
	v_cndmask_b32_e64 v11, v11, v33, s[0:1]
	v_cmp_lt_f32_e64 s[0:1], v12, v10
	v_cndmask_b32_e64 v16, v11, v34, s[0:1]
	v_cvt_f32_f16_sdwa v11, v13 dst_sel:DWORD dst_unused:UNUSED_PAD src0_sel:WORD_1
	v_cndmask_b32_e64 v12, v12, v10, s[0:1]
	v_cmp_lt_f32_e64 s[0:1], v12, v11
	v_cndmask_b32_e64 v13, v16, v35, s[0:1]
	v_cndmask_b32_e64 v16, v12, v11, s[0:1]
	v_cvt_f32_f16_e32 v12, v14
	v_cmp_lt_f32_e64 s[0:1], v16, v12
	v_cndmask_b32_e64 v17, v13, v36, s[0:1]
	v_cvt_f32_f16_sdwa v13, v14 dst_sel:DWORD dst_unused:UNUSED_PAD src0_sel:WORD_1
	v_cvt_f32_f16_e32 v14, v15
	v_cndmask_b32_e64 v16, v16, v12, s[0:1]
	v_cvt_f32_f16_sdwa v15, v15 dst_sel:DWORD dst_unused:UNUSED_PAD src0_sel:WORD_1
	v_cmp_lt_f32_e64 s[0:1], v16, v13
	v_cndmask_b32_e64 v16, v16, v13, s[0:1]
	v_cndmask_b32_e64 v17, v17, v37, s[0:1]
	v_cmp_lt_f32_e64 s[0:1], v16, v14
	v_cndmask_b32_e64 v18, v16, v14, s[0:1]
	v_cndmask_b32_e64 v17, v17, v38, s[0:1]
	;; [unrolled: 3-line block ×3, first 2 shown]
	s_nop 0
	v_mov_b32_dpp v18, v16 quad_perm:[1,0,3,2] row_mask:0xf bank_mask:0xf
	v_mov_b32_dpp v19, v17 quad_perm:[1,0,3,2] row_mask:0xf bank_mask:0xf
	s_cbranch_scc1 .LBB156_16
; %bb.5:
	s_load_dwordx4 s[40:43], s[4:5], 0x20
	v_cmp_eq_f32_e64 s[2:3], v17, v19
	v_cmp_lt_i32_e64 s[6:7], v18, v16
	v_cmp_lt_f32_e64 s[0:1], v17, v19
	s_and_b64 s[2:3], s[2:3], s[6:7]
	s_or_b64 s[0:1], s[0:1], s[2:3]
	v_cndmask_b32_e64 v44, v16, v18, s[0:1]
	v_cndmask_b32_e64 v41, v17, v19, s[0:1]
	v_mul_lo_u32 v20, v22, s39
	v_mul_lo_u32 v18, v22, s8
	;; [unrolled: 1-line block ×3, first 2 shown]
	v_mov_b32_e32 v40, 0
	s_and_saveexec_b64 s[4:5], vcc
	s_cbranch_execz .LBB156_7
; %bb.6:
	v_sub_f32_e32 v17, v41, v41
	v_mul_f32_e32 v19, 0x3fb8aa3b, v17
	s_mov_b32 s0, 0x3fb8aa3b
	v_rndne_f32_e32 v21, v19
	v_sub_f32_e32 v40, v19, v21
	v_fma_f32 v19, v17, s0, -v19
	v_fmac_f32_e32 v19, 0x32a5705f, v17
	v_add_f32_e32 v19, v40, v19
	v_exp_f32_e32 v19, v19
	v_cvt_i32_f32_e32 v21, v21
	v_cmp_le_i32_e64 s[0:1], s37, v44
	v_cmp_gt_i32_e64 s[2:3], s38, v44
	s_and_b64 s[2:3], s[0:1], s[2:3]
	s_mov_b32 s0, 0xc2ce8ed0
	v_ldexp_f32 v19, v19, v21
	v_cmp_ngt_f32_e64 s[0:1], s0, v17
	v_cndmask_b32_e64 v19, 0, v19, s[0:1]
	s_mov_b32 s0, 0x42b17218
	v_mov_b32_e32 v21, 0x7f800000
	v_cmp_nlt_f32_e64 s[0:1], s0, v17
	v_cndmask_b32_e64 v40, v21, v19, s[0:1]
	v_ashrrev_i32_e32 v21, 31, v20
	v_lshlrev_b64 v[46:47], 2, v[20:21]
	v_mov_b32_e32 v17, s35
	v_add_co_u32_e64 v46, s[0:1], s34, v46
	v_addc_co_u32_e64 v47, s[0:1], v17, v47, s[0:1]
	v_ashrrev_i32_e32 v19, 31, v18
	global_store_dword v[46:47], v40, off
	v_subrev_u32_e32 v17, s37, v44
	s_and_b64 s[0:1], s[44:45], s[2:3]
	v_lshlrev_b64 v[46:47], 2, v[18:19]
	v_cndmask_b32_e64 v17, 32, v17, s[0:1]
	s_waitcnt lgkmcnt(0)
	v_mov_b32_e32 v19, s41
	v_add_co_u32_e64 v46, s[0:1], s40, v46
	v_addc_co_u32_e64 v47, s[0:1], v19, v47, s[0:1]
	global_store_dword v[46:47], v17, off
	v_ashrrev_i32_e32 v17, 31, v16
	v_lshlrev_b64 v[46:47], 2, v[16:17]
	v_mov_b32_e32 v17, s43
	v_add_co_u32_e64 v46, s[0:1], s42, v46
	v_addc_co_u32_e64 v47, s[0:1], v17, v47, s[0:1]
	global_store_dword v[46:47], v22, off
.LBB156_7:
	s_or_b64 exec, exec, s[4:5]
	v_ashrrev_i32_e32 v19, 31, v44
	v_lshrrev_b32_e32 v17, 28, v19
	v_add_u32_e32 v21, v44, v17
	v_ashrrev_i32_e32 v17, 4, v21
	v_lshrrev_b32_e32 v21, 31, v21
	v_add_u32_e32 v21, v17, v21
	v_and_b32_e32 v21, -2, v21
	v_sub_u32_e32 v21, v17, v21
	v_cmp_eq_u32_e64 s[0:1], v23, v21
	s_and_saveexec_b64 s[48:49], s[0:1]
	s_cbranch_execz .LBB156_9
; %bb.8:
	v_lshrrev_b32_e32 v19, 27, v19
	v_add_u32_e32 v19, v44, v19
	v_lshlrev_b32_e32 v17, 4, v17
	v_sub_u32_e32 v17, v44, v17
	v_ashrrev_i32_e32 v19, 5, v19
	v_lshl_add_u32 v17, v19, 4, v17
	v_mov_b32_e32 v19, 0xff800000
	v_cmp_ne_u32_e64 s[0:1], 14, v17
	v_cmp_ne_u32_e64 s[2:3], 13, v17
	;; [unrolled: 1-line block ×16, first 2 shown]
	v_cndmask_b32_e64 v15, v19, v15, s[30:31]
	v_cndmask_b32_e64 v14, v19, v14, s[0:1]
	v_cndmask_b32_e64 v13, v19, v13, s[2:3]
	v_cndmask_b32_e64 v12, v19, v12, s[4:5]
	v_cndmask_b32_e64 v11, v19, v11, s[6:7]
	v_cndmask_b32_e64 v10, v19, v10, s[8:9]
	v_cndmask_b32_e64 v9, v19, v9, s[10:11]
	v_cndmask_b32_e64 v8, v19, v8, s[12:13]
	v_cndmask_b32_e64 v7, v19, v7, s[14:15]
	v_cndmask_b32_e64 v6, v19, v6, s[16:17]
	v_cndmask_b32_e64 v5, v19, v5, s[18:19]
	v_cndmask_b32_e64 v4, v19, v4, s[20:21]
	v_cndmask_b32_e64 v3, v19, v3, s[22:23]
	v_cndmask_b32_e64 v2, v19, v2, s[24:25]
	v_cndmask_b32_e64 v1, v19, v1, s[26:27]
	v_cndmask_b32_e64 v0, v19, v0, s[28:29]
.LBB156_9:
	s_or_b64 exec, exec, s[48:49]
	s_cmp_eq_u32 s36, 1
	s_cbranch_scc1 .LBB156_16
; %bb.10:
	s_add_i32 s50, s50, s33
	s_add_i32 s51, s36, -1
	v_add3_u32 v42, s50, v43, v42
	v_add_u32_e32 v16, 1, v16
	v_add_u32_e32 v18, 1, v18
	;; [unrolled: 1-line block ×3, first 2 shown]
	s_mov_b32 s50, 0x3fb8aa3b
	s_mov_b32 s52, 0xc2ce8ed0
	;; [unrolled: 1-line block ×3, first 2 shown]
	v_mov_b32_e32 v43, 0x7f800000
	v_mov_b32_e32 v44, 0xff800000
	s_branch .LBB156_12
.LBB156_11:                             ;   in Loop: Header=BB156_12 Depth=1
	s_or_b64 exec, exec, s[48:49]
	s_add_i32 s51, s51, -1
	v_add_u32_e32 v42, s33, v42
	v_add_u32_e32 v16, 1, v16
	;; [unrolled: 1-line block ×3, first 2 shown]
	s_cmp_eq_u32 s51, 0
	v_add_u32_e32 v20, 1, v20
	s_cbranch_scc1 .LBB156_16
.LBB156_12:                             ; =>This Inner Loop Header: Depth=1
	v_cmp_gt_f32_e64 s[0:1], v1, v0
	v_cndmask_b32_e64 v19, v0, v1, s[0:1]
	v_cndmask_b32_e64 v17, v24, v25, s[0:1]
	v_cmp_gt_f32_e64 s[0:1], v2, v19
	v_cndmask_b32_e64 v19, v19, v2, s[0:1]
	v_cndmask_b32_e64 v17, v17, v26, s[0:1]
	;; [unrolled: 3-line block ×15, first 2 shown]
	s_nop 0
	v_mov_b32_dpp v45, v21 quad_perm:[1,0,3,2] row_mask:0xf bank_mask:0xf
	v_mov_b32_dpp v19, v17 quad_perm:[1,0,3,2] row_mask:0xf bank_mask:0xf
	v_cmp_eq_f32_e64 s[2:3], v17, v19
	v_cmp_lt_i32_e64 s[4:5], v45, v21
	v_cmp_lt_f32_e64 s[0:1], v17, v19
	s_and_b64 s[2:3], s[2:3], s[4:5]
	s_or_b64 s[0:1], s[0:1], s[2:3]
	v_cndmask_b32_e64 v45, v21, v45, s[0:1]
	s_and_saveexec_b64 s[4:5], vcc
	s_cbranch_execz .LBB156_14
; %bb.13:                               ;   in Loop: Header=BB156_12 Depth=1
	v_cndmask_b32_e64 v17, v17, v19, s[0:1]
	v_sub_f32_e32 v17, v17, v41
	v_mul_f32_e32 v19, 0x3fb8aa3b, v17
	v_fma_f32 v21, v17, s50, -v19
	v_rndne_f32_e32 v46, v19
	v_fmac_f32_e32 v21, 0x32a5705f, v17
	v_sub_f32_e32 v19, v19, v46
	v_add_f32_e32 v19, v19, v21
	v_exp_f32_e32 v19, v19
	v_cvt_i32_f32_e32 v21, v46
	v_cmp_le_i32_e64 s[0:1], s37, v45
	v_cmp_gt_i32_e64 s[2:3], s38, v45
	s_and_b64 s[2:3], s[0:1], s[2:3]
	v_ldexp_f32 v19, v19, v21
	v_cmp_ngt_f32_e64 s[0:1], s52, v17
	v_ashrrev_i32_e32 v21, 31, v20
	v_cndmask_b32_e64 v19, 0, v19, s[0:1]
	v_cmp_nlt_f32_e64 s[0:1], s53, v17
	v_lshlrev_b64 v[46:47], 2, v[20:21]
	v_cndmask_b32_e64 v48, v43, v19, s[0:1]
	v_mov_b32_e32 v17, s35
	v_add_co_u32_e64 v46, s[0:1], s34, v46
	v_addc_co_u32_e64 v47, s[0:1], v17, v47, s[0:1]
	v_ashrrev_i32_e32 v19, 31, v18
	global_store_dword v[46:47], v48, off
	v_subrev_u32_e32 v17, s37, v45
	s_and_b64 s[0:1], s[44:45], s[2:3]
	v_lshlrev_b64 v[46:47], 2, v[18:19]
	v_cndmask_b32_e64 v17, 32, v17, s[0:1]
	s_waitcnt lgkmcnt(0)
	v_mov_b32_e32 v19, s41
	v_add_co_u32_e64 v46, s[0:1], s40, v46
	v_addc_co_u32_e64 v47, s[0:1], v19, v47, s[0:1]
	global_store_dword v[46:47], v17, off
	v_ashrrev_i32_e32 v17, 31, v16
	v_lshlrev_b64 v[46:47], 2, v[16:17]
	v_mov_b32_e32 v17, s43
	v_add_co_u32_e64 v46, s[0:1], s42, v46
	v_addc_co_u32_e64 v47, s[0:1], v17, v47, s[0:1]
	v_add_f32_e32 v40, v40, v48
	global_store_dword v[46:47], v42, off
.LBB156_14:                             ;   in Loop: Header=BB156_12 Depth=1
	s_or_b64 exec, exec, s[4:5]
	v_ashrrev_i32_e32 v19, 31, v45
	v_lshrrev_b32_e32 v17, 28, v19
	v_add_u32_e32 v21, v45, v17
	v_ashrrev_i32_e32 v17, 4, v21
	v_lshrrev_b32_e32 v21, 31, v21
	v_add_u32_e32 v21, v17, v21
	v_and_b32_e32 v21, -2, v21
	v_sub_u32_e32 v21, v17, v21
	v_cmp_eq_u32_e64 s[0:1], v23, v21
	s_and_saveexec_b64 s[48:49], s[0:1]
	s_cbranch_execz .LBB156_11
; %bb.15:                               ;   in Loop: Header=BB156_12 Depth=1
	v_lshrrev_b32_e32 v19, 27, v19
	v_add_u32_e32 v19, v45, v19
	v_lshlrev_b32_e32 v17, 4, v17
	v_sub_u32_e32 v17, v45, v17
	v_ashrrev_i32_e32 v19, 5, v19
	v_lshl_add_u32 v17, v19, 4, v17
	v_cmp_ne_u32_e64 s[0:1], 14, v17
	v_cmp_ne_u32_e64 s[2:3], 13, v17
	;; [unrolled: 1-line block ×16, first 2 shown]
	v_cndmask_b32_e64 v15, v44, v15, s[30:31]
	v_cndmask_b32_e64 v14, v44, v14, s[0:1]
	;; [unrolled: 1-line block ×16, first 2 shown]
	s_branch .LBB156_11
.LBB156_16:
	v_cmp_eq_u32_e32 vcc, 0, v23
	v_cmp_neq_f32_e64 s[0:1], 0, v40
	s_and_b64 s[0:1], vcc, s[0:1]
	s_and_b64 exec, exec, s[0:1]
	s_cbranch_execz .LBB156_27
; %bb.17:
	s_andn2_b64 vcc, exec, s[46:47]
	s_cbranch_vccnz .LBB156_27
; %bb.18:
	v_div_scale_f32 v0, s[0:1], v40, v40, 1.0
	v_rcp_f32_e32 v1, v0
	v_div_scale_f32 v2, vcc, 1.0, v40, 1.0
	s_cmp_gt_u32 s36, 3
	v_fma_f32 v3, -v0, v1, 1.0
	v_fmac_f32_e32 v1, v3, v1
	v_mul_f32_e32 v3, v2, v1
	v_fma_f32 v4, -v0, v3, v2
	v_fmac_f32_e32 v3, v4, v1
	v_fma_f32 v0, -v0, v3, v2
	v_div_fmas_f32 v0, v0, v1, v3
	v_mul_lo_u32 v2, v22, s39
	v_div_fixup_f32 v0, v0, v40, 1.0
	v_ashrrev_i32_e32 v3, 31, v2
	s_cbranch_scc0 .LBB156_22
; %bb.19:
	v_lshlrev_b64 v[4:5], 2, v[2:3]
	v_mov_b32_e32 v6, s35
	v_add_co_u32_e32 v4, vcc, s34, v4
	v_addc_co_u32_e32 v5, vcc, v5, v6, vcc
	s_and_b32 s4, s36, 0x7ffffffc
	v_add_co_u32_e32 v4, vcc, 8, v4
	v_mov_b32_e32 v1, v0
	v_addc_co_u32_e32 v5, vcc, 0, v5, vcc
	s_mov_b32 s0, s4
.LBB156_20:                             ; =>This Inner Loop Header: Depth=1
	global_load_dwordx4 v[6:9], v[4:5], off offset:-8
	s_add_i32 s0, s0, -4
	s_cmp_lg_u32 s0, 0
	s_waitcnt vmcnt(0)
	v_pk_mul_f32 v[6:7], v[0:1], v[6:7]
	v_pk_mul_f32 v[8:9], v[0:1], v[8:9]
	global_store_dwordx4 v[4:5], v[6:9], off offset:-8
	v_add_co_u32_e32 v4, vcc, 16, v4
	v_addc_co_u32_e32 v5, vcc, 0, v5, vcc
	s_cbranch_scc1 .LBB156_20
; %bb.21:
	s_cmp_lg_u32 s4, s36
	s_cselect_b64 s[0:1], -1, 0
	s_branch .LBB156_24
.LBB156_22:
	s_mov_b64 s[0:1], 0
                                        ; implicit-def: $sgpr4
	s_cbranch_execz .LBB156_24
; %bb.23:
	s_mov_b64 s[0:1], -1
	s_mov_b32 s4, 0
.LBB156_24:
	s_andn2_b64 vcc, exec, s[0:1]
	s_cbranch_vccnz .LBB156_27
; %bb.25:
	v_add_co_u32_e32 v2, vcc, s4, v2
	v_addc_co_u32_e32 v3, vcc, 0, v3, vcc
	v_lshlrev_b64 v[2:3], 2, v[2:3]
	v_mov_b32_e32 v1, s35
	v_add_co_u32_e32 v2, vcc, s34, v2
	s_sub_i32 s0, s36, s4
	v_addc_co_u32_e32 v3, vcc, v1, v3, vcc
.LBB156_26:                             ; =>This Inner Loop Header: Depth=1
	global_load_dword v1, v[2:3], off
	s_add_i32 s0, s0, -1
	s_cmp_lg_u32 s0, 0
	s_waitcnt vmcnt(0)
	v_mul_f32_e32 v1, v0, v1
	global_store_dword v[2:3], v1, off
	v_add_co_u32_e32 v2, vcc, 4, v2
	v_addc_co_u32_e32 v3, vcc, 0, v3, vcc
	s_cbranch_scc1 .LBB156_26
.LBB156_27:
	s_endpgm
	.section	.rodata,"a",@progbits
	.p2align	6, 0x0
	.amdhsa_kernel _ZN4vllm3moe17topkGatingSoftmaxIDF16_Li16ELi32ELi8ELi32ELb1ELi0ELNS0_23SharedExpertScoringFuncE0EEEvPKT_PKbPfiPiS9_iiiiii
		.amdhsa_group_segment_fixed_size 0
		.amdhsa_private_segment_fixed_size 0
		.amdhsa_kernarg_size 72
		.amdhsa_user_sgpr_count 6
		.amdhsa_user_sgpr_private_segment_buffer 1
		.amdhsa_user_sgpr_dispatch_ptr 0
		.amdhsa_user_sgpr_queue_ptr 0
		.amdhsa_user_sgpr_kernarg_segment_ptr 1
		.amdhsa_user_sgpr_dispatch_id 0
		.amdhsa_user_sgpr_flat_scratch_init 0
		.amdhsa_user_sgpr_kernarg_preload_length 0
		.amdhsa_user_sgpr_kernarg_preload_offset 0
		.amdhsa_user_sgpr_private_segment_size 0
		.amdhsa_uses_dynamic_stack 0
		.amdhsa_system_sgpr_private_segment_wavefront_offset 0
		.amdhsa_system_sgpr_workgroup_id_x 1
		.amdhsa_system_sgpr_workgroup_id_y 0
		.amdhsa_system_sgpr_workgroup_id_z 0
		.amdhsa_system_sgpr_workgroup_info 0
		.amdhsa_system_vgpr_workitem_id 1
		.amdhsa_next_free_vgpr 49
		.amdhsa_next_free_sgpr 54
		.amdhsa_accum_offset 52
		.amdhsa_reserve_vcc 1
		.amdhsa_reserve_flat_scratch 0
		.amdhsa_float_round_mode_32 0
		.amdhsa_float_round_mode_16_64 0
		.amdhsa_float_denorm_mode_32 3
		.amdhsa_float_denorm_mode_16_64 3
		.amdhsa_dx10_clamp 1
		.amdhsa_ieee_mode 1
		.amdhsa_fp16_overflow 0
		.amdhsa_tg_split 0
		.amdhsa_exception_fp_ieee_invalid_op 0
		.amdhsa_exception_fp_denorm_src 0
		.amdhsa_exception_fp_ieee_div_zero 0
		.amdhsa_exception_fp_ieee_overflow 0
		.amdhsa_exception_fp_ieee_underflow 0
		.amdhsa_exception_fp_ieee_inexact 0
		.amdhsa_exception_int_div_zero 0
	.end_amdhsa_kernel
	.section	.text._ZN4vllm3moe17topkGatingSoftmaxIDF16_Li16ELi32ELi8ELi32ELb1ELi0ELNS0_23SharedExpertScoringFuncE0EEEvPKT_PKbPfiPiS9_iiiiii,"axG",@progbits,_ZN4vllm3moe17topkGatingSoftmaxIDF16_Li16ELi32ELi8ELi32ELb1ELi0ELNS0_23SharedExpertScoringFuncE0EEEvPKT_PKbPfiPiS9_iiiiii,comdat
.Lfunc_end156:
	.size	_ZN4vllm3moe17topkGatingSoftmaxIDF16_Li16ELi32ELi8ELi32ELb1ELi0ELNS0_23SharedExpertScoringFuncE0EEEvPKT_PKbPfiPiS9_iiiiii, .Lfunc_end156-_ZN4vllm3moe17topkGatingSoftmaxIDF16_Li16ELi32ELi8ELi32ELb1ELi0ELNS0_23SharedExpertScoringFuncE0EEEvPKT_PKbPfiPiS9_iiiiii
                                        ; -- End function
	.section	.AMDGPU.csdata,"",@progbits
; Kernel info:
; codeLenInByte = 2996
; NumSgprs: 58
; NumVgprs: 49
; NumAgprs: 0
; TotalNumVgprs: 49
; ScratchSize: 0
; MemoryBound: 0
; FloatMode: 240
; IeeeMode: 1
; LDSByteSize: 0 bytes/workgroup (compile time only)
; SGPRBlocks: 7
; VGPRBlocks: 6
; NumSGPRsForWavesPerEU: 58
; NumVGPRsForWavesPerEU: 49
; AccumOffset: 52
; Occupancy: 8
; WaveLimiterHint : 0
; COMPUTE_PGM_RSRC2:SCRATCH_EN: 0
; COMPUTE_PGM_RSRC2:USER_SGPR: 6
; COMPUTE_PGM_RSRC2:TRAP_HANDLER: 0
; COMPUTE_PGM_RSRC2:TGID_X_EN: 1
; COMPUTE_PGM_RSRC2:TGID_Y_EN: 0
; COMPUTE_PGM_RSRC2:TGID_Z_EN: 0
; COMPUTE_PGM_RSRC2:TIDIG_COMP_CNT: 1
; COMPUTE_PGM_RSRC3_GFX90A:ACCUM_OFFSET: 12
; COMPUTE_PGM_RSRC3_GFX90A:TG_SPLIT: 0
	.section	.text._ZN4vllm3moe17topkGatingSoftmaxIDF16_Li16ELi32ELi8ELi32ELb0ELi0ELNS0_23SharedExpertScoringFuncE0EEEvPKT_PKbPfiPiS9_iiiiii,"axG",@progbits,_ZN4vllm3moe17topkGatingSoftmaxIDF16_Li16ELi32ELi8ELi32ELb0ELi0ELNS0_23SharedExpertScoringFuncE0EEEvPKT_PKbPfiPiS9_iiiiii,comdat
	.protected	_ZN4vllm3moe17topkGatingSoftmaxIDF16_Li16ELi32ELi8ELi32ELb0ELi0ELNS0_23SharedExpertScoringFuncE0EEEvPKT_PKbPfiPiS9_iiiiii ; -- Begin function _ZN4vllm3moe17topkGatingSoftmaxIDF16_Li16ELi32ELi8ELi32ELb0ELi0ELNS0_23SharedExpertScoringFuncE0EEEvPKT_PKbPfiPiS9_iiiiii
	.globl	_ZN4vllm3moe17topkGatingSoftmaxIDF16_Li16ELi32ELi8ELi32ELb0ELi0ELNS0_23SharedExpertScoringFuncE0EEEvPKT_PKbPfiPiS9_iiiiii
	.p2align	8
	.type	_ZN4vllm3moe17topkGatingSoftmaxIDF16_Li16ELi32ELi8ELi32ELb0ELi0ELNS0_23SharedExpertScoringFuncE0EEEvPKT_PKbPfiPiS9_iiiiii,@function
_ZN4vllm3moe17topkGatingSoftmaxIDF16_Li16ELi32ELi8ELi32ELb0ELi0ELNS0_23SharedExpertScoringFuncE0EEEvPKT_PKbPfiPiS9_iiiiii: ; @_ZN4vllm3moe17topkGatingSoftmaxIDF16_Li16ELi32ELi8ELi32ELb0ELi0ELNS0_23SharedExpertScoringFuncE0EEEvPKT_PKbPfiPiS9_iiiiii
; %bb.0:
	s_load_dword s33, s[4:5], 0x18
	v_bfe_u32 v1, v0, 10, 10
	v_and_b32_e32 v0, 0x3ff, v0
	s_lshl_b32 s50, s6, 8
	v_lshlrev_b32_e32 v42, 5, v1
	v_lshrrev_b32_e32 v43, 1, v0
	v_add3_u32 v22, s50, v42, v43
	s_waitcnt lgkmcnt(0)
	v_cmp_gt_i32_e32 vcc, s33, v22
	s_and_saveexec_b64 s[0:1], vcc
	s_cbranch_execz .LBB157_29
; %bb.1:
	s_load_dwordx4 s[0:3], s[4:5], 0x0
	s_load_dwordx2 s[34:35], s[4:5], 0x10
	s_waitcnt lgkmcnt(0)
	s_cmp_eq_u64 s[2:3], 0
	s_cbranch_scc1 .LBB157_3
; %bb.2:
	v_ashrrev_i32_e32 v1, 31, v22
	v_mov_b32_e32 v3, s3
	v_add_co_u32_e32 v2, vcc, s2, v22
	v_addc_co_u32_e32 v3, vcc, v3, v1, vcc
	global_load_ubyte v1, v[2:3], off
	s_waitcnt vmcnt(0)
	v_and_b32_e32 v1, 1, v1
	v_cmp_eq_u32_e32 vcc, 1, v1
	s_xor_b64 s[2:3], vcc, -1
	s_orn2_b64 s[46:47], s[2:3], exec
	s_branch .LBB157_4
.LBB157_3:
	s_mov_b64 s[46:47], -1
.LBB157_4:
	s_load_dwordx2 s[6:7], s[4:5], 0x40
	s_load_dwordx4 s[36:39], s[4:5], 0x30
	v_mov_b32_e32 v1, s1
	v_and_b32_e32 v23, 1, v0
	v_lshlrev_b32_e32 v0, 5, v23
	s_waitcnt lgkmcnt(0)
	v_mul_lo_u32 v2, v22, s7
	v_ashrrev_i32_e32 v3, 31, v2
	v_lshlrev_b64 v[2:3], 1, v[2:3]
	v_add_co_u32_e32 v2, vcc, s0, v2
	v_addc_co_u32_e32 v1, vcc, v1, v3, vcc
	v_add_co_u32_e32 v8, vcc, v2, v0
	v_addc_co_u32_e32 v9, vcc, 0, v1, vcc
	global_load_dwordx4 v[4:7], v[8:9], off
	global_load_dwordx4 v[12:15], v[8:9], off offset:16
	v_lshlrev_b32_e32 v26, 4, v23
	v_or_b32_e32 v27, 1, v26
	v_or_b32_e32 v28, 2, v26
	;; [unrolled: 1-line block ×15, first 2 shown]
	v_mov_b32_e32 v25, 0
	s_waitcnt vmcnt(1)
	v_cvt_f32_f16_e32 v0, v4
	v_cvt_f32_f16_sdwa v1, v4 dst_sel:DWORD dst_unused:UNUSED_PAD src0_sel:WORD_1
	v_cvt_f32_f16_e32 v2, v5
	v_cmp_lt_f16_sdwa vcc, v4, v4 src0_sel:DWORD src1_sel:WORD_1
	v_cndmask_b32_e32 v3, v26, v27, vcc
	v_cndmask_b32_e32 v4, v0, v1, vcc
	v_cmp_lt_f32_e32 vcc, v4, v2
	v_cndmask_b32_e32 v10, v3, v28, vcc
	v_cvt_f32_f16_sdwa v3, v5 dst_sel:DWORD dst_unused:UNUSED_PAD src0_sel:WORD_1
	v_cndmask_b32_e32 v4, v4, v2, vcc
	s_waitcnt vmcnt(0)
	v_cvt_f32_f16_e32 v8, v12
	v_cvt_f32_f16_sdwa v9, v12 dst_sel:DWORD dst_unused:UNUSED_PAD src0_sel:WORD_1
	v_cmp_lt_f32_e32 vcc, v4, v3
	v_cndmask_b32_e32 v5, v10, v29, vcc
	v_cndmask_b32_e32 v10, v4, v3, vcc
	v_cvt_f32_f16_e32 v4, v6
	v_cmp_lt_f32_e32 vcc, v10, v4
	v_cndmask_b32_e32 v11, v5, v30, vcc
	v_cvt_f32_f16_sdwa v5, v6 dst_sel:DWORD dst_unused:UNUSED_PAD src0_sel:WORD_1
	v_cvt_f32_f16_e32 v6, v7
	v_cndmask_b32_e32 v10, v10, v4, vcc
	v_cvt_f32_f16_sdwa v7, v7 dst_sel:DWORD dst_unused:UNUSED_PAD src0_sel:WORD_1
	v_cmp_lt_f32_e32 vcc, v10, v5
	v_cndmask_b32_e32 v10, v10, v5, vcc
	v_cndmask_b32_e32 v11, v11, v31, vcc
	v_cmp_lt_f32_e32 vcc, v10, v6
	v_cndmask_b32_e32 v10, v10, v6, vcc
	v_cndmask_b32_e32 v11, v11, v32, vcc
	v_cmp_lt_f32_e32 vcc, v10, v7
	v_cndmask_b32_e32 v10, v10, v7, vcc
	v_cndmask_b32_e32 v11, v11, v33, vcc
	v_cmp_lt_f32_e32 vcc, v10, v8
	v_cndmask_b32_e32 v10, v10, v8, vcc
	v_cndmask_b32_e32 v11, v11, v34, vcc
	v_cmp_lt_f32_e32 vcc, v10, v9
	v_cndmask_b32_e32 v12, v10, v9, vcc
	v_cvt_f32_f16_e32 v10, v13
	v_cndmask_b32_e32 v11, v11, v35, vcc
	v_cmp_lt_f32_e32 vcc, v12, v10
	v_cndmask_b32_e32 v16, v11, v36, vcc
	v_cvt_f32_f16_sdwa v11, v13 dst_sel:DWORD dst_unused:UNUSED_PAD src0_sel:WORD_1
	v_cndmask_b32_e32 v12, v12, v10, vcc
	v_cmp_lt_f32_e32 vcc, v12, v11
	v_cndmask_b32_e32 v13, v16, v37, vcc
	v_cndmask_b32_e32 v16, v12, v11, vcc
	v_cvt_f32_f16_e32 v12, v14
	v_cmp_lt_f32_e32 vcc, v16, v12
	v_cndmask_b32_e32 v17, v13, v38, vcc
	v_cvt_f32_f16_sdwa v13, v14 dst_sel:DWORD dst_unused:UNUSED_PAD src0_sel:WORD_1
	v_cvt_f32_f16_e32 v14, v15
	v_cndmask_b32_e32 v16, v16, v12, vcc
	v_cvt_f32_f16_sdwa v15, v15 dst_sel:DWORD dst_unused:UNUSED_PAD src0_sel:WORD_1
	v_cmp_lt_f32_e32 vcc, v16, v13
	v_cndmask_b32_e32 v16, v16, v13, vcc
	v_cndmask_b32_e32 v17, v17, v39, vcc
	v_cmp_lt_f32_e32 vcc, v16, v14
	v_cndmask_b32_e32 v18, v16, v14, vcc
	v_cndmask_b32_e32 v17, v17, v40, vcc
	;; [unrolled: 3-line block ×3, first 2 shown]
	s_nop 0
	v_mov_b32_dpp v17, v16 quad_perm:[1,0,3,2] row_mask:0xf bank_mask:0xf
	v_mov_b32_dpp v19, v18 quad_perm:[1,0,3,2] row_mask:0xf bank_mask:0xf
	v_cmp_lt_i32_e32 vcc, v17, v16
	v_cmp_eq_f32_e64 s[2:3], v18, v19
	v_cmp_lt_f32_e64 s[0:1], v18, v19
	s_and_b64 s[2:3], s[2:3], vcc
	s_or_b64 s[0:1], s[0:1], s[2:3]
	s_cmp_gt_i32 s36, 0
	v_cndmask_b32_e64 v24, v18, v19, s[0:1]
	s_cselect_b64 s[44:45], -1, 0
	s_cmp_lt_i32 s36, 1
	v_cmp_eq_u32_e32 vcc, 0, v23
	s_cbranch_scc1 .LBB157_16
; %bb.5:
	s_load_dwordx4 s[40:43], s[4:5], 0x20
	v_cndmask_b32_e64 v44, v16, v17, s[0:1]
	v_mul_lo_u32 v20, v22, s39
	v_mul_lo_u32 v18, v22, s6
	;; [unrolled: 1-line block ×3, first 2 shown]
	v_mov_b32_e32 v25, 0
	s_and_saveexec_b64 s[4:5], vcc
	s_cbranch_execz .LBB157_7
; %bb.6:
	v_sub_f32_e32 v17, v24, v24
	v_mul_f32_e32 v19, 0x3fb8aa3b, v17
	s_mov_b32 s0, 0x3fb8aa3b
	v_rndne_f32_e32 v21, v19
	v_sub_f32_e32 v25, v19, v21
	v_fma_f32 v19, v17, s0, -v19
	v_fmac_f32_e32 v19, 0x32a5705f, v17
	v_add_f32_e32 v19, v25, v19
	v_exp_f32_e32 v19, v19
	v_cvt_i32_f32_e32 v21, v21
	v_cmp_le_i32_e64 s[0:1], s37, v44
	v_cmp_gt_i32_e64 s[2:3], s38, v44
	s_and_b64 s[2:3], s[0:1], s[2:3]
	s_mov_b32 s0, 0xc2ce8ed0
	v_ldexp_f32 v19, v19, v21
	v_cmp_ngt_f32_e64 s[0:1], s0, v17
	v_cndmask_b32_e64 v19, 0, v19, s[0:1]
	s_mov_b32 s0, 0x42b17218
	v_mov_b32_e32 v21, 0x7f800000
	v_cmp_nlt_f32_e64 s[0:1], s0, v17
	v_cndmask_b32_e64 v25, v21, v19, s[0:1]
	v_ashrrev_i32_e32 v21, 31, v20
	v_lshlrev_b64 v[46:47], 2, v[20:21]
	v_mov_b32_e32 v17, s35
	v_add_co_u32_e64 v46, s[0:1], s34, v46
	v_addc_co_u32_e64 v47, s[0:1], v17, v47, s[0:1]
	v_ashrrev_i32_e32 v19, 31, v18
	global_store_dword v[46:47], v25, off
	v_subrev_u32_e32 v17, s37, v44
	s_and_b64 s[0:1], s[46:47], s[2:3]
	v_lshlrev_b64 v[46:47], 2, v[18:19]
	v_cndmask_b32_e64 v17, 32, v17, s[0:1]
	s_waitcnt lgkmcnt(0)
	v_mov_b32_e32 v19, s41
	v_add_co_u32_e64 v46, s[0:1], s40, v46
	v_addc_co_u32_e64 v47, s[0:1], v19, v47, s[0:1]
	global_store_dword v[46:47], v17, off
	v_ashrrev_i32_e32 v17, 31, v16
	v_lshlrev_b64 v[46:47], 2, v[16:17]
	v_mov_b32_e32 v17, s43
	v_add_co_u32_e64 v46, s[0:1], s42, v46
	v_addc_co_u32_e64 v47, s[0:1], v17, v47, s[0:1]
	global_store_dword v[46:47], v22, off
.LBB157_7:
	s_or_b64 exec, exec, s[4:5]
	v_ashrrev_i32_e32 v19, 31, v44
	v_lshrrev_b32_e32 v17, 28, v19
	v_add_u32_e32 v21, v44, v17
	v_ashrrev_i32_e32 v17, 4, v21
	v_lshrrev_b32_e32 v21, 31, v21
	v_add_u32_e32 v21, v17, v21
	v_and_b32_e32 v21, -2, v21
	v_sub_u32_e32 v21, v17, v21
	v_cmp_eq_u32_e64 s[0:1], v23, v21
	s_and_saveexec_b64 s[48:49], s[0:1]
	s_cbranch_execz .LBB157_9
; %bb.8:
	v_lshrrev_b32_e32 v19, 27, v19
	v_add_u32_e32 v19, v44, v19
	v_lshlrev_b32_e32 v17, 4, v17
	v_sub_u32_e32 v17, v44, v17
	v_ashrrev_i32_e32 v19, 5, v19
	v_lshl_add_u32 v17, v19, 4, v17
	v_mov_b32_e32 v19, 0xff800000
	v_cmp_ne_u32_e64 s[0:1], 14, v17
	v_cmp_ne_u32_e64 s[2:3], 13, v17
	;; [unrolled: 1-line block ×16, first 2 shown]
	v_cndmask_b32_e64 v15, v19, v15, s[30:31]
	v_cndmask_b32_e64 v14, v19, v14, s[0:1]
	;; [unrolled: 1-line block ×16, first 2 shown]
.LBB157_9:
	s_or_b64 exec, exec, s[48:49]
	s_cmp_eq_u32 s36, 1
	s_cbranch_scc1 .LBB157_16
; %bb.10:
	s_add_i32 s50, s50, s33
	s_add_i32 s51, s36, -1
	v_add3_u32 v42, s50, v43, v42
	v_add_u32_e32 v16, 1, v16
	v_add_u32_e32 v18, 1, v18
	;; [unrolled: 1-line block ×3, first 2 shown]
	s_mov_b32 s50, 0x3fb8aa3b
	s_mov_b32 s52, 0xc2ce8ed0
	;; [unrolled: 1-line block ×3, first 2 shown]
	v_mov_b32_e32 v43, 0x7f800000
	v_mov_b32_e32 v44, 0xff800000
	s_branch .LBB157_12
.LBB157_11:                             ;   in Loop: Header=BB157_12 Depth=1
	s_or_b64 exec, exec, s[48:49]
	s_add_i32 s51, s51, -1
	v_add_u32_e32 v42, s33, v42
	v_add_u32_e32 v16, 1, v16
	;; [unrolled: 1-line block ×3, first 2 shown]
	s_cmp_eq_u32 s51, 0
	v_add_u32_e32 v20, 1, v20
	s_cbranch_scc1 .LBB157_16
.LBB157_12:                             ; =>This Inner Loop Header: Depth=1
	v_cmp_gt_f32_e64 s[0:1], v1, v0
	v_cndmask_b32_e64 v19, v0, v1, s[0:1]
	v_cndmask_b32_e64 v17, v26, v27, s[0:1]
	v_cmp_gt_f32_e64 s[0:1], v2, v19
	v_cndmask_b32_e64 v19, v19, v2, s[0:1]
	v_cndmask_b32_e64 v17, v17, v28, s[0:1]
	;; [unrolled: 3-line block ×15, first 2 shown]
	s_nop 0
	v_mov_b32_dpp v45, v21 quad_perm:[1,0,3,2] row_mask:0xf bank_mask:0xf
	v_mov_b32_dpp v19, v17 quad_perm:[1,0,3,2] row_mask:0xf bank_mask:0xf
	v_cmp_eq_f32_e64 s[2:3], v17, v19
	v_cmp_lt_i32_e64 s[4:5], v45, v21
	v_cmp_lt_f32_e64 s[0:1], v17, v19
	s_and_b64 s[2:3], s[2:3], s[4:5]
	s_or_b64 s[0:1], s[0:1], s[2:3]
	v_cndmask_b32_e64 v45, v21, v45, s[0:1]
	s_and_saveexec_b64 s[4:5], vcc
	s_cbranch_execz .LBB157_14
; %bb.13:                               ;   in Loop: Header=BB157_12 Depth=1
	v_cndmask_b32_e64 v17, v17, v19, s[0:1]
	v_sub_f32_e32 v17, v17, v24
	v_mul_f32_e32 v19, 0x3fb8aa3b, v17
	v_fma_f32 v21, v17, s50, -v19
	v_rndne_f32_e32 v46, v19
	v_fmac_f32_e32 v21, 0x32a5705f, v17
	v_sub_f32_e32 v19, v19, v46
	v_add_f32_e32 v19, v19, v21
	v_exp_f32_e32 v19, v19
	v_cvt_i32_f32_e32 v21, v46
	v_cmp_le_i32_e64 s[0:1], s37, v45
	v_cmp_gt_i32_e64 s[2:3], s38, v45
	s_and_b64 s[2:3], s[0:1], s[2:3]
	v_ldexp_f32 v19, v19, v21
	v_cmp_ngt_f32_e64 s[0:1], s52, v17
	v_ashrrev_i32_e32 v21, 31, v20
	v_cndmask_b32_e64 v19, 0, v19, s[0:1]
	v_cmp_nlt_f32_e64 s[0:1], s53, v17
	v_lshlrev_b64 v[46:47], 2, v[20:21]
	v_cndmask_b32_e64 v48, v43, v19, s[0:1]
	v_mov_b32_e32 v17, s35
	v_add_co_u32_e64 v46, s[0:1], s34, v46
	v_addc_co_u32_e64 v47, s[0:1], v17, v47, s[0:1]
	v_ashrrev_i32_e32 v19, 31, v18
	global_store_dword v[46:47], v48, off
	v_subrev_u32_e32 v17, s37, v45
	s_and_b64 s[0:1], s[46:47], s[2:3]
	v_lshlrev_b64 v[46:47], 2, v[18:19]
	v_cndmask_b32_e64 v17, 32, v17, s[0:1]
	s_waitcnt lgkmcnt(0)
	v_mov_b32_e32 v19, s41
	v_add_co_u32_e64 v46, s[0:1], s40, v46
	v_addc_co_u32_e64 v47, s[0:1], v19, v47, s[0:1]
	global_store_dword v[46:47], v17, off
	v_ashrrev_i32_e32 v17, 31, v16
	v_lshlrev_b64 v[46:47], 2, v[16:17]
	v_mov_b32_e32 v17, s43
	v_add_co_u32_e64 v46, s[0:1], s42, v46
	v_addc_co_u32_e64 v47, s[0:1], v17, v47, s[0:1]
	v_add_f32_e32 v25, v25, v48
	global_store_dword v[46:47], v42, off
.LBB157_14:                             ;   in Loop: Header=BB157_12 Depth=1
	s_or_b64 exec, exec, s[4:5]
	v_ashrrev_i32_e32 v19, 31, v45
	v_lshrrev_b32_e32 v17, 28, v19
	v_add_u32_e32 v21, v45, v17
	v_ashrrev_i32_e32 v17, 4, v21
	v_lshrrev_b32_e32 v21, 31, v21
	v_add_u32_e32 v21, v17, v21
	v_and_b32_e32 v21, -2, v21
	v_sub_u32_e32 v21, v17, v21
	v_cmp_eq_u32_e64 s[0:1], v23, v21
	s_and_saveexec_b64 s[48:49], s[0:1]
	s_cbranch_execz .LBB157_11
; %bb.15:                               ;   in Loop: Header=BB157_12 Depth=1
	v_lshrrev_b32_e32 v19, 27, v19
	v_add_u32_e32 v19, v45, v19
	v_lshlrev_b32_e32 v17, 4, v17
	v_sub_u32_e32 v17, v45, v17
	v_ashrrev_i32_e32 v19, 5, v19
	v_lshl_add_u32 v17, v19, 4, v17
	v_cmp_ne_u32_e64 s[0:1], 14, v17
	v_cmp_ne_u32_e64 s[2:3], 13, v17
	;; [unrolled: 1-line block ×16, first 2 shown]
	v_cndmask_b32_e64 v15, v44, v15, s[30:31]
	v_cndmask_b32_e64 v14, v44, v14, s[0:1]
	;; [unrolled: 1-line block ×16, first 2 shown]
	s_branch .LBB157_11
.LBB157_16:
	v_sub_f32_e32 v0, v0, v24
	s_mov_b32 s2, 0x3fb8aa3b
	v_mul_f32_e32 v16, 0x3fb8aa3b, v0
	v_fma_f32 v17, v0, s2, -v16
	v_rndne_f32_e32 v18, v16
	v_fmac_f32_e32 v17, 0x32a5705f, v0
	v_sub_f32_e32 v16, v16, v18
	v_add_f32_e32 v16, v16, v17
	v_exp_f32_e32 v16, v16
	v_cvt_i32_f32_e32 v17, v18
	v_sub_f32_e32 v1, v1, v24
	s_mov_b32 s4, 0xc2ce8ed0
	s_mov_b32 s3, 0x42b17218
	v_ldexp_f32 v16, v16, v17
	v_mul_f32_e32 v17, 0x3fb8aa3b, v1
	v_fma_f32 v18, v1, s2, -v17
	v_rndne_f32_e32 v19, v17
	v_fmac_f32_e32 v18, 0x32a5705f, v1
	v_sub_f32_e32 v17, v17, v19
	v_add_f32_e32 v17, v17, v18
	v_exp_f32_e32 v17, v17
	v_cvt_i32_f32_e32 v18, v19
	v_cmp_ngt_f32_e32 vcc, s4, v1
	v_cmp_ngt_f32_e64 s[0:1], s4, v0
	v_sub_f32_e32 v2, v2, v24
	v_ldexp_f32 v17, v17, v18
	v_cndmask_b32_e32 v17, 0, v17, vcc
	v_mov_b32_e32 v18, 0x7f800000
	v_cmp_nlt_f32_e32 vcc, s3, v1
	v_cndmask_b32_e64 v1, 0, v16, s[0:1]
	v_cmp_nlt_f32_e64 s[0:1], s3, v0
	v_cndmask_b32_e64 v0, v18, v1, s[0:1]
	v_cndmask_b32_e32 v1, v18, v17, vcc
	v_add_f32_e32 v0, v0, v1
	v_mul_f32_e32 v1, 0x3fb8aa3b, v2
	v_fma_f32 v16, v2, s2, -v1
	v_rndne_f32_e32 v17, v1
	v_fmac_f32_e32 v16, 0x32a5705f, v2
	v_sub_f32_e32 v1, v1, v17
	v_add_f32_e32 v1, v1, v16
	v_exp_f32_e32 v1, v1
	v_cvt_i32_f32_e32 v16, v17
	v_cmp_ngt_f32_e32 vcc, s4, v2
	v_sub_f32_e32 v3, v3, v24
	v_sub_f32_e32 v4, v4, v24
	v_ldexp_f32 v1, v1, v16
	v_cndmask_b32_e32 v1, 0, v1, vcc
	v_cmp_nlt_f32_e32 vcc, s3, v2
	v_cndmask_b32_e32 v1, v18, v1, vcc
	v_add_f32_e32 v0, v0, v1
	v_mul_f32_e32 v1, 0x3fb8aa3b, v3
	v_fma_f32 v2, v3, s2, -v1
	v_rndne_f32_e32 v16, v1
	v_fmac_f32_e32 v2, 0x32a5705f, v3
	v_sub_f32_e32 v1, v1, v16
	v_add_f32_e32 v1, v1, v2
	v_exp_f32_e32 v1, v1
	v_cvt_i32_f32_e32 v2, v16
	v_cmp_ngt_f32_e32 vcc, s4, v3
	v_sub_f32_e32 v5, v5, v24
	v_sub_f32_e32 v6, v6, v24
	v_ldexp_f32 v1, v1, v2
	v_cndmask_b32_e32 v1, 0, v1, vcc
	v_cmp_nlt_f32_e32 vcc, s3, v3
	;; [unrolled: 16-line block ×5, first 2 shown]
	v_cndmask_b32_e32 v1, v18, v1, vcc
	v_add_f32_e32 v0, v0, v1
	v_mul_f32_e32 v1, 0x3fb8aa3b, v7
	v_fma_f32 v2, v7, s2, -v1
	v_rndne_f32_e32 v3, v1
	v_fmac_f32_e32 v2, 0x32a5705f, v7
	v_sub_f32_e32 v1, v1, v3
	v_add_f32_e32 v1, v1, v2
	v_exp_f32_e32 v1, v1
	v_cvt_i32_f32_e32 v2, v3
	v_cmp_ngt_f32_e32 vcc, s4, v7
	v_ldexp_f32 v1, v1, v2
	v_mul_f32_e32 v2, 0x3fb8aa3b, v8
	v_fma_f32 v3, v8, s2, -v2
	v_rndne_f32_e32 v4, v2
	v_fmac_f32_e32 v3, 0x32a5705f, v8
	v_sub_f32_e32 v2, v2, v4
	v_add_f32_e32 v2, v2, v3
	v_exp_f32_e32 v2, v2
	v_cvt_i32_f32_e32 v3, v4
	v_cndmask_b32_e32 v1, 0, v1, vcc
	v_cmp_nlt_f32_e32 vcc, s3, v7
	v_cndmask_b32_e32 v1, v18, v1, vcc
	v_add_f32_e32 v0, v0, v1
	v_ldexp_f32 v1, v2, v3
	v_mul_f32_e32 v2, 0x3fb8aa3b, v9
	v_fma_f32 v3, v9, s2, -v2
	v_rndne_f32_e32 v4, v2
	v_fmac_f32_e32 v3, 0x32a5705f, v9
	v_sub_f32_e32 v2, v2, v4
	v_add_f32_e32 v2, v2, v3
	v_exp_f32_e32 v2, v2
	v_cvt_i32_f32_e32 v3, v4
	v_cmp_ngt_f32_e32 vcc, s4, v8
	v_cndmask_b32_e32 v1, 0, v1, vcc
	v_cmp_nlt_f32_e32 vcc, s3, v8
	v_cndmask_b32_e32 v1, v18, v1, vcc
	v_add_f32_e32 v0, v0, v1
	v_ldexp_f32 v1, v2, v3
	v_mul_f32_e32 v2, 0x3fb8aa3b, v10
	v_fma_f32 v3, v10, s2, -v2
	v_rndne_f32_e32 v4, v2
	v_fmac_f32_e32 v3, 0x32a5705f, v10
	v_sub_f32_e32 v2, v2, v4
	v_add_f32_e32 v2, v2, v3
	v_exp_f32_e32 v2, v2
	v_cvt_i32_f32_e32 v3, v4
	v_cmp_ngt_f32_e32 vcc, s4, v9
	v_cndmask_b32_e32 v1, 0, v1, vcc
	v_cmp_nlt_f32_e32 vcc, s3, v9
	v_cndmask_b32_e32 v1, v18, v1, vcc
	v_add_f32_e32 v0, v0, v1
	v_ldexp_f32 v1, v2, v3
	v_mul_f32_e32 v2, 0x3fb8aa3b, v11
	v_fma_f32 v3, v11, s2, -v2
	v_rndne_f32_e32 v4, v2
	v_fmac_f32_e32 v3, 0x32a5705f, v11
	v_sub_f32_e32 v2, v2, v4
	v_add_f32_e32 v2, v2, v3
	v_exp_f32_e32 v2, v2
	v_cvt_i32_f32_e32 v3, v4
	v_cmp_ngt_f32_e32 vcc, s4, v10
	v_cndmask_b32_e32 v1, 0, v1, vcc
	v_cmp_nlt_f32_e32 vcc, s3, v10
	v_cndmask_b32_e32 v1, v18, v1, vcc
	v_add_f32_e32 v0, v0, v1
	v_ldexp_f32 v1, v2, v3
	v_mul_f32_e32 v2, 0x3fb8aa3b, v12
	v_fma_f32 v3, v12, s2, -v2
	v_rndne_f32_e32 v4, v2
	v_fmac_f32_e32 v3, 0x32a5705f, v12
	v_sub_f32_e32 v2, v2, v4
	v_add_f32_e32 v2, v2, v3
	v_exp_f32_e32 v2, v2
	v_cvt_i32_f32_e32 v3, v4
	v_cmp_ngt_f32_e32 vcc, s4, v11
	v_cndmask_b32_e32 v1, 0, v1, vcc
	v_cmp_nlt_f32_e32 vcc, s3, v11
	v_cndmask_b32_e32 v1, v18, v1, vcc
	v_add_f32_e32 v0, v0, v1
	v_ldexp_f32 v1, v2, v3
	v_sub_f32_e32 v2, v13, v24
	v_mul_f32_e32 v3, 0x3fb8aa3b, v2
	v_fma_f32 v4, v2, s2, -v3
	v_rndne_f32_e32 v5, v3
	v_fmac_f32_e32 v4, 0x32a5705f, v2
	v_sub_f32_e32 v3, v3, v5
	v_add_f32_e32 v3, v3, v4
	v_exp_f32_e32 v3, v3
	v_cvt_i32_f32_e32 v4, v5
	v_cmp_ngt_f32_e32 vcc, s4, v12
	v_cndmask_b32_e32 v1, 0, v1, vcc
	v_cmp_nlt_f32_e32 vcc, s3, v12
	v_cndmask_b32_e32 v1, v18, v1, vcc
	v_add_f32_e32 v0, v0, v1
	v_ldexp_f32 v1, v3, v4
	v_sub_f32_e32 v3, v14, v24
	v_mul_f32_e32 v4, 0x3fb8aa3b, v3
	v_fma_f32 v5, v3, s2, -v4
	v_rndne_f32_e32 v6, v4
	v_fmac_f32_e32 v5, 0x32a5705f, v3
	v_sub_f32_e32 v4, v4, v6
	v_add_f32_e32 v4, v4, v5
	v_exp_f32_e32 v4, v4
	v_cvt_i32_f32_e32 v5, v6
	v_cmp_ngt_f32_e32 vcc, s4, v2
	v_cndmask_b32_e32 v1, 0, v1, vcc
	v_cmp_nlt_f32_e32 vcc, s3, v2
	v_cndmask_b32_e32 v1, v18, v1, vcc
	v_sub_f32_e32 v2, v15, v24
	v_add_f32_e32 v0, v0, v1
	v_ldexp_f32 v1, v4, v5
	v_mul_f32_e32 v4, 0x3fb8aa3b, v2
	v_fma_f32 v5, v2, s2, -v4
	v_rndne_f32_e32 v6, v4
	v_fmac_f32_e32 v5, 0x32a5705f, v2
	v_sub_f32_e32 v4, v4, v6
	v_add_f32_e32 v4, v4, v5
	v_exp_f32_e32 v4, v4
	v_cvt_i32_f32_e32 v5, v6
	v_cmp_ngt_f32_e32 vcc, s4, v3
	v_cndmask_b32_e32 v1, 0, v1, vcc
	v_cmp_nlt_f32_e32 vcc, s3, v3
	v_cndmask_b32_e32 v1, v18, v1, vcc
	v_add_f32_e32 v0, v0, v1
	v_ldexp_f32 v1, v4, v5
	v_cmp_ngt_f32_e32 vcc, s4, v2
	v_cndmask_b32_e32 v1, 0, v1, vcc
	v_cmp_nlt_f32_e32 vcc, s3, v2
	v_cndmask_b32_e32 v1, v18, v1, vcc
	v_add_f32_e32 v0, v0, v1
	v_cmp_eq_u32_e32 vcc, 0, v23
	s_nop 0
	v_mov_b32_dpp v1, v0 quad_perm:[1,0,3,2] row_mask:0xf bank_mask:0xf
	s_and_b64 exec, exec, vcc
	s_cbranch_execz .LBB157_29
; %bb.17:
	v_add_f32_e32 v0, v0, v1
	v_add_f32_e32 v0, v25, v0
	v_cmp_neq_f32_e32 vcc, 0, v0
	s_and_b64 exec, exec, vcc
	s_cbranch_execz .LBB157_29
; %bb.18:
	s_andn2_b64 vcc, exec, s[44:45]
	s_cbranch_vccnz .LBB157_29
; %bb.19:
	v_div_scale_f32 v1, s[0:1], v0, v0, 1.0
	v_rcp_f32_e32 v2, v1
	v_div_scale_f32 v3, vcc, 1.0, v0, 1.0
	s_cmp_gt_u32 s36, 3
	v_fma_f32 v4, -v1, v2, 1.0
	v_fmac_f32_e32 v2, v4, v2
	v_mul_f32_e32 v4, v3, v2
	v_fma_f32 v5, -v1, v4, v3
	v_fmac_f32_e32 v4, v5, v2
	v_fma_f32 v1, -v1, v4, v3
	v_div_fmas_f32 v1, v1, v2, v4
	v_mul_lo_u32 v2, v22, s39
	v_div_fixup_f32 v0, v1, v0, 1.0
	v_ashrrev_i32_e32 v3, 31, v2
	s_cbranch_scc0 .LBB157_23
; %bb.20:
	v_lshlrev_b64 v[4:5], 2, v[2:3]
	v_mov_b32_e32 v6, s35
	v_add_co_u32_e32 v4, vcc, s34, v4
	v_addc_co_u32_e32 v5, vcc, v5, v6, vcc
	s_and_b32 s4, s36, 0x7ffffffc
	v_add_co_u32_e32 v4, vcc, 8, v4
	v_mov_b32_e32 v1, v0
	v_addc_co_u32_e32 v5, vcc, 0, v5, vcc
	s_mov_b32 s0, s4
.LBB157_21:                             ; =>This Inner Loop Header: Depth=1
	global_load_dwordx4 v[6:9], v[4:5], off offset:-8
	s_add_i32 s0, s0, -4
	s_cmp_lg_u32 s0, 0
	s_waitcnt vmcnt(0)
	v_pk_mul_f32 v[6:7], v[0:1], v[6:7]
	v_pk_mul_f32 v[8:9], v[0:1], v[8:9]
	global_store_dwordx4 v[4:5], v[6:9], off offset:-8
	v_add_co_u32_e32 v4, vcc, 16, v4
	v_addc_co_u32_e32 v5, vcc, 0, v5, vcc
	s_cbranch_scc1 .LBB157_21
; %bb.22:
	s_cmp_lg_u32 s4, s36
	s_mov_b64 s[2:3], 0
	s_cselect_b64 s[0:1], -1, 0
	s_branch .LBB157_24
.LBB157_23:
	s_mov_b64 s[2:3], -1
	s_mov_b64 s[0:1], 0
                                        ; implicit-def: $sgpr4
.LBB157_24:
	s_and_b64 vcc, exec, s[2:3]
	s_cbranch_vccz .LBB157_26
; %bb.25:
	s_mov_b64 s[0:1], -1
	s_mov_b32 s4, 0
.LBB157_26:
	s_andn2_b64 vcc, exec, s[0:1]
	s_cbranch_vccnz .LBB157_29
; %bb.27:
	v_add_co_u32_e32 v2, vcc, s4, v2
	v_addc_co_u32_e32 v3, vcc, 0, v3, vcc
	v_lshlrev_b64 v[2:3], 2, v[2:3]
	v_mov_b32_e32 v1, s35
	v_add_co_u32_e32 v2, vcc, s34, v2
	s_sub_i32 s0, s36, s4
	v_addc_co_u32_e32 v3, vcc, v1, v3, vcc
.LBB157_28:                             ; =>This Inner Loop Header: Depth=1
	global_load_dword v1, v[2:3], off
	s_add_i32 s0, s0, -1
	s_cmp_lg_u32 s0, 0
	s_waitcnt vmcnt(0)
	v_mul_f32_e32 v1, v0, v1
	global_store_dword v[2:3], v1, off
	v_add_co_u32_e32 v2, vcc, 4, v2
	v_addc_co_u32_e32 v3, vcc, 0, v3, vcc
	s_cbranch_scc1 .LBB157_28
.LBB157_29:
	s_endpgm
	.section	.rodata,"a",@progbits
	.p2align	6, 0x0
	.amdhsa_kernel _ZN4vllm3moe17topkGatingSoftmaxIDF16_Li16ELi32ELi8ELi32ELb0ELi0ELNS0_23SharedExpertScoringFuncE0EEEvPKT_PKbPfiPiS9_iiiiii
		.amdhsa_group_segment_fixed_size 0
		.amdhsa_private_segment_fixed_size 0
		.amdhsa_kernarg_size 72
		.amdhsa_user_sgpr_count 6
		.amdhsa_user_sgpr_private_segment_buffer 1
		.amdhsa_user_sgpr_dispatch_ptr 0
		.amdhsa_user_sgpr_queue_ptr 0
		.amdhsa_user_sgpr_kernarg_segment_ptr 1
		.amdhsa_user_sgpr_dispatch_id 0
		.amdhsa_user_sgpr_flat_scratch_init 0
		.amdhsa_user_sgpr_kernarg_preload_length 0
		.amdhsa_user_sgpr_kernarg_preload_offset 0
		.amdhsa_user_sgpr_private_segment_size 0
		.amdhsa_uses_dynamic_stack 0
		.amdhsa_system_sgpr_private_segment_wavefront_offset 0
		.amdhsa_system_sgpr_workgroup_id_x 1
		.amdhsa_system_sgpr_workgroup_id_y 0
		.amdhsa_system_sgpr_workgroup_id_z 0
		.amdhsa_system_sgpr_workgroup_info 0
		.amdhsa_system_vgpr_workitem_id 1
		.amdhsa_next_free_vgpr 49
		.amdhsa_next_free_sgpr 54
		.amdhsa_accum_offset 52
		.amdhsa_reserve_vcc 1
		.amdhsa_reserve_flat_scratch 0
		.amdhsa_float_round_mode_32 0
		.amdhsa_float_round_mode_16_64 0
		.amdhsa_float_denorm_mode_32 3
		.amdhsa_float_denorm_mode_16_64 3
		.amdhsa_dx10_clamp 1
		.amdhsa_ieee_mode 1
		.amdhsa_fp16_overflow 0
		.amdhsa_tg_split 0
		.amdhsa_exception_fp_ieee_invalid_op 0
		.amdhsa_exception_fp_denorm_src 0
		.amdhsa_exception_fp_ieee_div_zero 0
		.amdhsa_exception_fp_ieee_overflow 0
		.amdhsa_exception_fp_ieee_underflow 0
		.amdhsa_exception_fp_ieee_inexact 0
		.amdhsa_exception_int_div_zero 0
	.end_amdhsa_kernel
	.section	.text._ZN4vllm3moe17topkGatingSoftmaxIDF16_Li16ELi32ELi8ELi32ELb0ELi0ELNS0_23SharedExpertScoringFuncE0EEEvPKT_PKbPfiPiS9_iiiiii,"axG",@progbits,_ZN4vllm3moe17topkGatingSoftmaxIDF16_Li16ELi32ELi8ELi32ELb0ELi0ELNS0_23SharedExpertScoringFuncE0EEEvPKT_PKbPfiPiS9_iiiiii,comdat
.Lfunc_end157:
	.size	_ZN4vllm3moe17topkGatingSoftmaxIDF16_Li16ELi32ELi8ELi32ELb0ELi0ELNS0_23SharedExpertScoringFuncE0EEEvPKT_PKbPfiPiS9_iiiiii, .Lfunc_end157-_ZN4vllm3moe17topkGatingSoftmaxIDF16_Li16ELi32ELi8ELi32ELb0ELi0ELNS0_23SharedExpertScoringFuncE0EEEvPKT_PKbPfiPiS9_iiiiii
                                        ; -- End function
	.section	.AMDGPU.csdata,"",@progbits
; Kernel info:
; codeLenInByte = 4108
; NumSgprs: 58
; NumVgprs: 49
; NumAgprs: 0
; TotalNumVgprs: 49
; ScratchSize: 0
; MemoryBound: 0
; FloatMode: 240
; IeeeMode: 1
; LDSByteSize: 0 bytes/workgroup (compile time only)
; SGPRBlocks: 7
; VGPRBlocks: 6
; NumSGPRsForWavesPerEU: 58
; NumVGPRsForWavesPerEU: 49
; AccumOffset: 52
; Occupancy: 8
; WaveLimiterHint : 0
; COMPUTE_PGM_RSRC2:SCRATCH_EN: 0
; COMPUTE_PGM_RSRC2:USER_SGPR: 6
; COMPUTE_PGM_RSRC2:TRAP_HANDLER: 0
; COMPUTE_PGM_RSRC2:TGID_X_EN: 1
; COMPUTE_PGM_RSRC2:TGID_Y_EN: 0
; COMPUTE_PGM_RSRC2:TGID_Z_EN: 0
; COMPUTE_PGM_RSRC2:TIDIG_COMP_CNT: 1
; COMPUTE_PGM_RSRC3_GFX90A:ACCUM_OFFSET: 12
; COMPUTE_PGM_RSRC3_GFX90A:TG_SPLIT: 0
	.section	.text._ZN4vllm3moe17topkGatingSoftmaxIDF16_Li16ELi32ELi8ELi32ELb1ELi1ELNS0_23SharedExpertScoringFuncE1EEEvPKT_PKbPfiPiS9_iiiiii,"axG",@progbits,_ZN4vllm3moe17topkGatingSoftmaxIDF16_Li16ELi32ELi8ELi32ELb1ELi1ELNS0_23SharedExpertScoringFuncE1EEEvPKT_PKbPfiPiS9_iiiiii,comdat
	.protected	_ZN4vllm3moe17topkGatingSoftmaxIDF16_Li16ELi32ELi8ELi32ELb1ELi1ELNS0_23SharedExpertScoringFuncE1EEEvPKT_PKbPfiPiS9_iiiiii ; -- Begin function _ZN4vllm3moe17topkGatingSoftmaxIDF16_Li16ELi32ELi8ELi32ELb1ELi1ELNS0_23SharedExpertScoringFuncE1EEEvPKT_PKbPfiPiS9_iiiiii
	.globl	_ZN4vllm3moe17topkGatingSoftmaxIDF16_Li16ELi32ELi8ELi32ELb1ELi1ELNS0_23SharedExpertScoringFuncE1EEEvPKT_PKbPfiPiS9_iiiiii
	.p2align	8
	.type	_ZN4vllm3moe17topkGatingSoftmaxIDF16_Li16ELi32ELi8ELi32ELb1ELi1ELNS0_23SharedExpertScoringFuncE1EEEvPKT_PKbPfiPiS9_iiiiii,@function
_ZN4vllm3moe17topkGatingSoftmaxIDF16_Li16ELi32ELi8ELi32ELb1ELi1ELNS0_23SharedExpertScoringFuncE1EEEvPKT_PKbPfiPiS9_iiiiii: ; @_ZN4vllm3moe17topkGatingSoftmaxIDF16_Li16ELi32ELi8ELi32ELb1ELi1ELNS0_23SharedExpertScoringFuncE1EEEvPKT_PKbPfiPiS9_iiiiii
; %bb.0:
	s_load_dword s33, s[4:5], 0x18
	v_bfe_u32 v1, v0, 10, 10
	v_and_b32_e32 v2, 0x3ff, v0
	s_lshl_b32 s50, s6, 8
	v_lshlrev_b32_e32 v40, 5, v1
	v_lshrrev_b32_e32 v42, 1, v2
	v_add3_u32 v22, s50, v40, v42
	s_waitcnt lgkmcnt(0)
	v_cmp_gt_i32_e32 vcc, s33, v22
	s_and_saveexec_b64 s[0:1], vcc
	s_cbranch_execz .LBB158_29
; %bb.1:
	s_load_dwordx4 s[0:3], s[4:5], 0x0
	s_load_dwordx2 s[34:35], s[4:5], 0x10
	s_waitcnt lgkmcnt(0)
	s_cmp_eq_u64 s[2:3], 0
	s_cbranch_scc1 .LBB158_3
; %bb.2:
	v_ashrrev_i32_e32 v1, 31, v22
	v_mov_b32_e32 v3, s3
	v_add_co_u32_e32 v0, vcc, s2, v22
	v_addc_co_u32_e32 v1, vcc, v3, v1, vcc
	global_load_ubyte v0, v[0:1], off
	s_waitcnt vmcnt(0)
	v_and_b32_e32 v0, 1, v0
	v_cmp_eq_u32_e32 vcc, 1, v0
	s_xor_b64 s[2:3], vcc, -1
	s_orn2_b64 s[44:45], s[2:3], exec
	s_branch .LBB158_4
.LBB158_3:
	s_mov_b64 s[44:45], -1
.LBB158_4:
	s_load_dwordx2 s[8:9], s[4:5], 0x40
	s_load_dwordx4 s[36:39], s[4:5], 0x30
	v_mov_b32_e32 v3, s1
	v_and_b32_e32 v23, 1, v2
	v_lshlrev_b32_e32 v2, 5, v23
	s_waitcnt lgkmcnt(0)
	v_mul_lo_u32 v0, v22, s9
	v_ashrrev_i32_e32 v1, 31, v0
	v_lshlrev_b64 v[0:1], 1, v[0:1]
	v_add_co_u32_e32 v0, vcc, s0, v0
	v_addc_co_u32_e32 v1, vcc, v3, v1, vcc
	v_add_co_u32_e32 v2, vcc, v0, v2
	v_addc_co_u32_e32 v3, vcc, 0, v1, vcc
	global_load_dwordx4 v[12:15], v[2:3], off offset:16
	global_load_dwordx4 v[4:7], v[2:3], off
	v_lshlrev_b32_e32 v25, 4, v23
	v_mov_b32_e32 v24, 0
	v_cmp_eq_u32_e64 s[0:1], 0, v23
	s_and_saveexec_b64 s[2:3], s[0:1]
	s_cbranch_execz .LBB158_6
; %bb.5:
	global_load_ushort v0, v[0:1], off offset:64
	s_mov_b32 s6, 0x3fb8aa3b
	s_mov_b32 s7, 0x32a5705f
	;; [unrolled: 1-line block ×4, first 2 shown]
	v_mov_b32_e32 v3, 0x7f800000
	v_mul_lo_u32 v1, v22, s39
	s_waitcnt vmcnt(0)
	v_cvt_f32_f16_e64 v2, -v0
	v_mul_f32_e32 v8, 0x3fb8aa3b, v2
	v_rndne_f32_e32 v9, v8
	v_fma_mix_f32 v10, -v0, s6, -v8 op_sel_hi:[1,0,0]
	v_sub_f32_e32 v8, v8, v9
	v_fma_mix_f32 v0, -v0, s7, v10 op_sel_hi:[1,0,0]
	v_add_f32_e32 v0, v8, v0
	v_cvt_i32_f32_e32 v9, v9
	v_exp_f32_e32 v8, v0
	v_cmp_ngt_f32_e32 vcc, s9, v2
	v_add_u32_e32 v0, s36, v1
	v_ashrrev_i32_e32 v1, 31, v0
	v_ldexp_f32 v8, v8, v9
	v_cndmask_b32_e32 v8, 0, v8, vcc
	v_cmp_nlt_f32_e32 vcc, s10, v2
	v_cndmask_b32_e32 v2, v3, v8, vcc
	v_add_f32_e32 v2, 1.0, v2
	v_div_scale_f32 v3, s[6:7], v2, v2, 1.0
	v_rcp_f32_e32 v8, v3
	v_div_scale_f32 v9, vcc, 1.0, v2, 1.0
	v_lshlrev_b64 v[0:1], 2, v[0:1]
	v_fma_f32 v11, -v3, v8, 1.0
	v_fmac_f32_e32 v8, v11, v8
	v_mul_f32_e32 v11, v9, v8
	v_fma_f32 v16, -v3, v11, v9
	v_fmac_f32_e32 v11, v16, v8
	v_fma_f32 v3, -v3, v11, v9
	v_mov_b32_e32 v10, s35
	v_div_fmas_f32 v3, v3, v8, v11
	v_add_co_u32_e32 v0, vcc, s34, v0
	v_div_fixup_f32 v2, v3, v2, 1.0
	v_addc_co_u32_e32 v1, vcc, v10, v1, vcc
	global_store_dword v[0:1], v2, off
.LBB158_6:
	s_or_b64 exec, exec, s[2:3]
	s_waitcnt vmcnt(0)
	v_cvt_f32_f16_e32 v0, v4
	v_cvt_f32_f16_sdwa v1, v4 dst_sel:DWORD dst_unused:UNUSED_PAD src0_sel:WORD_1
	v_cvt_f32_f16_e32 v2, v5
	v_cmp_lt_f16_sdwa vcc, v4, v4 src0_sel:DWORD src1_sel:WORD_1
	v_or_b32_e32 v26, 1, v25
	v_cndmask_b32_e32 v4, v0, v1, vcc
	v_cndmask_b32_e32 v3, v25, v26, vcc
	v_or_b32_e32 v27, 2, v25
	v_cmp_lt_f32_e32 vcc, v4, v2
	v_cndmask_b32_e32 v8, v3, v27, vcc
	v_cvt_f32_f16_sdwa v3, v5 dst_sel:DWORD dst_unused:UNUSED_PAD src0_sel:WORD_1
	v_cndmask_b32_e32 v4, v4, v2, vcc
	v_or_b32_e32 v28, 3, v25
	v_or_b32_e32 v29, 4, v25
	v_cmp_lt_f32_e32 vcc, v4, v3
	v_cndmask_b32_e32 v5, v8, v28, vcc
	v_cndmask_b32_e32 v8, v4, v3, vcc
	v_cvt_f32_f16_e32 v4, v6
	v_or_b32_e32 v30, 5, v25
	v_or_b32_e32 v31, 6, v25
	v_or_b32_e32 v32, 7, v25
	v_cmp_lt_f32_e32 vcc, v8, v4
	v_cndmask_b32_e32 v9, v5, v29, vcc
	v_cvt_f32_f16_sdwa v5, v6 dst_sel:DWORD dst_unused:UNUSED_PAD src0_sel:WORD_1
	v_cvt_f32_f16_e32 v6, v7
	v_cndmask_b32_e32 v8, v8, v4, vcc
	v_cvt_f32_f16_sdwa v7, v7 dst_sel:DWORD dst_unused:UNUSED_PAD src0_sel:WORD_1
	v_cmp_lt_f32_e32 vcc, v8, v5
	v_cndmask_b32_e32 v8, v8, v5, vcc
	v_cndmask_b32_e32 v9, v9, v30, vcc
	v_cmp_lt_f32_e32 vcc, v8, v6
	v_cndmask_b32_e32 v8, v8, v6, vcc
	v_cndmask_b32_e32 v9, v9, v31, vcc
	v_cmp_lt_f32_e32 vcc, v8, v7
	v_cndmask_b32_e32 v10, v8, v7, vcc
	v_cvt_f32_f16_e32 v8, v12
	v_cndmask_b32_e32 v9, v9, v32, vcc
	v_or_b32_e32 v33, 8, v25
	v_or_b32_e32 v34, 9, v25
	v_cmp_lt_f32_e32 vcc, v10, v8
	v_cndmask_b32_e32 v11, v9, v33, vcc
	v_cvt_f32_f16_sdwa v9, v12 dst_sel:DWORD dst_unused:UNUSED_PAD src0_sel:WORD_1
	v_cndmask_b32_e32 v10, v10, v8, vcc
	v_or_b32_e32 v35, 10, v25
	v_or_b32_e32 v36, 11, v25
	v_cmp_lt_f32_e32 vcc, v10, v9
	v_cndmask_b32_e32 v12, v10, v9, vcc
	v_cvt_f32_f16_e32 v10, v13
	v_cndmask_b32_e32 v11, v11, v34, vcc
	v_or_b32_e32 v37, 12, v25
	v_or_b32_e32 v38, 13, v25
	v_cmp_lt_f32_e32 vcc, v12, v10
	v_cndmask_b32_e32 v16, v11, v35, vcc
	v_cvt_f32_f16_sdwa v11, v13 dst_sel:DWORD dst_unused:UNUSED_PAD src0_sel:WORD_1
	v_cndmask_b32_e32 v12, v12, v10, vcc
	v_or_b32_e32 v39, 14, v25
	v_or_b32_e32 v41, 15, v25
	v_cmp_lt_f32_e32 vcc, v12, v11
	v_cndmask_b32_e32 v13, v16, v36, vcc
	v_cndmask_b32_e32 v16, v12, v11, vcc
	v_cvt_f32_f16_e32 v12, v14
	s_cmp_gt_i32 s36, 0
	s_cselect_b64 s[46:47], -1, 0
	v_cmp_lt_f32_e32 vcc, v16, v12
	v_cndmask_b32_e32 v17, v13, v37, vcc
	v_cvt_f32_f16_sdwa v13, v14 dst_sel:DWORD dst_unused:UNUSED_PAD src0_sel:WORD_1
	v_cvt_f32_f16_e32 v14, v15
	v_cndmask_b32_e32 v16, v16, v12, vcc
	v_cvt_f32_f16_sdwa v15, v15 dst_sel:DWORD dst_unused:UNUSED_PAD src0_sel:WORD_1
	v_cmp_lt_f32_e32 vcc, v16, v13
	v_cndmask_b32_e32 v16, v16, v13, vcc
	v_cndmask_b32_e32 v17, v17, v38, vcc
	v_cmp_lt_f32_e32 vcc, v16, v14
	v_cndmask_b32_e32 v18, v16, v14, vcc
	v_cndmask_b32_e32 v17, v17, v39, vcc
	;; [unrolled: 3-line block ×3, first 2 shown]
	s_and_b64 vcc, exec, s[46:47]
	v_mov_b32_dpp v18, v16 quad_perm:[1,0,3,2] row_mask:0xf bank_mask:0xf
	v_mov_b32_dpp v19, v17 quad_perm:[1,0,3,2] row_mask:0xf bank_mask:0xf
	s_cbranch_vccz .LBB158_18
; %bb.7:
	s_load_dwordx4 s[40:43], s[4:5], 0x20
	v_cmp_eq_f32_e64 s[2:3], v17, v19
	v_cmp_lt_i32_e64 s[6:7], v18, v16
	v_cmp_lt_f32_e32 vcc, v17, v19
	s_and_b64 s[2:3], s[2:3], s[6:7]
	s_or_b64 vcc, vcc, s[2:3]
	v_cndmask_b32_e32 v44, v16, v18, vcc
	v_cndmask_b32_e32 v43, v17, v19, vcc
	v_mul_lo_u32 v20, v22, s39
	v_mul_lo_u32 v18, v22, s8
	;; [unrolled: 1-line block ×3, first 2 shown]
	v_mov_b32_e32 v24, 0
	s_and_saveexec_b64 s[4:5], s[0:1]
	s_cbranch_execz .LBB158_9
; %bb.8:
	v_sub_f32_e32 v17, v43, v43
	v_mul_f32_e32 v19, 0x3fb8aa3b, v17
	s_mov_b32 s2, 0x3fb8aa3b
	v_rndne_f32_e32 v21, v19
	v_sub_f32_e32 v24, v19, v21
	v_fma_f32 v19, v17, s2, -v19
	v_fmac_f32_e32 v19, 0x32a5705f, v17
	v_add_f32_e32 v19, v24, v19
	v_exp_f32_e32 v19, v19
	v_cvt_i32_f32_e32 v21, v21
	v_cmp_le_i32_e32 vcc, s37, v44
	v_cmp_gt_i32_e64 s[2:3], s38, v44
	s_mov_b32 s6, 0xc2ce8ed0
	s_and_b64 s[2:3], vcc, s[2:3]
	v_ldexp_f32 v19, v19, v21
	v_cmp_ngt_f32_e32 vcc, s6, v17
	s_mov_b32 s6, 0x42b17218
	v_cndmask_b32_e32 v19, 0, v19, vcc
	v_mov_b32_e32 v21, 0x7f800000
	v_cmp_nlt_f32_e32 vcc, s6, v17
	v_cndmask_b32_e32 v24, v21, v19, vcc
	v_ashrrev_i32_e32 v21, 31, v20
	v_lshlrev_b64 v[46:47], 2, v[20:21]
	v_mov_b32_e32 v17, s35
	v_add_co_u32_e32 v46, vcc, s34, v46
	v_addc_co_u32_e32 v47, vcc, v17, v47, vcc
	v_ashrrev_i32_e32 v19, 31, v18
	global_store_dword v[46:47], v24, off
	v_subrev_u32_e32 v17, s37, v44
	s_and_b64 vcc, s[44:45], s[2:3]
	v_lshlrev_b64 v[46:47], 2, v[18:19]
	v_cndmask_b32_e32 v17, 32, v17, vcc
	s_waitcnt lgkmcnt(0)
	v_mov_b32_e32 v19, s41
	v_add_co_u32_e32 v46, vcc, s40, v46
	v_addc_co_u32_e32 v47, vcc, v19, v47, vcc
	global_store_dword v[46:47], v17, off
	v_ashrrev_i32_e32 v17, 31, v16
	v_lshlrev_b64 v[46:47], 2, v[16:17]
	v_mov_b32_e32 v17, s43
	v_add_co_u32_e32 v46, vcc, s42, v46
	v_addc_co_u32_e32 v47, vcc, v17, v47, vcc
	global_store_dword v[46:47], v22, off
.LBB158_9:
	s_or_b64 exec, exec, s[4:5]
	v_ashrrev_i32_e32 v19, 31, v44
	v_lshrrev_b32_e32 v17, 28, v19
	v_add_u32_e32 v21, v44, v17
	v_ashrrev_i32_e32 v17, 4, v21
	v_lshrrev_b32_e32 v21, 31, v21
	v_add_u32_e32 v21, v17, v21
	v_and_b32_e32 v21, -2, v21
	v_sub_u32_e32 v21, v17, v21
	v_cmp_eq_u32_e32 vcc, v23, v21
	s_and_saveexec_b64 s[48:49], vcc
	s_cbranch_execz .LBB158_11
; %bb.10:
	v_lshrrev_b32_e32 v19, 27, v19
	v_add_u32_e32 v19, v44, v19
	v_lshlrev_b32_e32 v17, 4, v17
	v_sub_u32_e32 v17, v44, v17
	v_ashrrev_i32_e32 v19, 5, v19
	v_lshl_add_u32 v17, v19, 4, v17
	v_mov_b32_e32 v19, 0xff800000
	v_cmp_ne_u32_e32 vcc, 14, v17
	v_cmp_ne_u32_e64 s[2:3], 13, v17
	v_cmp_ne_u32_e64 s[4:5], 12, v17
	;; [unrolled: 1-line block ×15, first 2 shown]
	v_cndmask_b32_e64 v15, v19, v15, s[30:31]
	v_cndmask_b32_e32 v14, v19, v14, vcc
	v_cndmask_b32_e64 v13, v19, v13, s[2:3]
	v_cndmask_b32_e64 v12, v19, v12, s[4:5]
	;; [unrolled: 1-line block ×14, first 2 shown]
.LBB158_11:
	s_or_b64 exec, exec, s[48:49]
	s_cmp_eq_u32 s36, 1
	s_cbranch_scc1 .LBB158_18
; %bb.12:
	s_add_i32 s50, s50, s33
	s_add_i32 s51, s36, -1
	v_add3_u32 v40, s50, v42, v40
	v_add_u32_e32 v16, 1, v16
	v_add_u32_e32 v18, 1, v18
	;; [unrolled: 1-line block ×3, first 2 shown]
	s_mov_b32 s50, 0x3fb8aa3b
	s_mov_b32 s52, 0xc2ce8ed0
	;; [unrolled: 1-line block ×3, first 2 shown]
	v_mov_b32_e32 v42, 0x7f800000
	v_mov_b32_e32 v44, 0xff800000
	s_branch .LBB158_14
.LBB158_13:                             ;   in Loop: Header=BB158_14 Depth=1
	s_or_b64 exec, exec, s[48:49]
	s_add_i32 s51, s51, -1
	v_add_u32_e32 v40, s33, v40
	v_add_u32_e32 v16, 1, v16
	;; [unrolled: 1-line block ×3, first 2 shown]
	s_cmp_eq_u32 s51, 0
	v_add_u32_e32 v20, 1, v20
	s_cbranch_scc1 .LBB158_18
.LBB158_14:                             ; =>This Inner Loop Header: Depth=1
	v_cmp_gt_f32_e32 vcc, v1, v0
	v_cndmask_b32_e32 v19, v0, v1, vcc
	v_cndmask_b32_e32 v17, v25, v26, vcc
	v_cmp_gt_f32_e32 vcc, v2, v19
	v_cndmask_b32_e32 v19, v19, v2, vcc
	v_cndmask_b32_e32 v17, v17, v27, vcc
	;; [unrolled: 3-line block ×15, first 2 shown]
	s_nop 0
	v_mov_b32_dpp v45, v21 quad_perm:[1,0,3,2] row_mask:0xf bank_mask:0xf
	v_mov_b32_dpp v19, v17 quad_perm:[1,0,3,2] row_mask:0xf bank_mask:0xf
	v_cmp_eq_f32_e64 s[2:3], v17, v19
	v_cmp_lt_i32_e64 s[4:5], v45, v21
	v_cmp_lt_f32_e32 vcc, v17, v19
	s_and_b64 s[2:3], s[2:3], s[4:5]
	s_or_b64 vcc, vcc, s[2:3]
	v_cndmask_b32_e32 v45, v21, v45, vcc
	s_and_saveexec_b64 s[4:5], s[0:1]
	s_cbranch_execz .LBB158_16
; %bb.15:                               ;   in Loop: Header=BB158_14 Depth=1
	v_cndmask_b32_e32 v17, v17, v19, vcc
	v_sub_f32_e32 v17, v17, v43
	v_mul_f32_e32 v19, 0x3fb8aa3b, v17
	v_fma_f32 v21, v17, s50, -v19
	v_rndne_f32_e32 v46, v19
	v_fmac_f32_e32 v21, 0x32a5705f, v17
	v_sub_f32_e32 v19, v19, v46
	v_add_f32_e32 v19, v19, v21
	v_exp_f32_e32 v19, v19
	v_cvt_i32_f32_e32 v21, v46
	v_cmp_le_i32_e32 vcc, s37, v45
	v_cmp_gt_i32_e64 s[2:3], s38, v45
	s_and_b64 s[2:3], vcc, s[2:3]
	v_ldexp_f32 v19, v19, v21
	v_cmp_ngt_f32_e32 vcc, s52, v17
	v_ashrrev_i32_e32 v21, 31, v20
	v_cndmask_b32_e32 v19, 0, v19, vcc
	v_cmp_nlt_f32_e32 vcc, s53, v17
	v_lshlrev_b64 v[46:47], 2, v[20:21]
	v_cndmask_b32_e32 v48, v42, v19, vcc
	v_mov_b32_e32 v17, s35
	v_add_co_u32_e32 v46, vcc, s34, v46
	v_addc_co_u32_e32 v47, vcc, v17, v47, vcc
	v_ashrrev_i32_e32 v19, 31, v18
	global_store_dword v[46:47], v48, off
	v_subrev_u32_e32 v17, s37, v45
	s_and_b64 vcc, s[44:45], s[2:3]
	v_lshlrev_b64 v[46:47], 2, v[18:19]
	v_cndmask_b32_e32 v17, 32, v17, vcc
	s_waitcnt lgkmcnt(0)
	v_mov_b32_e32 v19, s41
	v_add_co_u32_e32 v46, vcc, s40, v46
	v_addc_co_u32_e32 v47, vcc, v19, v47, vcc
	global_store_dword v[46:47], v17, off
	v_ashrrev_i32_e32 v17, 31, v16
	v_lshlrev_b64 v[46:47], 2, v[16:17]
	v_mov_b32_e32 v17, s43
	v_add_co_u32_e32 v46, vcc, s42, v46
	v_addc_co_u32_e32 v47, vcc, v17, v47, vcc
	v_add_f32_e32 v24, v24, v48
	global_store_dword v[46:47], v40, off
.LBB158_16:                             ;   in Loop: Header=BB158_14 Depth=1
	s_or_b64 exec, exec, s[4:5]
	v_ashrrev_i32_e32 v19, 31, v45
	v_lshrrev_b32_e32 v17, 28, v19
	v_add_u32_e32 v21, v45, v17
	v_ashrrev_i32_e32 v17, 4, v21
	v_lshrrev_b32_e32 v21, 31, v21
	v_add_u32_e32 v21, v17, v21
	v_and_b32_e32 v21, -2, v21
	v_sub_u32_e32 v21, v17, v21
	v_cmp_eq_u32_e32 vcc, v23, v21
	s_and_saveexec_b64 s[48:49], vcc
	s_cbranch_execz .LBB158_13
; %bb.17:                               ;   in Loop: Header=BB158_14 Depth=1
	v_lshrrev_b32_e32 v19, 27, v19
	v_add_u32_e32 v19, v45, v19
	v_lshlrev_b32_e32 v17, 4, v17
	v_sub_u32_e32 v17, v45, v17
	v_ashrrev_i32_e32 v19, 5, v19
	v_lshl_add_u32 v17, v19, 4, v17
	v_cmp_ne_u32_e32 vcc, 14, v17
	v_cmp_ne_u32_e64 s[2:3], 13, v17
	v_cmp_ne_u32_e64 s[4:5], 12, v17
	;; [unrolled: 1-line block ×15, first 2 shown]
	v_cndmask_b32_e64 v15, v44, v15, s[30:31]
	v_cndmask_b32_e32 v14, v44, v14, vcc
	v_cndmask_b32_e64 v13, v44, v13, s[2:3]
	v_cndmask_b32_e64 v12, v44, v12, s[4:5]
	;; [unrolled: 1-line block ×14, first 2 shown]
	s_branch .LBB158_13
.LBB158_18:
	v_cmp_neq_f32_e32 vcc, 0, v24
	s_and_b64 s[0:1], s[0:1], vcc
	s_and_b64 exec, exec, s[0:1]
	s_cbranch_execz .LBB158_29
; %bb.19:
	s_andn2_b64 vcc, exec, s[46:47]
	s_cbranch_vccnz .LBB158_29
; %bb.20:
	v_div_scale_f32 v0, s[0:1], v24, v24, 1.0
	v_rcp_f32_e32 v1, v0
	v_div_scale_f32 v2, vcc, 1.0, v24, 1.0
	s_cmp_gt_u32 s36, 3
	v_fma_f32 v3, -v0, v1, 1.0
	v_fmac_f32_e32 v1, v3, v1
	v_mul_f32_e32 v3, v2, v1
	v_fma_f32 v4, -v0, v3, v2
	v_fmac_f32_e32 v3, v4, v1
	v_fma_f32 v0, -v0, v3, v2
	v_div_fmas_f32 v0, v0, v1, v3
	v_mul_lo_u32 v2, v22, s39
	v_div_fixup_f32 v0, v0, v24, 1.0
	v_ashrrev_i32_e32 v3, 31, v2
	s_cbranch_scc0 .LBB158_24
; %bb.21:
	v_lshlrev_b64 v[4:5], 2, v[2:3]
	v_mov_b32_e32 v6, s35
	v_add_co_u32_e32 v4, vcc, s34, v4
	v_addc_co_u32_e32 v5, vcc, v5, v6, vcc
	s_and_b32 s4, s36, 0x7ffffffc
	v_add_co_u32_e32 v4, vcc, 8, v4
	v_mov_b32_e32 v1, v0
	v_addc_co_u32_e32 v5, vcc, 0, v5, vcc
	s_mov_b32 s0, s4
.LBB158_22:                             ; =>This Inner Loop Header: Depth=1
	global_load_dwordx4 v[6:9], v[4:5], off offset:-8
	s_add_i32 s0, s0, -4
	s_cmp_lg_u32 s0, 0
	s_waitcnt vmcnt(0)
	v_pk_mul_f32 v[6:7], v[0:1], v[6:7]
	v_pk_mul_f32 v[8:9], v[0:1], v[8:9]
	global_store_dwordx4 v[4:5], v[6:9], off offset:-8
	v_add_co_u32_e32 v4, vcc, 16, v4
	v_addc_co_u32_e32 v5, vcc, 0, v5, vcc
	s_cbranch_scc1 .LBB158_22
; %bb.23:
	s_cmp_lg_u32 s4, s36
	s_cselect_b64 s[0:1], -1, 0
	s_branch .LBB158_26
.LBB158_24:
	s_mov_b64 s[0:1], 0
                                        ; implicit-def: $sgpr4
	s_cbranch_execz .LBB158_26
; %bb.25:
	s_mov_b64 s[0:1], -1
	s_mov_b32 s4, 0
.LBB158_26:
	s_andn2_b64 vcc, exec, s[0:1]
	s_cbranch_vccnz .LBB158_29
; %bb.27:
	v_add_co_u32_e32 v2, vcc, s4, v2
	v_addc_co_u32_e32 v3, vcc, 0, v3, vcc
	v_lshlrev_b64 v[2:3], 2, v[2:3]
	v_mov_b32_e32 v1, s35
	v_add_co_u32_e32 v2, vcc, s34, v2
	s_sub_i32 s0, s36, s4
	v_addc_co_u32_e32 v3, vcc, v1, v3, vcc
.LBB158_28:                             ; =>This Inner Loop Header: Depth=1
	global_load_dword v1, v[2:3], off
	s_add_i32 s0, s0, -1
	s_cmp_lg_u32 s0, 0
	s_waitcnt vmcnt(0)
	v_mul_f32_e32 v1, v0, v1
	global_store_dword v[2:3], v1, off
	v_add_co_u32_e32 v2, vcc, 4, v2
	v_addc_co_u32_e32 v3, vcc, 0, v3, vcc
	s_cbranch_scc1 .LBB158_28
.LBB158_29:
	s_endpgm
	.section	.rodata,"a",@progbits
	.p2align	6, 0x0
	.amdhsa_kernel _ZN4vllm3moe17topkGatingSoftmaxIDF16_Li16ELi32ELi8ELi32ELb1ELi1ELNS0_23SharedExpertScoringFuncE1EEEvPKT_PKbPfiPiS9_iiiiii
		.amdhsa_group_segment_fixed_size 0
		.amdhsa_private_segment_fixed_size 0
		.amdhsa_kernarg_size 72
		.amdhsa_user_sgpr_count 6
		.amdhsa_user_sgpr_private_segment_buffer 1
		.amdhsa_user_sgpr_dispatch_ptr 0
		.amdhsa_user_sgpr_queue_ptr 0
		.amdhsa_user_sgpr_kernarg_segment_ptr 1
		.amdhsa_user_sgpr_dispatch_id 0
		.amdhsa_user_sgpr_flat_scratch_init 0
		.amdhsa_user_sgpr_kernarg_preload_length 0
		.amdhsa_user_sgpr_kernarg_preload_offset 0
		.amdhsa_user_sgpr_private_segment_size 0
		.amdhsa_uses_dynamic_stack 0
		.amdhsa_system_sgpr_private_segment_wavefront_offset 0
		.amdhsa_system_sgpr_workgroup_id_x 1
		.amdhsa_system_sgpr_workgroup_id_y 0
		.amdhsa_system_sgpr_workgroup_id_z 0
		.amdhsa_system_sgpr_workgroup_info 0
		.amdhsa_system_vgpr_workitem_id 1
		.amdhsa_next_free_vgpr 49
		.amdhsa_next_free_sgpr 54
		.amdhsa_accum_offset 52
		.amdhsa_reserve_vcc 1
		.amdhsa_reserve_flat_scratch 0
		.amdhsa_float_round_mode_32 0
		.amdhsa_float_round_mode_16_64 0
		.amdhsa_float_denorm_mode_32 3
		.amdhsa_float_denorm_mode_16_64 3
		.amdhsa_dx10_clamp 1
		.amdhsa_ieee_mode 1
		.amdhsa_fp16_overflow 0
		.amdhsa_tg_split 0
		.amdhsa_exception_fp_ieee_invalid_op 0
		.amdhsa_exception_fp_denorm_src 0
		.amdhsa_exception_fp_ieee_div_zero 0
		.amdhsa_exception_fp_ieee_overflow 0
		.amdhsa_exception_fp_ieee_underflow 0
		.amdhsa_exception_fp_ieee_inexact 0
		.amdhsa_exception_int_div_zero 0
	.end_amdhsa_kernel
	.section	.text._ZN4vllm3moe17topkGatingSoftmaxIDF16_Li16ELi32ELi8ELi32ELb1ELi1ELNS0_23SharedExpertScoringFuncE1EEEvPKT_PKbPfiPiS9_iiiiii,"axG",@progbits,_ZN4vllm3moe17topkGatingSoftmaxIDF16_Li16ELi32ELi8ELi32ELb1ELi1ELNS0_23SharedExpertScoringFuncE1EEEvPKT_PKbPfiPiS9_iiiiii,comdat
.Lfunc_end158:
	.size	_ZN4vllm3moe17topkGatingSoftmaxIDF16_Li16ELi32ELi8ELi32ELb1ELi1ELNS0_23SharedExpertScoringFuncE1EEEvPKT_PKbPfiPiS9_iiiiii, .Lfunc_end158-_ZN4vllm3moe17topkGatingSoftmaxIDF16_Li16ELi32ELi8ELi32ELb1ELi1ELNS0_23SharedExpertScoringFuncE1EEEvPKT_PKbPfiPiS9_iiiiii
                                        ; -- End function
	.section	.AMDGPU.csdata,"",@progbits
; Kernel info:
; codeLenInByte = 2744
; NumSgprs: 58
; NumVgprs: 49
; NumAgprs: 0
; TotalNumVgprs: 49
; ScratchSize: 0
; MemoryBound: 0
; FloatMode: 240
; IeeeMode: 1
; LDSByteSize: 0 bytes/workgroup (compile time only)
; SGPRBlocks: 7
; VGPRBlocks: 6
; NumSGPRsForWavesPerEU: 58
; NumVGPRsForWavesPerEU: 49
; AccumOffset: 52
; Occupancy: 8
; WaveLimiterHint : 0
; COMPUTE_PGM_RSRC2:SCRATCH_EN: 0
; COMPUTE_PGM_RSRC2:USER_SGPR: 6
; COMPUTE_PGM_RSRC2:TRAP_HANDLER: 0
; COMPUTE_PGM_RSRC2:TGID_X_EN: 1
; COMPUTE_PGM_RSRC2:TGID_Y_EN: 0
; COMPUTE_PGM_RSRC2:TGID_Z_EN: 0
; COMPUTE_PGM_RSRC2:TIDIG_COMP_CNT: 1
; COMPUTE_PGM_RSRC3_GFX90A:ACCUM_OFFSET: 12
; COMPUTE_PGM_RSRC3_GFX90A:TG_SPLIT: 0
	.section	.text._ZN4vllm3moe17topkGatingSoftmaxIDF16_Li16ELi32ELi8ELi32ELb0ELi1ELNS0_23SharedExpertScoringFuncE1EEEvPKT_PKbPfiPiS9_iiiiii,"axG",@progbits,_ZN4vllm3moe17topkGatingSoftmaxIDF16_Li16ELi32ELi8ELi32ELb0ELi1ELNS0_23SharedExpertScoringFuncE1EEEvPKT_PKbPfiPiS9_iiiiii,comdat
	.protected	_ZN4vllm3moe17topkGatingSoftmaxIDF16_Li16ELi32ELi8ELi32ELb0ELi1ELNS0_23SharedExpertScoringFuncE1EEEvPKT_PKbPfiPiS9_iiiiii ; -- Begin function _ZN4vllm3moe17topkGatingSoftmaxIDF16_Li16ELi32ELi8ELi32ELb0ELi1ELNS0_23SharedExpertScoringFuncE1EEEvPKT_PKbPfiPiS9_iiiiii
	.globl	_ZN4vllm3moe17topkGatingSoftmaxIDF16_Li16ELi32ELi8ELi32ELb0ELi1ELNS0_23SharedExpertScoringFuncE1EEEvPKT_PKbPfiPiS9_iiiiii
	.p2align	8
	.type	_ZN4vllm3moe17topkGatingSoftmaxIDF16_Li16ELi32ELi8ELi32ELb0ELi1ELNS0_23SharedExpertScoringFuncE1EEEvPKT_PKbPfiPiS9_iiiiii,@function
_ZN4vllm3moe17topkGatingSoftmaxIDF16_Li16ELi32ELi8ELi32ELb0ELi1ELNS0_23SharedExpertScoringFuncE1EEEvPKT_PKbPfiPiS9_iiiiii: ; @_ZN4vllm3moe17topkGatingSoftmaxIDF16_Li16ELi32ELi8ELi32ELb0ELi1ELNS0_23SharedExpertScoringFuncE1EEEvPKT_PKbPfiPiS9_iiiiii
; %bb.0:
	s_load_dword s33, s[4:5], 0x18
	v_bfe_u32 v1, v0, 10, 10
	v_and_b32_e32 v2, 0x3ff, v0
	s_lshl_b32 s50, s6, 8
	v_lshlrev_b32_e32 v39, 5, v1
	v_lshrrev_b32_e32 v40, 1, v2
	v_add3_u32 v22, s50, v39, v40
	s_waitcnt lgkmcnt(0)
	v_cmp_gt_i32_e32 vcc, s33, v22
	s_and_saveexec_b64 s[0:1], vcc
	s_cbranch_execz .LBB159_31
; %bb.1:
	s_load_dwordx4 s[0:3], s[4:5], 0x0
	s_load_dwordx2 s[34:35], s[4:5], 0x10
	s_waitcnt lgkmcnt(0)
	s_cmp_eq_u64 s[2:3], 0
	s_cbranch_scc1 .LBB159_3
; %bb.2:
	v_ashrrev_i32_e32 v1, 31, v22
	v_mov_b32_e32 v3, s3
	v_add_co_u32_e32 v0, vcc, s2, v22
	v_addc_co_u32_e32 v1, vcc, v3, v1, vcc
	global_load_ubyte v0, v[0:1], off
	s_waitcnt vmcnt(0)
	v_and_b32_e32 v0, 1, v0
	v_cmp_eq_u32_e32 vcc, 1, v0
	s_xor_b64 s[2:3], vcc, -1
	s_orn2_b64 s[46:47], s[2:3], exec
	s_branch .LBB159_4
.LBB159_3:
	s_mov_b64 s[46:47], -1
.LBB159_4:
	s_load_dwordx2 s[8:9], s[4:5], 0x40
	s_load_dwordx4 s[36:39], s[4:5], 0x30
	v_mov_b32_e32 v3, s1
	v_and_b32_e32 v25, 1, v2
	v_lshlrev_b32_e32 v2, 5, v25
	s_waitcnt lgkmcnt(0)
	v_mul_lo_u32 v0, v22, s9
	v_ashrrev_i32_e32 v1, 31, v0
	v_lshlrev_b64 v[0:1], 1, v[0:1]
	v_add_co_u32_e32 v0, vcc, s0, v0
	v_addc_co_u32_e32 v1, vcc, v3, v1, vcc
	v_add_co_u32_e32 v2, vcc, v0, v2
	v_addc_co_u32_e32 v3, vcc, 0, v1, vcc
	global_load_dwordx4 v[12:15], v[2:3], off offset:16
	global_load_dwordx4 v[4:7], v[2:3], off
	v_lshlrev_b32_e32 v26, 4, v25
	v_mov_b32_e32 v23, 0
	v_cmp_eq_u32_e64 s[0:1], 0, v25
	s_and_saveexec_b64 s[2:3], s[0:1]
	s_cbranch_execz .LBB159_6
; %bb.5:
	global_load_ushort v0, v[0:1], off offset:64
	s_mov_b32 s6, 0x3fb8aa3b
	s_mov_b32 s7, 0x32a5705f
	s_mov_b32 s9, 0xc2ce8ed0
	s_mov_b32 s10, 0x42b17218
	v_mov_b32_e32 v3, 0x7f800000
	v_mul_lo_u32 v1, v22, s39
	s_waitcnt vmcnt(0)
	v_cvt_f32_f16_e64 v2, -v0
	v_mul_f32_e32 v8, 0x3fb8aa3b, v2
	v_rndne_f32_e32 v9, v8
	v_fma_mix_f32 v10, -v0, s6, -v8 op_sel_hi:[1,0,0]
	v_sub_f32_e32 v8, v8, v9
	v_fma_mix_f32 v0, -v0, s7, v10 op_sel_hi:[1,0,0]
	v_add_f32_e32 v0, v8, v0
	v_cvt_i32_f32_e32 v9, v9
	v_exp_f32_e32 v8, v0
	v_cmp_ngt_f32_e32 vcc, s9, v2
	v_add_u32_e32 v0, s36, v1
	v_ashrrev_i32_e32 v1, 31, v0
	v_ldexp_f32 v8, v8, v9
	v_cndmask_b32_e32 v8, 0, v8, vcc
	v_cmp_nlt_f32_e32 vcc, s10, v2
	v_cndmask_b32_e32 v2, v3, v8, vcc
	v_add_f32_e32 v2, 1.0, v2
	v_div_scale_f32 v3, s[6:7], v2, v2, 1.0
	v_rcp_f32_e32 v8, v3
	v_div_scale_f32 v9, vcc, 1.0, v2, 1.0
	v_lshlrev_b64 v[0:1], 2, v[0:1]
	v_fma_f32 v11, -v3, v8, 1.0
	v_fmac_f32_e32 v8, v11, v8
	v_mul_f32_e32 v11, v9, v8
	v_fma_f32 v16, -v3, v11, v9
	v_fmac_f32_e32 v11, v16, v8
	v_fma_f32 v3, -v3, v11, v9
	v_mov_b32_e32 v10, s35
	v_div_fmas_f32 v3, v3, v8, v11
	v_add_co_u32_e32 v0, vcc, s34, v0
	v_div_fixup_f32 v2, v3, v2, 1.0
	v_addc_co_u32_e32 v1, vcc, v10, v1, vcc
	global_store_dword v[0:1], v2, off
.LBB159_6:
	s_or_b64 exec, exec, s[2:3]
	s_waitcnt vmcnt(0)
	v_cvt_f32_f16_e32 v0, v4
	v_cvt_f32_f16_sdwa v1, v4 dst_sel:DWORD dst_unused:UNUSED_PAD src0_sel:WORD_1
	v_cvt_f32_f16_e32 v2, v5
	v_cmp_lt_f16_sdwa vcc, v4, v4 src0_sel:DWORD src1_sel:WORD_1
	v_or_b32_e32 v27, 1, v26
	v_cndmask_b32_e32 v4, v0, v1, vcc
	v_cndmask_b32_e32 v3, v26, v27, vcc
	v_or_b32_e32 v28, 2, v26
	v_cmp_lt_f32_e32 vcc, v4, v2
	v_cndmask_b32_e32 v8, v3, v28, vcc
	v_cvt_f32_f16_sdwa v3, v5 dst_sel:DWORD dst_unused:UNUSED_PAD src0_sel:WORD_1
	v_cndmask_b32_e32 v4, v4, v2, vcc
	v_or_b32_e32 v29, 3, v26
	v_or_b32_e32 v30, 4, v26
	v_cmp_lt_f32_e32 vcc, v4, v3
	v_cndmask_b32_e32 v5, v8, v29, vcc
	v_cndmask_b32_e32 v8, v4, v3, vcc
	v_cvt_f32_f16_e32 v4, v6
	v_or_b32_e32 v31, 5, v26
	v_or_b32_e32 v32, 6, v26
	;; [unrolled: 1-line block ×3, first 2 shown]
	v_cmp_lt_f32_e32 vcc, v8, v4
	v_cndmask_b32_e32 v9, v5, v30, vcc
	v_cvt_f32_f16_sdwa v5, v6 dst_sel:DWORD dst_unused:UNUSED_PAD src0_sel:WORD_1
	v_cvt_f32_f16_e32 v6, v7
	v_cndmask_b32_e32 v8, v8, v4, vcc
	v_cvt_f32_f16_sdwa v7, v7 dst_sel:DWORD dst_unused:UNUSED_PAD src0_sel:WORD_1
	v_cmp_lt_f32_e32 vcc, v8, v5
	v_cndmask_b32_e32 v8, v8, v5, vcc
	v_cndmask_b32_e32 v9, v9, v31, vcc
	v_cmp_lt_f32_e32 vcc, v8, v6
	v_cndmask_b32_e32 v8, v8, v6, vcc
	v_cndmask_b32_e32 v9, v9, v32, vcc
	v_cmp_lt_f32_e32 vcc, v8, v7
	v_cndmask_b32_e32 v10, v8, v7, vcc
	v_cvt_f32_f16_e32 v8, v12
	v_cndmask_b32_e32 v9, v9, v33, vcc
	v_or_b32_e32 v34, 8, v26
	v_or_b32_e32 v35, 9, v26
	v_cmp_lt_f32_e32 vcc, v10, v8
	v_cndmask_b32_e32 v11, v9, v34, vcc
	v_cvt_f32_f16_sdwa v9, v12 dst_sel:DWORD dst_unused:UNUSED_PAD src0_sel:WORD_1
	v_cndmask_b32_e32 v10, v10, v8, vcc
	v_or_b32_e32 v36, 10, v26
	v_or_b32_e32 v37, 11, v26
	v_cmp_lt_f32_e32 vcc, v10, v9
	v_cndmask_b32_e32 v12, v10, v9, vcc
	v_cvt_f32_f16_e32 v10, v13
	v_cndmask_b32_e32 v11, v11, v35, vcc
	v_or_b32_e32 v38, 12, v26
	v_or_b32_e32 v41, 13, v26
	v_cmp_lt_f32_e32 vcc, v12, v10
	v_cndmask_b32_e32 v16, v11, v36, vcc
	v_cvt_f32_f16_sdwa v11, v13 dst_sel:DWORD dst_unused:UNUSED_PAD src0_sel:WORD_1
	v_cndmask_b32_e32 v12, v12, v10, vcc
	v_or_b32_e32 v42, 14, v26
	v_or_b32_e32 v43, 15, v26
	v_cmp_lt_f32_e32 vcc, v12, v11
	v_cndmask_b32_e32 v13, v16, v37, vcc
	v_cndmask_b32_e32 v16, v12, v11, vcc
	v_cvt_f32_f16_e32 v12, v14
	v_cmp_lt_f32_e32 vcc, v16, v12
	v_cndmask_b32_e32 v17, v13, v38, vcc
	v_cvt_f32_f16_sdwa v13, v14 dst_sel:DWORD dst_unused:UNUSED_PAD src0_sel:WORD_1
	v_cvt_f32_f16_e32 v14, v15
	v_cndmask_b32_e32 v16, v16, v12, vcc
	v_cvt_f32_f16_sdwa v15, v15 dst_sel:DWORD dst_unused:UNUSED_PAD src0_sel:WORD_1
	v_cmp_lt_f32_e32 vcc, v16, v13
	v_cndmask_b32_e32 v16, v16, v13, vcc
	v_cndmask_b32_e32 v17, v17, v41, vcc
	v_cmp_lt_f32_e32 vcc, v16, v14
	v_cndmask_b32_e32 v18, v16, v14, vcc
	v_cndmask_b32_e32 v17, v17, v42, vcc
	v_cmp_lt_f32_e32 vcc, v18, v15
	v_cndmask_b32_e32 v16, v17, v43, vcc
	v_cndmask_b32_e32 v18, v18, v15, vcc
	s_nop 0
	v_mov_b32_dpp v17, v16 quad_perm:[1,0,3,2] row_mask:0xf bank_mask:0xf
	v_mov_b32_dpp v19, v18 quad_perm:[1,0,3,2] row_mask:0xf bank_mask:0xf
	v_cmp_eq_f32_e64 s[2:3], v18, v19
	v_cmp_lt_i32_e64 s[6:7], v17, v16
	v_cmp_lt_f32_e32 vcc, v18, v19
	s_and_b64 s[2:3], s[2:3], s[6:7]
	s_or_b64 s[2:3], vcc, s[2:3]
	s_cmp_gt_i32 s36, 0
	s_cselect_b64 s[44:45], -1, 0
	v_cndmask_b32_e64 v24, v18, v19, s[2:3]
	s_and_b64 vcc, exec, s[44:45]
	s_cbranch_vccz .LBB159_18
; %bb.7:
	s_load_dwordx4 s[40:43], s[4:5], 0x20
	v_cndmask_b32_e64 v44, v16, v17, s[2:3]
	v_mul_lo_u32 v20, v22, s39
	v_mul_lo_u32 v18, v22, s8
	;; [unrolled: 1-line block ×3, first 2 shown]
	v_mov_b32_e32 v23, 0
	s_and_saveexec_b64 s[4:5], s[0:1]
	s_cbranch_execz .LBB159_9
; %bb.8:
	v_sub_f32_e32 v17, v24, v24
	v_mul_f32_e32 v19, 0x3fb8aa3b, v17
	s_mov_b32 s2, 0x3fb8aa3b
	v_rndne_f32_e32 v21, v19
	v_sub_f32_e32 v23, v19, v21
	v_fma_f32 v19, v17, s2, -v19
	v_fmac_f32_e32 v19, 0x32a5705f, v17
	v_add_f32_e32 v19, v23, v19
	v_exp_f32_e32 v19, v19
	v_cvt_i32_f32_e32 v21, v21
	v_cmp_le_i32_e32 vcc, s37, v44
	v_cmp_gt_i32_e64 s[2:3], s38, v44
	s_mov_b32 s6, 0xc2ce8ed0
	s_and_b64 s[2:3], vcc, s[2:3]
	v_ldexp_f32 v19, v19, v21
	v_cmp_ngt_f32_e32 vcc, s6, v17
	s_mov_b32 s6, 0x42b17218
	v_cndmask_b32_e32 v19, 0, v19, vcc
	v_mov_b32_e32 v21, 0x7f800000
	v_cmp_nlt_f32_e32 vcc, s6, v17
	v_cndmask_b32_e32 v23, v21, v19, vcc
	v_ashrrev_i32_e32 v21, 31, v20
	v_lshlrev_b64 v[46:47], 2, v[20:21]
	v_mov_b32_e32 v17, s35
	v_add_co_u32_e32 v46, vcc, s34, v46
	v_addc_co_u32_e32 v47, vcc, v17, v47, vcc
	v_ashrrev_i32_e32 v19, 31, v18
	global_store_dword v[46:47], v23, off
	v_subrev_u32_e32 v17, s37, v44
	s_and_b64 vcc, s[46:47], s[2:3]
	v_lshlrev_b64 v[46:47], 2, v[18:19]
	v_cndmask_b32_e32 v17, 32, v17, vcc
	s_waitcnt lgkmcnt(0)
	v_mov_b32_e32 v19, s41
	v_add_co_u32_e32 v46, vcc, s40, v46
	v_addc_co_u32_e32 v47, vcc, v19, v47, vcc
	global_store_dword v[46:47], v17, off
	v_ashrrev_i32_e32 v17, 31, v16
	v_lshlrev_b64 v[46:47], 2, v[16:17]
	v_mov_b32_e32 v17, s43
	v_add_co_u32_e32 v46, vcc, s42, v46
	v_addc_co_u32_e32 v47, vcc, v17, v47, vcc
	global_store_dword v[46:47], v22, off
.LBB159_9:
	s_or_b64 exec, exec, s[4:5]
	v_ashrrev_i32_e32 v19, 31, v44
	v_lshrrev_b32_e32 v17, 28, v19
	v_add_u32_e32 v21, v44, v17
	v_ashrrev_i32_e32 v17, 4, v21
	v_lshrrev_b32_e32 v21, 31, v21
	v_add_u32_e32 v21, v17, v21
	v_and_b32_e32 v21, -2, v21
	v_sub_u32_e32 v21, v17, v21
	v_cmp_eq_u32_e32 vcc, v25, v21
	s_and_saveexec_b64 s[48:49], vcc
	s_cbranch_execz .LBB159_11
; %bb.10:
	v_lshrrev_b32_e32 v19, 27, v19
	v_add_u32_e32 v19, v44, v19
	v_lshlrev_b32_e32 v17, 4, v17
	v_sub_u32_e32 v17, v44, v17
	v_ashrrev_i32_e32 v19, 5, v19
	v_lshl_add_u32 v17, v19, 4, v17
	v_mov_b32_e32 v19, 0xff800000
	v_cmp_ne_u32_e32 vcc, 14, v17
	v_cmp_ne_u32_e64 s[2:3], 13, v17
	v_cmp_ne_u32_e64 s[4:5], 12, v17
	;; [unrolled: 1-line block ×15, first 2 shown]
	v_cndmask_b32_e64 v15, v19, v15, s[30:31]
	v_cndmask_b32_e32 v14, v19, v14, vcc
	v_cndmask_b32_e64 v13, v19, v13, s[2:3]
	v_cndmask_b32_e64 v12, v19, v12, s[4:5]
	;; [unrolled: 1-line block ×14, first 2 shown]
.LBB159_11:
	s_or_b64 exec, exec, s[48:49]
	s_cmp_eq_u32 s36, 1
	s_cbranch_scc1 .LBB159_18
; %bb.12:
	s_add_i32 s50, s50, s33
	s_add_i32 s51, s36, -1
	v_add3_u32 v39, s50, v40, v39
	v_add_u32_e32 v16, 1, v16
	v_add_u32_e32 v18, 1, v18
	;; [unrolled: 1-line block ×3, first 2 shown]
	s_mov_b32 s50, 0x3fb8aa3b
	s_mov_b32 s52, 0xc2ce8ed0
	;; [unrolled: 1-line block ×3, first 2 shown]
	v_mov_b32_e32 v40, 0x7f800000
	v_mov_b32_e32 v44, 0xff800000
	s_branch .LBB159_14
.LBB159_13:                             ;   in Loop: Header=BB159_14 Depth=1
	s_or_b64 exec, exec, s[48:49]
	s_add_i32 s51, s51, -1
	v_add_u32_e32 v39, s33, v39
	v_add_u32_e32 v16, 1, v16
	;; [unrolled: 1-line block ×3, first 2 shown]
	s_cmp_eq_u32 s51, 0
	v_add_u32_e32 v20, 1, v20
	s_cbranch_scc1 .LBB159_18
.LBB159_14:                             ; =>This Inner Loop Header: Depth=1
	v_cmp_gt_f32_e32 vcc, v1, v0
	v_cndmask_b32_e32 v19, v0, v1, vcc
	v_cndmask_b32_e32 v17, v26, v27, vcc
	v_cmp_gt_f32_e32 vcc, v2, v19
	v_cndmask_b32_e32 v19, v19, v2, vcc
	v_cndmask_b32_e32 v17, v17, v28, vcc
	;; [unrolled: 3-line block ×15, first 2 shown]
	s_nop 0
	v_mov_b32_dpp v45, v21 quad_perm:[1,0,3,2] row_mask:0xf bank_mask:0xf
	v_mov_b32_dpp v19, v17 quad_perm:[1,0,3,2] row_mask:0xf bank_mask:0xf
	v_cmp_eq_f32_e64 s[2:3], v17, v19
	v_cmp_lt_i32_e64 s[4:5], v45, v21
	v_cmp_lt_f32_e32 vcc, v17, v19
	s_and_b64 s[2:3], s[2:3], s[4:5]
	s_or_b64 vcc, vcc, s[2:3]
	v_cndmask_b32_e32 v45, v21, v45, vcc
	s_and_saveexec_b64 s[4:5], s[0:1]
	s_cbranch_execz .LBB159_16
; %bb.15:                               ;   in Loop: Header=BB159_14 Depth=1
	v_cndmask_b32_e32 v17, v17, v19, vcc
	v_sub_f32_e32 v17, v17, v24
	v_mul_f32_e32 v19, 0x3fb8aa3b, v17
	v_fma_f32 v21, v17, s50, -v19
	v_rndne_f32_e32 v46, v19
	v_fmac_f32_e32 v21, 0x32a5705f, v17
	v_sub_f32_e32 v19, v19, v46
	v_add_f32_e32 v19, v19, v21
	v_exp_f32_e32 v19, v19
	v_cvt_i32_f32_e32 v21, v46
	v_cmp_le_i32_e32 vcc, s37, v45
	v_cmp_gt_i32_e64 s[2:3], s38, v45
	s_and_b64 s[2:3], vcc, s[2:3]
	v_ldexp_f32 v19, v19, v21
	v_cmp_ngt_f32_e32 vcc, s52, v17
	v_ashrrev_i32_e32 v21, 31, v20
	v_cndmask_b32_e32 v19, 0, v19, vcc
	v_cmp_nlt_f32_e32 vcc, s53, v17
	v_lshlrev_b64 v[46:47], 2, v[20:21]
	v_cndmask_b32_e32 v48, v40, v19, vcc
	v_mov_b32_e32 v17, s35
	v_add_co_u32_e32 v46, vcc, s34, v46
	v_addc_co_u32_e32 v47, vcc, v17, v47, vcc
	v_ashrrev_i32_e32 v19, 31, v18
	global_store_dword v[46:47], v48, off
	v_subrev_u32_e32 v17, s37, v45
	s_and_b64 vcc, s[46:47], s[2:3]
	v_lshlrev_b64 v[46:47], 2, v[18:19]
	v_cndmask_b32_e32 v17, 32, v17, vcc
	s_waitcnt lgkmcnt(0)
	v_mov_b32_e32 v19, s41
	v_add_co_u32_e32 v46, vcc, s40, v46
	v_addc_co_u32_e32 v47, vcc, v19, v47, vcc
	global_store_dword v[46:47], v17, off
	v_ashrrev_i32_e32 v17, 31, v16
	v_lshlrev_b64 v[46:47], 2, v[16:17]
	v_mov_b32_e32 v17, s43
	v_add_co_u32_e32 v46, vcc, s42, v46
	v_addc_co_u32_e32 v47, vcc, v17, v47, vcc
	v_add_f32_e32 v23, v23, v48
	global_store_dword v[46:47], v39, off
.LBB159_16:                             ;   in Loop: Header=BB159_14 Depth=1
	s_or_b64 exec, exec, s[4:5]
	v_ashrrev_i32_e32 v19, 31, v45
	v_lshrrev_b32_e32 v17, 28, v19
	v_add_u32_e32 v21, v45, v17
	v_ashrrev_i32_e32 v17, 4, v21
	v_lshrrev_b32_e32 v21, 31, v21
	v_add_u32_e32 v21, v17, v21
	v_and_b32_e32 v21, -2, v21
	v_sub_u32_e32 v21, v17, v21
	v_cmp_eq_u32_e32 vcc, v25, v21
	s_and_saveexec_b64 s[48:49], vcc
	s_cbranch_execz .LBB159_13
; %bb.17:                               ;   in Loop: Header=BB159_14 Depth=1
	v_lshrrev_b32_e32 v19, 27, v19
	v_add_u32_e32 v19, v45, v19
	v_lshlrev_b32_e32 v17, 4, v17
	v_sub_u32_e32 v17, v45, v17
	v_ashrrev_i32_e32 v19, 5, v19
	v_lshl_add_u32 v17, v19, 4, v17
	v_cmp_ne_u32_e32 vcc, 14, v17
	v_cmp_ne_u32_e64 s[2:3], 13, v17
	v_cmp_ne_u32_e64 s[4:5], 12, v17
	;; [unrolled: 1-line block ×15, first 2 shown]
	v_cndmask_b32_e64 v15, v44, v15, s[30:31]
	v_cndmask_b32_e32 v14, v44, v14, vcc
	v_cndmask_b32_e64 v13, v44, v13, s[2:3]
	v_cndmask_b32_e64 v12, v44, v12, s[4:5]
	;; [unrolled: 1-line block ×14, first 2 shown]
	s_branch .LBB159_13
.LBB159_18:
	v_sub_f32_e32 v0, v0, v24
	s_mov_b32 s4, 0x3fb8aa3b
	v_mul_f32_e32 v16, 0x3fb8aa3b, v0
	v_fma_f32 v17, v0, s4, -v16
	v_rndne_f32_e32 v18, v16
	v_fmac_f32_e32 v17, 0x32a5705f, v0
	v_sub_f32_e32 v16, v16, v18
	v_add_f32_e32 v16, v16, v17
	v_exp_f32_e32 v16, v16
	v_cvt_i32_f32_e32 v17, v18
	v_sub_f32_e32 v1, v1, v24
	s_mov_b32 s6, 0xc2ce8ed0
	s_mov_b32 s5, 0x42b17218
	v_ldexp_f32 v16, v16, v17
	v_mul_f32_e32 v17, 0x3fb8aa3b, v1
	v_fma_f32 v18, v1, s4, -v17
	v_rndne_f32_e32 v19, v17
	v_fmac_f32_e32 v18, 0x32a5705f, v1
	v_sub_f32_e32 v17, v17, v19
	v_add_f32_e32 v17, v17, v18
	v_exp_f32_e32 v17, v17
	v_cvt_i32_f32_e32 v18, v19
	v_cmp_ngt_f32_e32 vcc, s6, v1
	v_cmp_ngt_f32_e64 s[2:3], s6, v0
	v_sub_f32_e32 v2, v2, v24
	v_ldexp_f32 v17, v17, v18
	v_cndmask_b32_e32 v17, 0, v17, vcc
	v_mov_b32_e32 v18, 0x7f800000
	v_cmp_nlt_f32_e32 vcc, s5, v1
	v_cndmask_b32_e64 v1, 0, v16, s[2:3]
	v_cmp_nlt_f32_e64 s[2:3], s5, v0
	v_cndmask_b32_e64 v0, v18, v1, s[2:3]
	v_cndmask_b32_e32 v1, v18, v17, vcc
	v_add_f32_e32 v0, v0, v1
	v_mul_f32_e32 v1, 0x3fb8aa3b, v2
	v_fma_f32 v16, v2, s4, -v1
	v_rndne_f32_e32 v17, v1
	v_fmac_f32_e32 v16, 0x32a5705f, v2
	v_sub_f32_e32 v1, v1, v17
	v_add_f32_e32 v1, v1, v16
	v_exp_f32_e32 v1, v1
	v_cvt_i32_f32_e32 v16, v17
	v_cmp_ngt_f32_e32 vcc, s6, v2
	v_sub_f32_e32 v3, v3, v24
	v_sub_f32_e32 v4, v4, v24
	v_ldexp_f32 v1, v1, v16
	v_cndmask_b32_e32 v1, 0, v1, vcc
	v_cmp_nlt_f32_e32 vcc, s5, v2
	v_cndmask_b32_e32 v1, v18, v1, vcc
	v_add_f32_e32 v0, v0, v1
	v_mul_f32_e32 v1, 0x3fb8aa3b, v3
	v_fma_f32 v2, v3, s4, -v1
	v_rndne_f32_e32 v16, v1
	v_fmac_f32_e32 v2, 0x32a5705f, v3
	v_sub_f32_e32 v1, v1, v16
	v_add_f32_e32 v1, v1, v2
	v_exp_f32_e32 v1, v1
	v_cvt_i32_f32_e32 v2, v16
	v_cmp_ngt_f32_e32 vcc, s6, v3
	v_sub_f32_e32 v5, v5, v24
	v_sub_f32_e32 v6, v6, v24
	v_ldexp_f32 v1, v1, v2
	v_cndmask_b32_e32 v1, 0, v1, vcc
	v_cmp_nlt_f32_e32 vcc, s5, v3
	v_cndmask_b32_e32 v1, v18, v1, vcc
	v_add_f32_e32 v0, v0, v1
	v_mul_f32_e32 v1, 0x3fb8aa3b, v4
	v_fma_f32 v2, v4, s4, -v1
	v_rndne_f32_e32 v3, v1
	v_fmac_f32_e32 v2, 0x32a5705f, v4
	v_sub_f32_e32 v1, v1, v3
	v_add_f32_e32 v1, v1, v2
	v_exp_f32_e32 v1, v1
	v_cvt_i32_f32_e32 v2, v3
	v_cmp_ngt_f32_e32 vcc, s6, v4
	v_sub_f32_e32 v7, v7, v24
	v_sub_f32_e32 v8, v8, v24
	v_ldexp_f32 v1, v1, v2
	v_cndmask_b32_e32 v1, 0, v1, vcc
	v_cmp_nlt_f32_e32 vcc, s5, v4
	v_cndmask_b32_e32 v1, v18, v1, vcc
	v_add_f32_e32 v0, v0, v1
	v_mul_f32_e32 v1, 0x3fb8aa3b, v5
	v_fma_f32 v2, v5, s4, -v1
	v_rndne_f32_e32 v3, v1
	v_fmac_f32_e32 v2, 0x32a5705f, v5
	v_sub_f32_e32 v1, v1, v3
	v_add_f32_e32 v1, v1, v2
	v_exp_f32_e32 v1, v1
	v_cvt_i32_f32_e32 v2, v3
	v_cmp_ngt_f32_e32 vcc, s6, v5
	v_sub_f32_e32 v9, v9, v24
	v_sub_f32_e32 v10, v10, v24
	v_ldexp_f32 v1, v1, v2
	v_cndmask_b32_e32 v1, 0, v1, vcc
	v_cmp_nlt_f32_e32 vcc, s5, v5
	v_cndmask_b32_e32 v1, v18, v1, vcc
	v_add_f32_e32 v0, v0, v1
	v_mul_f32_e32 v1, 0x3fb8aa3b, v6
	v_fma_f32 v2, v6, s4, -v1
	v_rndne_f32_e32 v3, v1
	v_fmac_f32_e32 v2, 0x32a5705f, v6
	v_sub_f32_e32 v1, v1, v3
	v_add_f32_e32 v1, v1, v2
	v_exp_f32_e32 v1, v1
	v_cvt_i32_f32_e32 v2, v3
	v_cmp_ngt_f32_e32 vcc, s6, v6
	v_sub_f32_e32 v11, v11, v24
	v_sub_f32_e32 v12, v12, v24
	v_ldexp_f32 v1, v1, v2
	v_mul_f32_e32 v2, 0x3fb8aa3b, v7
	v_fma_f32 v3, v7, s4, -v2
	v_rndne_f32_e32 v4, v2
	v_fmac_f32_e32 v3, 0x32a5705f, v7
	v_sub_f32_e32 v2, v2, v4
	v_add_f32_e32 v2, v2, v3
	v_exp_f32_e32 v2, v2
	v_cvt_i32_f32_e32 v3, v4
	v_cndmask_b32_e32 v1, 0, v1, vcc
	v_cmp_nlt_f32_e32 vcc, s5, v6
	v_cndmask_b32_e32 v1, v18, v1, vcc
	v_add_f32_e32 v0, v0, v1
	v_ldexp_f32 v1, v2, v3
	v_mul_f32_e32 v2, 0x3fb8aa3b, v8
	v_fma_f32 v3, v8, s4, -v2
	v_rndne_f32_e32 v4, v2
	v_fmac_f32_e32 v3, 0x32a5705f, v8
	v_sub_f32_e32 v2, v2, v4
	v_add_f32_e32 v2, v2, v3
	v_exp_f32_e32 v2, v2
	v_cvt_i32_f32_e32 v3, v4
	v_cmp_ngt_f32_e32 vcc, s6, v7
	v_cndmask_b32_e32 v1, 0, v1, vcc
	v_cmp_nlt_f32_e32 vcc, s5, v7
	v_cndmask_b32_e32 v1, v18, v1, vcc
	v_add_f32_e32 v0, v0, v1
	v_ldexp_f32 v1, v2, v3
	v_mul_f32_e32 v2, 0x3fb8aa3b, v9
	v_fma_f32 v3, v9, s4, -v2
	v_rndne_f32_e32 v4, v2
	v_fmac_f32_e32 v3, 0x32a5705f, v9
	v_sub_f32_e32 v2, v2, v4
	v_add_f32_e32 v2, v2, v3
	v_exp_f32_e32 v2, v2
	v_cvt_i32_f32_e32 v3, v4
	v_cmp_ngt_f32_e32 vcc, s6, v8
	;; [unrolled: 14-line block ×5, first 2 shown]
	v_cndmask_b32_e32 v1, 0, v1, vcc
	v_cmp_nlt_f32_e32 vcc, s5, v11
	v_cndmask_b32_e32 v1, v18, v1, vcc
	v_add_f32_e32 v0, v0, v1
	v_ldexp_f32 v1, v2, v3
	v_sub_f32_e32 v2, v13, v24
	v_mul_f32_e32 v3, 0x3fb8aa3b, v2
	v_fma_f32 v4, v2, s4, -v3
	v_rndne_f32_e32 v5, v3
	v_fmac_f32_e32 v4, 0x32a5705f, v2
	v_sub_f32_e32 v3, v3, v5
	v_add_f32_e32 v3, v3, v4
	v_exp_f32_e32 v3, v3
	v_cvt_i32_f32_e32 v4, v5
	v_cmp_ngt_f32_e32 vcc, s6, v12
	v_cndmask_b32_e32 v1, 0, v1, vcc
	v_cmp_nlt_f32_e32 vcc, s5, v12
	v_cndmask_b32_e32 v1, v18, v1, vcc
	v_add_f32_e32 v0, v0, v1
	v_ldexp_f32 v1, v3, v4
	v_sub_f32_e32 v3, v14, v24
	v_mul_f32_e32 v4, 0x3fb8aa3b, v3
	v_fma_f32 v5, v3, s4, -v4
	v_rndne_f32_e32 v6, v4
	v_fmac_f32_e32 v5, 0x32a5705f, v3
	v_sub_f32_e32 v4, v4, v6
	v_add_f32_e32 v4, v4, v5
	v_exp_f32_e32 v4, v4
	v_cvt_i32_f32_e32 v5, v6
	v_cmp_ngt_f32_e32 vcc, s6, v2
	v_cndmask_b32_e32 v1, 0, v1, vcc
	v_cmp_nlt_f32_e32 vcc, s5, v2
	v_cndmask_b32_e32 v1, v18, v1, vcc
	v_sub_f32_e32 v2, v15, v24
	v_add_f32_e32 v0, v0, v1
	v_ldexp_f32 v1, v4, v5
	v_mul_f32_e32 v4, 0x3fb8aa3b, v2
	v_fma_f32 v5, v2, s4, -v4
	v_rndne_f32_e32 v6, v4
	v_fmac_f32_e32 v5, 0x32a5705f, v2
	v_sub_f32_e32 v4, v4, v6
	v_add_f32_e32 v4, v4, v5
	v_exp_f32_e32 v4, v4
	v_cvt_i32_f32_e32 v5, v6
	v_cmp_ngt_f32_e32 vcc, s6, v3
	v_cndmask_b32_e32 v1, 0, v1, vcc
	v_cmp_nlt_f32_e32 vcc, s5, v3
	v_cndmask_b32_e32 v1, v18, v1, vcc
	v_add_f32_e32 v0, v0, v1
	v_ldexp_f32 v1, v4, v5
	v_cmp_ngt_f32_e32 vcc, s6, v2
	v_cndmask_b32_e32 v1, 0, v1, vcc
	v_cmp_nlt_f32_e32 vcc, s5, v2
	v_cndmask_b32_e32 v1, v18, v1, vcc
	v_add_f32_e32 v0, v0, v1
	s_nop 1
	v_mov_b32_dpp v1, v0 quad_perm:[1,0,3,2] row_mask:0xf bank_mask:0xf
	s_and_b64 exec, exec, s[0:1]
	s_cbranch_execz .LBB159_31
; %bb.19:
	v_add_f32_e32 v0, v0, v1
	v_add_f32_e32 v0, v23, v0
	v_cmp_neq_f32_e32 vcc, 0, v0
	s_and_b64 exec, exec, vcc
	s_cbranch_execz .LBB159_31
; %bb.20:
	s_andn2_b64 vcc, exec, s[44:45]
	s_cbranch_vccnz .LBB159_31
; %bb.21:
	v_div_scale_f32 v1, s[0:1], v0, v0, 1.0
	v_rcp_f32_e32 v2, v1
	v_div_scale_f32 v3, vcc, 1.0, v0, 1.0
	s_cmp_gt_u32 s36, 3
	v_fma_f32 v4, -v1, v2, 1.0
	v_fmac_f32_e32 v2, v4, v2
	v_mul_f32_e32 v4, v3, v2
	v_fma_f32 v5, -v1, v4, v3
	v_fmac_f32_e32 v4, v5, v2
	v_fma_f32 v1, -v1, v4, v3
	v_div_fmas_f32 v1, v1, v2, v4
	v_mul_lo_u32 v2, v22, s39
	v_div_fixup_f32 v0, v1, v0, 1.0
	v_ashrrev_i32_e32 v3, 31, v2
	s_cbranch_scc0 .LBB159_25
; %bb.22:
	v_lshlrev_b64 v[4:5], 2, v[2:3]
	v_mov_b32_e32 v6, s35
	v_add_co_u32_e32 v4, vcc, s34, v4
	v_addc_co_u32_e32 v5, vcc, v5, v6, vcc
	s_and_b32 s4, s36, 0x7ffffffc
	v_add_co_u32_e32 v4, vcc, 8, v4
	v_mov_b32_e32 v1, v0
	v_addc_co_u32_e32 v5, vcc, 0, v5, vcc
	s_mov_b32 s0, s4
.LBB159_23:                             ; =>This Inner Loop Header: Depth=1
	global_load_dwordx4 v[6:9], v[4:5], off offset:-8
	s_add_i32 s0, s0, -4
	s_cmp_lg_u32 s0, 0
	s_waitcnt vmcnt(0)
	v_pk_mul_f32 v[6:7], v[0:1], v[6:7]
	v_pk_mul_f32 v[8:9], v[0:1], v[8:9]
	global_store_dwordx4 v[4:5], v[6:9], off offset:-8
	v_add_co_u32_e32 v4, vcc, 16, v4
	v_addc_co_u32_e32 v5, vcc, 0, v5, vcc
	s_cbranch_scc1 .LBB159_23
; %bb.24:
	s_cmp_lg_u32 s4, s36
	s_mov_b64 s[2:3], 0
	s_cselect_b64 s[0:1], -1, 0
	s_branch .LBB159_26
.LBB159_25:
	s_mov_b64 s[2:3], -1
	s_mov_b64 s[0:1], 0
                                        ; implicit-def: $sgpr4
.LBB159_26:
	s_and_b64 vcc, exec, s[2:3]
	s_cbranch_vccz .LBB159_28
; %bb.27:
	s_mov_b64 s[0:1], -1
	s_mov_b32 s4, 0
.LBB159_28:
	s_andn2_b64 vcc, exec, s[0:1]
	s_cbranch_vccnz .LBB159_31
; %bb.29:
	v_add_co_u32_e32 v2, vcc, s4, v2
	v_addc_co_u32_e32 v3, vcc, 0, v3, vcc
	v_lshlrev_b64 v[2:3], 2, v[2:3]
	v_mov_b32_e32 v1, s35
	v_add_co_u32_e32 v2, vcc, s34, v2
	s_sub_i32 s0, s36, s4
	v_addc_co_u32_e32 v3, vcc, v1, v3, vcc
.LBB159_30:                             ; =>This Inner Loop Header: Depth=1
	global_load_dword v1, v[2:3], off
	s_add_i32 s0, s0, -1
	s_cmp_lg_u32 s0, 0
	s_waitcnt vmcnt(0)
	v_mul_f32_e32 v1, v0, v1
	global_store_dword v[2:3], v1, off
	v_add_co_u32_e32 v2, vcc, 4, v2
	v_addc_co_u32_e32 v3, vcc, 0, v3, vcc
	s_cbranch_scc1 .LBB159_30
.LBB159_31:
	s_endpgm
	.section	.rodata,"a",@progbits
	.p2align	6, 0x0
	.amdhsa_kernel _ZN4vllm3moe17topkGatingSoftmaxIDF16_Li16ELi32ELi8ELi32ELb0ELi1ELNS0_23SharedExpertScoringFuncE1EEEvPKT_PKbPfiPiS9_iiiiii
		.amdhsa_group_segment_fixed_size 0
		.amdhsa_private_segment_fixed_size 0
		.amdhsa_kernarg_size 72
		.amdhsa_user_sgpr_count 6
		.amdhsa_user_sgpr_private_segment_buffer 1
		.amdhsa_user_sgpr_dispatch_ptr 0
		.amdhsa_user_sgpr_queue_ptr 0
		.amdhsa_user_sgpr_kernarg_segment_ptr 1
		.amdhsa_user_sgpr_dispatch_id 0
		.amdhsa_user_sgpr_flat_scratch_init 0
		.amdhsa_user_sgpr_kernarg_preload_length 0
		.amdhsa_user_sgpr_kernarg_preload_offset 0
		.amdhsa_user_sgpr_private_segment_size 0
		.amdhsa_uses_dynamic_stack 0
		.amdhsa_system_sgpr_private_segment_wavefront_offset 0
		.amdhsa_system_sgpr_workgroup_id_x 1
		.amdhsa_system_sgpr_workgroup_id_y 0
		.amdhsa_system_sgpr_workgroup_id_z 0
		.amdhsa_system_sgpr_workgroup_info 0
		.amdhsa_system_vgpr_workitem_id 1
		.amdhsa_next_free_vgpr 49
		.amdhsa_next_free_sgpr 54
		.amdhsa_accum_offset 52
		.amdhsa_reserve_vcc 1
		.amdhsa_reserve_flat_scratch 0
		.amdhsa_float_round_mode_32 0
		.amdhsa_float_round_mode_16_64 0
		.amdhsa_float_denorm_mode_32 3
		.amdhsa_float_denorm_mode_16_64 3
		.amdhsa_dx10_clamp 1
		.amdhsa_ieee_mode 1
		.amdhsa_fp16_overflow 0
		.amdhsa_tg_split 0
		.amdhsa_exception_fp_ieee_invalid_op 0
		.amdhsa_exception_fp_denorm_src 0
		.amdhsa_exception_fp_ieee_div_zero 0
		.amdhsa_exception_fp_ieee_overflow 0
		.amdhsa_exception_fp_ieee_underflow 0
		.amdhsa_exception_fp_ieee_inexact 0
		.amdhsa_exception_int_div_zero 0
	.end_amdhsa_kernel
	.section	.text._ZN4vllm3moe17topkGatingSoftmaxIDF16_Li16ELi32ELi8ELi32ELb0ELi1ELNS0_23SharedExpertScoringFuncE1EEEvPKT_PKbPfiPiS9_iiiiii,"axG",@progbits,_ZN4vllm3moe17topkGatingSoftmaxIDF16_Li16ELi32ELi8ELi32ELb0ELi1ELNS0_23SharedExpertScoringFuncE1EEEvPKT_PKbPfiPiS9_iiiiii,comdat
.Lfunc_end159:
	.size	_ZN4vllm3moe17topkGatingSoftmaxIDF16_Li16ELi32ELi8ELi32ELb0ELi1ELNS0_23SharedExpertScoringFuncE1EEEvPKT_PKbPfiPiS9_iiiiii, .Lfunc_end159-_ZN4vllm3moe17topkGatingSoftmaxIDF16_Li16ELi32ELi8ELi32ELb0ELi1ELNS0_23SharedExpertScoringFuncE1EEEvPKT_PKbPfiPiS9_iiiiii
                                        ; -- End function
	.section	.AMDGPU.csdata,"",@progbits
; Kernel info:
; codeLenInByte = 4052
; NumSgprs: 58
; NumVgprs: 49
; NumAgprs: 0
; TotalNumVgprs: 49
; ScratchSize: 0
; MemoryBound: 0
; FloatMode: 240
; IeeeMode: 1
; LDSByteSize: 0 bytes/workgroup (compile time only)
; SGPRBlocks: 7
; VGPRBlocks: 6
; NumSGPRsForWavesPerEU: 58
; NumVGPRsForWavesPerEU: 49
; AccumOffset: 52
; Occupancy: 8
; WaveLimiterHint : 0
; COMPUTE_PGM_RSRC2:SCRATCH_EN: 0
; COMPUTE_PGM_RSRC2:USER_SGPR: 6
; COMPUTE_PGM_RSRC2:TRAP_HANDLER: 0
; COMPUTE_PGM_RSRC2:TGID_X_EN: 1
; COMPUTE_PGM_RSRC2:TGID_Y_EN: 0
; COMPUTE_PGM_RSRC2:TGID_Z_EN: 0
; COMPUTE_PGM_RSRC2:TIDIG_COMP_CNT: 1
; COMPUTE_PGM_RSRC3_GFX90A:ACCUM_OFFSET: 12
; COMPUTE_PGM_RSRC3_GFX90A:TG_SPLIT: 0
	.section	.text._ZN4vllm3moe17topkGatingSoftmaxIDF16_Li16ELi32ELi8ELi32ELb1ELi2ELNS0_23SharedExpertScoringFuncE1EEEvPKT_PKbPfiPiS9_iiiiii,"axG",@progbits,_ZN4vllm3moe17topkGatingSoftmaxIDF16_Li16ELi32ELi8ELi32ELb1ELi2ELNS0_23SharedExpertScoringFuncE1EEEvPKT_PKbPfiPiS9_iiiiii,comdat
	.protected	_ZN4vllm3moe17topkGatingSoftmaxIDF16_Li16ELi32ELi8ELi32ELb1ELi2ELNS0_23SharedExpertScoringFuncE1EEEvPKT_PKbPfiPiS9_iiiiii ; -- Begin function _ZN4vllm3moe17topkGatingSoftmaxIDF16_Li16ELi32ELi8ELi32ELb1ELi2ELNS0_23SharedExpertScoringFuncE1EEEvPKT_PKbPfiPiS9_iiiiii
	.globl	_ZN4vllm3moe17topkGatingSoftmaxIDF16_Li16ELi32ELi8ELi32ELb1ELi2ELNS0_23SharedExpertScoringFuncE1EEEvPKT_PKbPfiPiS9_iiiiii
	.p2align	8
	.type	_ZN4vllm3moe17topkGatingSoftmaxIDF16_Li16ELi32ELi8ELi32ELb1ELi2ELNS0_23SharedExpertScoringFuncE1EEEvPKT_PKbPfiPiS9_iiiiii,@function
_ZN4vllm3moe17topkGatingSoftmaxIDF16_Li16ELi32ELi8ELi32ELb1ELi2ELNS0_23SharedExpertScoringFuncE1EEEvPKT_PKbPfiPiS9_iiiiii: ; @_ZN4vllm3moe17topkGatingSoftmaxIDF16_Li16ELi32ELi8ELi32ELb1ELi2ELNS0_23SharedExpertScoringFuncE1EEEvPKT_PKbPfiPiS9_iiiiii
; %bb.0:
	s_load_dword s33, s[4:5], 0x18
	v_bfe_u32 v1, v0, 10, 10
	v_and_b32_e32 v0, 0x3ff, v0
	s_lshl_b32 s50, s6, 8
	v_lshlrev_b32_e32 v22, 5, v1
	v_lshrrev_b32_e32 v23, 1, v0
	v_add3_u32 v43, s50, v22, v23
	s_waitcnt lgkmcnt(0)
	v_cmp_gt_i32_e32 vcc, s33, v43
	s_and_saveexec_b64 s[0:1], vcc
	s_cbranch_execz .LBB160_27
; %bb.1:
	s_load_dwordx4 s[0:3], s[4:5], 0x0
	s_load_dwordx2 s[34:35], s[4:5], 0x10
	s_waitcnt lgkmcnt(0)
	s_cmp_eq_u64 s[2:3], 0
	s_cbranch_scc1 .LBB160_3
; %bb.2:
	v_ashrrev_i32_e32 v1, 31, v43
	v_mov_b32_e32 v3, s3
	v_add_co_u32_e32 v2, vcc, s2, v43
	v_addc_co_u32_e32 v3, vcc, v3, v1, vcc
	global_load_ubyte v1, v[2:3], off
	s_waitcnt vmcnt(0)
	v_and_b32_e32 v1, 1, v1
	v_cmp_eq_u32_e32 vcc, 1, v1
	s_xor_b64 s[2:3], vcc, -1
	s_orn2_b64 s[44:45], s[2:3], exec
	s_branch .LBB160_4
.LBB160_3:
	s_mov_b64 s[44:45], -1
.LBB160_4:
	s_load_dwordx2 s[8:9], s[4:5], 0x40
	s_load_dwordx4 s[36:39], s[4:5], 0x30
	v_mov_b32_e32 v1, s1
	v_and_b32_e32 v24, 1, v0
	v_lshlrev_b32_e32 v0, 1, v24
	s_waitcnt lgkmcnt(0)
	v_mul_lo_u32 v2, v43, s9
	v_ashrrev_i32_e32 v3, 31, v2
	v_lshlrev_b64 v[2:3], 1, v[2:3]
	v_add_co_u32_e32 v2, vcc, s0, v2
	v_addc_co_u32_e32 v3, vcc, v1, v3, vcc
	v_add_co_u32_e32 v0, vcc, v2, v0
	v_addc_co_u32_e32 v1, vcc, 0, v3, vcc
	global_load_ushort v8, v[0:1], off offset:64
	v_lshlrev_b32_e32 v4, 5, v24
	v_add_co_u32_e32 v0, vcc, v2, v4
	v_addc_co_u32_e32 v1, vcc, 0, v3, vcc
	global_load_dwordx4 v[4:7], v[0:1], off
	global_load_dwordx4 v[12:15], v[0:1], off offset:16
	v_mul_lo_u32 v16, v43, s39
	v_add3_u32 v0, v16, s36, v24
	v_ashrrev_i32_e32 v1, 31, v0
	v_lshlrev_b64 v[0:1], 2, v[0:1]
	v_mov_b32_e32 v3, s35
	v_add_co_u32_e32 v2, vcc, s34, v0
	s_mov_b32 s0, 0x3fb8aa3b
	v_addc_co_u32_e32 v3, vcc, v3, v1, vcc
	s_mov_b32 s1, 0x32a5705f
	s_mov_b32 s2, 0xc2ce8ed0
	;; [unrolled: 1-line block ×3, first 2 shown]
	v_mov_b32_e32 v9, 0x7f800000
	v_lshlrev_b32_e32 v25, 4, v24
	v_or_b32_e32 v26, 1, v25
	v_or_b32_e32 v27, 2, v25
	;; [unrolled: 1-line block ×15, first 2 shown]
	s_cmp_gt_i32 s36, 0
	s_cselect_b64 s[46:47], -1, 0
	s_cmp_lt_i32 s36, 1
	v_mov_b32_e32 v41, 0
	s_waitcnt vmcnt(2)
	v_cvt_f32_f16_e64 v10, -v8
	v_mul_f32_e32 v1, 0x3fb8aa3b, v10
	v_fma_mix_f32 v11, -v8, s0, -v1 op_sel_hi:[1,0,0]
	v_rndne_f32_e32 v17, v1
	v_fma_mix_f32 v8, -v8, s1, v11 op_sel_hi:[1,0,0]
	v_sub_f32_e32 v1, v1, v17
	v_add_f32_e32 v1, v1, v8
	v_cvt_i32_f32_e32 v11, v17
	v_exp_f32_e32 v8, v1
	v_cmp_ngt_f32_e64 s[0:1], s2, v10
	s_waitcnt vmcnt(1)
	v_cvt_f32_f16_e32 v0, v4
	v_cvt_f32_f16_sdwa v1, v4 dst_sel:DWORD dst_unused:UNUSED_PAD src0_sel:WORD_1
	v_ldexp_f32 v8, v8, v11
	v_cndmask_b32_e64 v8, 0, v8, s[0:1]
	v_cmp_nlt_f32_e64 s[0:1], s3, v10
	v_cndmask_b32_e64 v8, v9, v8, s[0:1]
	v_add_f32_e32 v8, 1.0, v8
	v_div_scale_f32 v9, s[0:1], v8, v8, 1.0
	v_rcp_f32_e32 v10, v9
	v_cmp_lt_f16_sdwa vcc, v4, v4 src0_sel:DWORD src1_sel:WORD_1
	v_cndmask_b32_e32 v4, v25, v26, vcc
	v_cndmask_b32_e32 v11, v0, v1, vcc
	v_fma_f32 v18, -v9, v10, 1.0
	v_div_scale_f32 v17, vcc, 1.0, v8, 1.0
	v_fmac_f32_e32 v10, v18, v10
	v_mul_f32_e32 v18, v17, v10
	v_fma_f32 v19, -v9, v18, v17
	v_fmac_f32_e32 v18, v19, v10
	v_fma_f32 v9, -v9, v18, v17
	v_div_fmas_f32 v9, v9, v10, v18
	v_div_fixup_f32 v8, v9, v8, 1.0
	global_store_dword v[2:3], v8, off
	v_cvt_f32_f16_e32 v2, v5
	v_cvt_f32_f16_sdwa v3, v5 dst_sel:DWORD dst_unused:UNUSED_PAD src0_sel:WORD_1
	v_cmp_lt_f32_e32 vcc, v11, v2
	v_cndmask_b32_e32 v8, v11, v2, vcc
	v_cndmask_b32_e32 v4, v4, v27, vcc
	v_cmp_lt_f32_e32 vcc, v8, v3
	v_cndmask_b32_e32 v5, v4, v28, vcc
	v_cvt_f32_f16_e32 v4, v6
	v_cndmask_b32_e32 v8, v8, v3, vcc
	v_cmp_lt_f32_e32 vcc, v8, v4
	v_cndmask_b32_e32 v9, v5, v29, vcc
	v_cvt_f32_f16_sdwa v5, v6 dst_sel:DWORD dst_unused:UNUSED_PAD src0_sel:WORD_1
	v_cvt_f32_f16_e32 v6, v7
	v_cndmask_b32_e32 v8, v8, v4, vcc
	v_cvt_f32_f16_sdwa v7, v7 dst_sel:DWORD dst_unused:UNUSED_PAD src0_sel:WORD_1
	v_cmp_lt_f32_e32 vcc, v8, v5
	v_cndmask_b32_e32 v8, v8, v5, vcc
	v_cndmask_b32_e32 v9, v9, v30, vcc
	v_cmp_lt_f32_e32 vcc, v8, v6
	v_cndmask_b32_e32 v8, v8, v6, vcc
	v_cndmask_b32_e32 v9, v9, v31, vcc
	v_cmp_lt_f32_e32 vcc, v8, v7
	v_cndmask_b32_e32 v10, v8, v7, vcc
	s_waitcnt vmcnt(1)
	v_cvt_f32_f16_e32 v8, v12
	v_cndmask_b32_e32 v9, v9, v32, vcc
	v_cmp_lt_f32_e32 vcc, v10, v8
	v_cndmask_b32_e32 v11, v9, v33, vcc
	v_cvt_f32_f16_sdwa v9, v12 dst_sel:DWORD dst_unused:UNUSED_PAD src0_sel:WORD_1
	v_cndmask_b32_e32 v10, v10, v8, vcc
	v_cmp_lt_f32_e32 vcc, v10, v9
	v_cndmask_b32_e32 v12, v10, v9, vcc
	v_cvt_f32_f16_e32 v10, v13
	v_cndmask_b32_e32 v11, v11, v34, vcc
	v_cmp_lt_f32_e32 vcc, v12, v10
	v_cndmask_b32_e32 v17, v11, v35, vcc
	v_cvt_f32_f16_sdwa v11, v13 dst_sel:DWORD dst_unused:UNUSED_PAD src0_sel:WORD_1
	v_cndmask_b32_e32 v12, v12, v10, vcc
	v_cmp_lt_f32_e32 vcc, v12, v11
	v_cndmask_b32_e32 v13, v17, v36, vcc
	v_cndmask_b32_e32 v17, v12, v11, vcc
	v_cvt_f32_f16_e32 v12, v14
	v_cmp_lt_f32_e32 vcc, v17, v12
	v_cndmask_b32_e32 v18, v13, v37, vcc
	v_cvt_f32_f16_sdwa v13, v14 dst_sel:DWORD dst_unused:UNUSED_PAD src0_sel:WORD_1
	v_cvt_f32_f16_e32 v14, v15
	v_cndmask_b32_e32 v17, v17, v12, vcc
	v_cvt_f32_f16_sdwa v15, v15 dst_sel:DWORD dst_unused:UNUSED_PAD src0_sel:WORD_1
	v_cmp_lt_f32_e32 vcc, v17, v13
	v_cndmask_b32_e32 v17, v17, v13, vcc
	v_cndmask_b32_e32 v18, v18, v38, vcc
	v_cmp_lt_f32_e32 vcc, v17, v14
	v_cndmask_b32_e32 v17, v17, v14, vcc
	v_cndmask_b32_e32 v18, v18, v39, vcc
	;; [unrolled: 3-line block ×3, first 2 shown]
	v_cmp_eq_u32_e32 vcc, 0, v24
	v_mov_b32_dpp v20, v18 quad_perm:[1,0,3,2] row_mask:0xf bank_mask:0xf
	v_mov_b32_dpp v19, v17 quad_perm:[1,0,3,2] row_mask:0xf bank_mask:0xf
	s_cbranch_scc1 .LBB160_16
; %bb.5:
	s_load_dwordx4 s[40:43], s[4:5], 0x20
	v_cmp_eq_f32_e64 s[2:3], v17, v19
	v_cmp_lt_i32_e64 s[6:7], v20, v18
	v_cmp_lt_f32_e64 s[0:1], v17, v19
	s_and_b64 s[2:3], s[2:3], s[6:7]
	s_or_b64 s[0:1], s[0:1], s[2:3]
	v_cndmask_b32_e64 v44, v18, v20, s[0:1]
	v_cndmask_b32_e64 v42, v17, v19, s[0:1]
	v_mul_lo_u32 v20, v43, s8
	v_mul_lo_u32 v18, v43, s36
	v_mov_b32_e32 v41, 0
	s_and_saveexec_b64 s[4:5], vcc
	s_cbranch_execz .LBB160_7
; %bb.6:
	v_sub_f32_e32 v17, v42, v42
	v_mul_f32_e32 v19, 0x3fb8aa3b, v17
	s_mov_b32 s0, 0x3fb8aa3b
	v_rndne_f32_e32 v21, v19
	v_sub_f32_e32 v41, v19, v21
	v_fma_f32 v19, v17, s0, -v19
	v_fmac_f32_e32 v19, 0x32a5705f, v17
	v_add_f32_e32 v19, v41, v19
	v_exp_f32_e32 v19, v19
	v_cvt_i32_f32_e32 v21, v21
	v_cmp_le_i32_e64 s[0:1], s37, v44
	v_cmp_gt_i32_e64 s[2:3], s38, v44
	s_and_b64 s[2:3], s[0:1], s[2:3]
	s_mov_b32 s0, 0xc2ce8ed0
	v_ldexp_f32 v19, v19, v21
	v_cmp_ngt_f32_e64 s[0:1], s0, v17
	v_cndmask_b32_e64 v19, 0, v19, s[0:1]
	s_mov_b32 s0, 0x42b17218
	v_cmp_nlt_f32_e64 s[0:1], s0, v17
	v_ashrrev_i32_e32 v17, 31, v16
	v_mov_b32_e32 v21, 0x7f800000
	v_lshlrev_b64 v[46:47], 2, v[16:17]
	v_cndmask_b32_e64 v41, v21, v19, s[0:1]
	v_mov_b32_e32 v17, s35
	v_add_co_u32_e64 v46, s[0:1], s34, v46
	v_addc_co_u32_e64 v47, s[0:1], v17, v47, s[0:1]
	v_ashrrev_i32_e32 v21, 31, v20
	global_store_dword v[46:47], v41, off
	v_subrev_u32_e32 v17, s37, v44
	s_and_b64 s[0:1], s[44:45], s[2:3]
	v_lshlrev_b64 v[46:47], 2, v[20:21]
	v_cndmask_b32_e64 v17, 32, v17, s[0:1]
	s_waitcnt lgkmcnt(0)
	v_mov_b32_e32 v19, s41
	v_add_co_u32_e64 v46, s[0:1], s40, v46
	v_addc_co_u32_e64 v47, s[0:1], v19, v47, s[0:1]
	v_ashrrev_i32_e32 v19, 31, v18
	global_store_dword v[46:47], v17, off
	v_lshlrev_b64 v[46:47], 2, v[18:19]
	v_mov_b32_e32 v17, s43
	v_add_co_u32_e64 v46, s[0:1], s42, v46
	v_addc_co_u32_e64 v47, s[0:1], v17, v47, s[0:1]
	global_store_dword v[46:47], v43, off
.LBB160_7:
	s_or_b64 exec, exec, s[4:5]
	v_ashrrev_i32_e32 v19, 31, v44
	v_lshrrev_b32_e32 v17, 28, v19
	v_add_u32_e32 v21, v44, v17
	v_ashrrev_i32_e32 v17, 4, v21
	v_lshrrev_b32_e32 v21, 31, v21
	v_add_u32_e32 v21, v17, v21
	v_and_b32_e32 v21, -2, v21
	v_sub_u32_e32 v21, v17, v21
	v_cmp_eq_u32_e64 s[0:1], v24, v21
	s_and_saveexec_b64 s[48:49], s[0:1]
	s_cbranch_execz .LBB160_9
; %bb.8:
	v_lshrrev_b32_e32 v19, 27, v19
	v_add_u32_e32 v19, v44, v19
	v_lshlrev_b32_e32 v17, 4, v17
	v_sub_u32_e32 v17, v44, v17
	v_ashrrev_i32_e32 v19, 5, v19
	v_lshl_add_u32 v17, v19, 4, v17
	v_mov_b32_e32 v19, 0xff800000
	v_cmp_ne_u32_e64 s[0:1], 14, v17
	v_cmp_ne_u32_e64 s[2:3], 13, v17
	;; [unrolled: 1-line block ×16, first 2 shown]
	v_cndmask_b32_e64 v15, v19, v15, s[30:31]
	v_cndmask_b32_e64 v14, v19, v14, s[0:1]
	;; [unrolled: 1-line block ×16, first 2 shown]
.LBB160_9:
	s_or_b64 exec, exec, s[48:49]
	s_cmp_eq_u32 s36, 1
	s_cbranch_scc1 .LBB160_16
; %bb.10:
	s_add_i32 s50, s50, s33
	s_add_i32 s39, s36, -1
	v_add3_u32 v17, s50, v23, v22
	v_add_u32_e32 v18, 1, v18
	v_add_u32_e32 v20, 1, v20
	;; [unrolled: 1-line block ×3, first 2 shown]
	s_mov_b32 s50, 0x3fb8aa3b
	s_mov_b32 s51, 0xc2ce8ed0
	s_mov_b32 s52, 0x42b17218
	v_mov_b32_e32 v43, 0x7f800000
	v_mov_b32_e32 v44, 0xff800000
	s_branch .LBB160_12
.LBB160_11:                             ;   in Loop: Header=BB160_12 Depth=1
	s_or_b64 exec, exec, s[48:49]
	s_add_i32 s39, s39, -1
	v_add_u32_e32 v17, s33, v17
	v_add_u32_e32 v18, 1, v18
	;; [unrolled: 1-line block ×3, first 2 shown]
	s_cmp_eq_u32 s39, 0
	v_add_u32_e32 v22, 1, v22
	s_cbranch_scc1 .LBB160_16
.LBB160_12:                             ; =>This Inner Loop Header: Depth=1
	v_cmp_gt_f32_e64 s[0:1], v1, v0
	v_cndmask_b32_e64 v21, v0, v1, s[0:1]
	v_cndmask_b32_e64 v19, v25, v26, s[0:1]
	v_cmp_gt_f32_e64 s[0:1], v2, v21
	v_cndmask_b32_e64 v21, v21, v2, s[0:1]
	v_cndmask_b32_e64 v19, v19, v27, s[0:1]
	;; [unrolled: 3-line block ×15, first 2 shown]
	s_nop 0
	v_mov_b32_dpp v45, v23 quad_perm:[1,0,3,2] row_mask:0xf bank_mask:0xf
	v_mov_b32_dpp v21, v19 quad_perm:[1,0,3,2] row_mask:0xf bank_mask:0xf
	v_cmp_eq_f32_e64 s[2:3], v19, v21
	v_cmp_lt_i32_e64 s[4:5], v45, v23
	v_cmp_lt_f32_e64 s[0:1], v19, v21
	s_and_b64 s[2:3], s[2:3], s[4:5]
	s_or_b64 s[0:1], s[0:1], s[2:3]
	v_cndmask_b32_e64 v45, v23, v45, s[0:1]
	s_and_saveexec_b64 s[4:5], vcc
	s_cbranch_execz .LBB160_14
; %bb.13:                               ;   in Loop: Header=BB160_12 Depth=1
	v_cndmask_b32_e64 v19, v19, v21, s[0:1]
	v_sub_f32_e32 v19, v19, v42
	v_mul_f32_e32 v21, 0x3fb8aa3b, v19
	v_fma_f32 v23, v19, s50, -v21
	v_rndne_f32_e32 v46, v21
	v_fmac_f32_e32 v23, 0x32a5705f, v19
	v_sub_f32_e32 v21, v21, v46
	v_add_f32_e32 v21, v21, v23
	v_exp_f32_e32 v21, v21
	v_cvt_i32_f32_e32 v23, v46
	v_cmp_le_i32_e64 s[0:1], s37, v45
	v_cmp_gt_i32_e64 s[2:3], s38, v45
	s_and_b64 s[2:3], s[0:1], s[2:3]
	v_ldexp_f32 v21, v21, v23
	v_cmp_ngt_f32_e64 s[0:1], s51, v19
	v_ashrrev_i32_e32 v23, 31, v22
	v_cndmask_b32_e64 v21, 0, v21, s[0:1]
	v_cmp_nlt_f32_e64 s[0:1], s52, v19
	v_lshlrev_b64 v[46:47], 2, v[22:23]
	v_cndmask_b32_e64 v48, v43, v21, s[0:1]
	v_mov_b32_e32 v19, s35
	v_add_co_u32_e64 v46, s[0:1], s34, v46
	v_addc_co_u32_e64 v47, s[0:1], v19, v47, s[0:1]
	v_ashrrev_i32_e32 v21, 31, v20
	global_store_dword v[46:47], v48, off
	v_subrev_u32_e32 v19, s37, v45
	s_and_b64 s[0:1], s[44:45], s[2:3]
	v_lshlrev_b64 v[46:47], 2, v[20:21]
	v_cndmask_b32_e64 v19, 32, v19, s[0:1]
	s_waitcnt lgkmcnt(0)
	v_mov_b32_e32 v21, s41
	v_add_co_u32_e64 v46, s[0:1], s40, v46
	v_addc_co_u32_e64 v47, s[0:1], v21, v47, s[0:1]
	global_store_dword v[46:47], v19, off
	v_ashrrev_i32_e32 v19, 31, v18
	v_lshlrev_b64 v[46:47], 2, v[18:19]
	v_mov_b32_e32 v19, s43
	v_add_co_u32_e64 v46, s[0:1], s42, v46
	v_addc_co_u32_e64 v47, s[0:1], v19, v47, s[0:1]
	v_add_f32_e32 v41, v41, v48
	global_store_dword v[46:47], v17, off
.LBB160_14:                             ;   in Loop: Header=BB160_12 Depth=1
	s_or_b64 exec, exec, s[4:5]
	v_ashrrev_i32_e32 v21, 31, v45
	v_lshrrev_b32_e32 v19, 28, v21
	v_add_u32_e32 v23, v45, v19
	v_ashrrev_i32_e32 v19, 4, v23
	v_lshrrev_b32_e32 v23, 31, v23
	v_add_u32_e32 v23, v19, v23
	v_and_b32_e32 v23, -2, v23
	v_sub_u32_e32 v23, v19, v23
	v_cmp_eq_u32_e64 s[0:1], v24, v23
	s_and_saveexec_b64 s[48:49], s[0:1]
	s_cbranch_execz .LBB160_11
; %bb.15:                               ;   in Loop: Header=BB160_12 Depth=1
	v_lshrrev_b32_e32 v21, 27, v21
	v_add_u32_e32 v21, v45, v21
	v_lshlrev_b32_e32 v19, 4, v19
	v_sub_u32_e32 v19, v45, v19
	v_ashrrev_i32_e32 v21, 5, v21
	v_lshl_add_u32 v19, v21, 4, v19
	v_cmp_ne_u32_e64 s[0:1], 14, v19
	v_cmp_ne_u32_e64 s[2:3], 13, v19
	;; [unrolled: 1-line block ×16, first 2 shown]
	v_cndmask_b32_e64 v15, v44, v15, s[30:31]
	v_cndmask_b32_e64 v14, v44, v14, s[0:1]
	;; [unrolled: 1-line block ×16, first 2 shown]
	s_branch .LBB160_11
.LBB160_16:
	v_cmp_eq_u32_e32 vcc, 0, v24
	v_cmp_neq_f32_e64 s[0:1], 0, v41
	s_and_b64 s[0:1], vcc, s[0:1]
	s_and_b64 exec, exec, s[0:1]
	s_cbranch_execz .LBB160_27
; %bb.17:
	s_andn2_b64 vcc, exec, s[46:47]
	s_cbranch_vccnz .LBB160_27
; %bb.18:
	v_div_scale_f32 v0, s[0:1], v41, v41, 1.0
	v_rcp_f32_e32 v1, v0
	v_div_scale_f32 v2, vcc, 1.0, v41, 1.0
	s_cmp_gt_u32 s36, 3
	v_fma_f32 v3, -v0, v1, 1.0
	v_fmac_f32_e32 v1, v3, v1
	v_mul_f32_e32 v3, v2, v1
	v_fma_f32 v4, -v0, v3, v2
	v_fmac_f32_e32 v3, v4, v1
	v_fma_f32 v0, -v0, v3, v2
	v_div_fmas_f32 v0, v0, v1, v3
	v_div_fixup_f32 v0, v0, v41, 1.0
	v_ashrrev_i32_e32 v17, 31, v16
	s_cbranch_scc0 .LBB160_22
; %bb.19:
	v_lshlrev_b64 v[2:3], 2, v[16:17]
	v_mov_b32_e32 v4, s35
	v_add_co_u32_e32 v2, vcc, s34, v2
	v_addc_co_u32_e32 v3, vcc, v3, v4, vcc
	s_and_b32 s4, s36, 0x7ffffffc
	v_add_co_u32_e32 v2, vcc, 8, v2
	v_mov_b32_e32 v1, v0
	v_addc_co_u32_e32 v3, vcc, 0, v3, vcc
	s_mov_b32 s0, s4
.LBB160_20:                             ; =>This Inner Loop Header: Depth=1
	global_load_dwordx4 v[4:7], v[2:3], off offset:-8
	s_add_i32 s0, s0, -4
	s_cmp_lg_u32 s0, 0
	s_waitcnt vmcnt(0)
	v_pk_mul_f32 v[4:5], v[0:1], v[4:5]
	v_pk_mul_f32 v[6:7], v[0:1], v[6:7]
	global_store_dwordx4 v[2:3], v[4:7], off offset:-8
	v_add_co_u32_e32 v2, vcc, 16, v2
	v_addc_co_u32_e32 v3, vcc, 0, v3, vcc
	s_cbranch_scc1 .LBB160_20
; %bb.21:
	s_cmp_lg_u32 s4, s36
	s_cselect_b64 s[0:1], -1, 0
	s_branch .LBB160_24
.LBB160_22:
	s_mov_b64 s[0:1], 0
                                        ; implicit-def: $sgpr4
	s_cbranch_execz .LBB160_24
; %bb.23:
	s_mov_b64 s[0:1], -1
	s_mov_b32 s4, 0
.LBB160_24:
	s_andn2_b64 vcc, exec, s[0:1]
	s_cbranch_vccnz .LBB160_27
; %bb.25:
	v_add_co_u32_e32 v2, vcc, s4, v16
	v_addc_co_u32_e32 v3, vcc, 0, v17, vcc
	v_lshlrev_b64 v[2:3], 2, v[2:3]
	v_mov_b32_e32 v1, s35
	v_add_co_u32_e32 v2, vcc, s34, v2
	s_sub_i32 s0, s36, s4
	v_addc_co_u32_e32 v3, vcc, v1, v3, vcc
.LBB160_26:                             ; =>This Inner Loop Header: Depth=1
	global_load_dword v1, v[2:3], off
	s_add_i32 s0, s0, -1
	s_cmp_lg_u32 s0, 0
	s_waitcnt vmcnt(0)
	v_mul_f32_e32 v1, v0, v1
	global_store_dword v[2:3], v1, off
	v_add_co_u32_e32 v2, vcc, 4, v2
	v_addc_co_u32_e32 v3, vcc, 0, v3, vcc
	s_cbranch_scc1 .LBB160_26
.LBB160_27:
	s_endpgm
	.section	.rodata,"a",@progbits
	.p2align	6, 0x0
	.amdhsa_kernel _ZN4vllm3moe17topkGatingSoftmaxIDF16_Li16ELi32ELi8ELi32ELb1ELi2ELNS0_23SharedExpertScoringFuncE1EEEvPKT_PKbPfiPiS9_iiiiii
		.amdhsa_group_segment_fixed_size 0
		.amdhsa_private_segment_fixed_size 0
		.amdhsa_kernarg_size 72
		.amdhsa_user_sgpr_count 6
		.amdhsa_user_sgpr_private_segment_buffer 1
		.amdhsa_user_sgpr_dispatch_ptr 0
		.amdhsa_user_sgpr_queue_ptr 0
		.amdhsa_user_sgpr_kernarg_segment_ptr 1
		.amdhsa_user_sgpr_dispatch_id 0
		.amdhsa_user_sgpr_flat_scratch_init 0
		.amdhsa_user_sgpr_kernarg_preload_length 0
		.amdhsa_user_sgpr_kernarg_preload_offset 0
		.amdhsa_user_sgpr_private_segment_size 0
		.amdhsa_uses_dynamic_stack 0
		.amdhsa_system_sgpr_private_segment_wavefront_offset 0
		.amdhsa_system_sgpr_workgroup_id_x 1
		.amdhsa_system_sgpr_workgroup_id_y 0
		.amdhsa_system_sgpr_workgroup_id_z 0
		.amdhsa_system_sgpr_workgroup_info 0
		.amdhsa_system_vgpr_workitem_id 1
		.amdhsa_next_free_vgpr 49
		.amdhsa_next_free_sgpr 53
		.amdhsa_accum_offset 52
		.amdhsa_reserve_vcc 1
		.amdhsa_reserve_flat_scratch 0
		.amdhsa_float_round_mode_32 0
		.amdhsa_float_round_mode_16_64 0
		.amdhsa_float_denorm_mode_32 3
		.amdhsa_float_denorm_mode_16_64 3
		.amdhsa_dx10_clamp 1
		.amdhsa_ieee_mode 1
		.amdhsa_fp16_overflow 0
		.amdhsa_tg_split 0
		.amdhsa_exception_fp_ieee_invalid_op 0
		.amdhsa_exception_fp_denorm_src 0
		.amdhsa_exception_fp_ieee_div_zero 0
		.amdhsa_exception_fp_ieee_overflow 0
		.amdhsa_exception_fp_ieee_underflow 0
		.amdhsa_exception_fp_ieee_inexact 0
		.amdhsa_exception_int_div_zero 0
	.end_amdhsa_kernel
	.section	.text._ZN4vllm3moe17topkGatingSoftmaxIDF16_Li16ELi32ELi8ELi32ELb1ELi2ELNS0_23SharedExpertScoringFuncE1EEEvPKT_PKbPfiPiS9_iiiiii,"axG",@progbits,_ZN4vllm3moe17topkGatingSoftmaxIDF16_Li16ELi32ELi8ELi32ELb1ELi2ELNS0_23SharedExpertScoringFuncE1EEEvPKT_PKbPfiPiS9_iiiiii,comdat
.Lfunc_end160:
	.size	_ZN4vllm3moe17topkGatingSoftmaxIDF16_Li16ELi32ELi8ELi32ELb1ELi2ELNS0_23SharedExpertScoringFuncE1EEEvPKT_PKbPfiPiS9_iiiiii, .Lfunc_end160-_ZN4vllm3moe17topkGatingSoftmaxIDF16_Li16ELi32ELi8ELi32ELb1ELi2ELNS0_23SharedExpertScoringFuncE1EEEvPKT_PKbPfiPiS9_iiiiii
                                        ; -- End function
	.section	.AMDGPU.csdata,"",@progbits
; Kernel info:
; codeLenInByte = 3080
; NumSgprs: 57
; NumVgprs: 49
; NumAgprs: 0
; TotalNumVgprs: 49
; ScratchSize: 0
; MemoryBound: 0
; FloatMode: 240
; IeeeMode: 1
; LDSByteSize: 0 bytes/workgroup (compile time only)
; SGPRBlocks: 7
; VGPRBlocks: 6
; NumSGPRsForWavesPerEU: 57
; NumVGPRsForWavesPerEU: 49
; AccumOffset: 52
; Occupancy: 8
; WaveLimiterHint : 0
; COMPUTE_PGM_RSRC2:SCRATCH_EN: 0
; COMPUTE_PGM_RSRC2:USER_SGPR: 6
; COMPUTE_PGM_RSRC2:TRAP_HANDLER: 0
; COMPUTE_PGM_RSRC2:TGID_X_EN: 1
; COMPUTE_PGM_RSRC2:TGID_Y_EN: 0
; COMPUTE_PGM_RSRC2:TGID_Z_EN: 0
; COMPUTE_PGM_RSRC2:TIDIG_COMP_CNT: 1
; COMPUTE_PGM_RSRC3_GFX90A:ACCUM_OFFSET: 12
; COMPUTE_PGM_RSRC3_GFX90A:TG_SPLIT: 0
	.section	.text._ZN4vllm3moe17topkGatingSoftmaxIDF16_Li16ELi32ELi8ELi32ELb0ELi2ELNS0_23SharedExpertScoringFuncE1EEEvPKT_PKbPfiPiS9_iiiiii,"axG",@progbits,_ZN4vllm3moe17topkGatingSoftmaxIDF16_Li16ELi32ELi8ELi32ELb0ELi2ELNS0_23SharedExpertScoringFuncE1EEEvPKT_PKbPfiPiS9_iiiiii,comdat
	.protected	_ZN4vllm3moe17topkGatingSoftmaxIDF16_Li16ELi32ELi8ELi32ELb0ELi2ELNS0_23SharedExpertScoringFuncE1EEEvPKT_PKbPfiPiS9_iiiiii ; -- Begin function _ZN4vllm3moe17topkGatingSoftmaxIDF16_Li16ELi32ELi8ELi32ELb0ELi2ELNS0_23SharedExpertScoringFuncE1EEEvPKT_PKbPfiPiS9_iiiiii
	.globl	_ZN4vllm3moe17topkGatingSoftmaxIDF16_Li16ELi32ELi8ELi32ELb0ELi2ELNS0_23SharedExpertScoringFuncE1EEEvPKT_PKbPfiPiS9_iiiiii
	.p2align	8
	.type	_ZN4vllm3moe17topkGatingSoftmaxIDF16_Li16ELi32ELi8ELi32ELb0ELi2ELNS0_23SharedExpertScoringFuncE1EEEvPKT_PKbPfiPiS9_iiiiii,@function
_ZN4vllm3moe17topkGatingSoftmaxIDF16_Li16ELi32ELi8ELi32ELb0ELi2ELNS0_23SharedExpertScoringFuncE1EEEvPKT_PKbPfiPiS9_iiiiii: ; @_ZN4vllm3moe17topkGatingSoftmaxIDF16_Li16ELi32ELi8ELi32ELb0ELi2ELNS0_23SharedExpertScoringFuncE1EEEvPKT_PKbPfiPiS9_iiiiii
; %bb.0:
	s_load_dword s33, s[4:5], 0x18
	v_bfe_u32 v1, v0, 10, 10
	v_and_b32_e32 v0, 0x3ff, v0
	s_lshl_b32 s50, s6, 8
	v_lshlrev_b32_e32 v22, 5, v1
	v_lshrrev_b32_e32 v23, 1, v0
	v_add3_u32 v43, s50, v22, v23
	s_waitcnt lgkmcnt(0)
	v_cmp_gt_i32_e32 vcc, s33, v43
	s_and_saveexec_b64 s[0:1], vcc
	s_cbranch_execz .LBB161_29
; %bb.1:
	s_load_dwordx4 s[0:3], s[4:5], 0x0
	s_load_dwordx2 s[34:35], s[4:5], 0x10
	s_waitcnt lgkmcnt(0)
	s_cmp_eq_u64 s[2:3], 0
	s_cbranch_scc1 .LBB161_3
; %bb.2:
	v_ashrrev_i32_e32 v1, 31, v43
	v_mov_b32_e32 v3, s3
	v_add_co_u32_e32 v2, vcc, s2, v43
	v_addc_co_u32_e32 v3, vcc, v3, v1, vcc
	global_load_ubyte v1, v[2:3], off
	s_waitcnt vmcnt(0)
	v_and_b32_e32 v1, 1, v1
	v_cmp_eq_u32_e32 vcc, 1, v1
	s_xor_b64 s[2:3], vcc, -1
	s_orn2_b64 s[46:47], s[2:3], exec
	s_branch .LBB161_4
.LBB161_3:
	s_mov_b64 s[46:47], -1
.LBB161_4:
	s_load_dwordx2 s[6:7], s[4:5], 0x40
	s_load_dwordx4 s[36:39], s[4:5], 0x30
	v_mov_b32_e32 v1, s1
	v_and_b32_e32 v24, 1, v0
	v_lshlrev_b32_e32 v0, 1, v24
	s_waitcnt lgkmcnt(0)
	v_mul_lo_u32 v2, v43, s7
	v_ashrrev_i32_e32 v3, 31, v2
	v_lshlrev_b64 v[2:3], 1, v[2:3]
	v_add_co_u32_e32 v2, vcc, s0, v2
	v_addc_co_u32_e32 v3, vcc, v1, v3, vcc
	v_add_co_u32_e32 v0, vcc, v2, v0
	v_addc_co_u32_e32 v1, vcc, 0, v3, vcc
	global_load_ushort v8, v[0:1], off offset:64
	v_lshlrev_b32_e32 v4, 5, v24
	v_add_co_u32_e32 v0, vcc, v2, v4
	v_addc_co_u32_e32 v1, vcc, 0, v3, vcc
	global_load_dwordx4 v[4:7], v[0:1], off
	global_load_dwordx4 v[12:15], v[0:1], off offset:16
	v_mul_lo_u32 v16, v43, s39
	v_add3_u32 v0, v16, s36, v24
	v_ashrrev_i32_e32 v1, 31, v0
	v_lshlrev_b64 v[0:1], 2, v[0:1]
	v_mov_b32_e32 v3, s35
	v_add_co_u32_e32 v2, vcc, s34, v0
	s_mov_b32 s0, 0x3fb8aa3b
	v_addc_co_u32_e32 v3, vcc, v3, v1, vcc
	s_mov_b32 s1, 0x32a5705f
	s_mov_b32 s2, 0xc2ce8ed0
	;; [unrolled: 1-line block ×3, first 2 shown]
	v_mov_b32_e32 v9, 0x7f800000
	v_lshlrev_b32_e32 v27, 4, v24
	v_or_b32_e32 v28, 1, v27
	v_or_b32_e32 v29, 2, v27
	;; [unrolled: 1-line block ×15, first 2 shown]
	v_mov_b32_e32 v26, 0
	s_waitcnt vmcnt(2)
	v_cvt_f32_f16_e64 v10, -v8
	v_mul_f32_e32 v1, 0x3fb8aa3b, v10
	v_fma_mix_f32 v11, -v8, s0, -v1 op_sel_hi:[1,0,0]
	v_rndne_f32_e32 v17, v1
	v_fma_mix_f32 v8, -v8, s1, v11 op_sel_hi:[1,0,0]
	v_sub_f32_e32 v1, v1, v17
	v_add_f32_e32 v1, v1, v8
	v_cvt_i32_f32_e32 v11, v17
	v_exp_f32_e32 v8, v1
	v_cmp_ngt_f32_e64 s[0:1], s2, v10
	s_waitcnt vmcnt(1)
	v_cvt_f32_f16_e32 v0, v4
	v_cvt_f32_f16_sdwa v1, v4 dst_sel:DWORD dst_unused:UNUSED_PAD src0_sel:WORD_1
	v_ldexp_f32 v8, v8, v11
	v_cndmask_b32_e64 v8, 0, v8, s[0:1]
	v_cmp_nlt_f32_e64 s[0:1], s3, v10
	v_cndmask_b32_e64 v8, v9, v8, s[0:1]
	v_add_f32_e32 v8, 1.0, v8
	v_div_scale_f32 v9, s[0:1], v8, v8, 1.0
	v_rcp_f32_e32 v10, v9
	v_cmp_lt_f16_sdwa vcc, v4, v4 src0_sel:DWORD src1_sel:WORD_1
	v_cndmask_b32_e32 v4, v27, v28, vcc
	v_cndmask_b32_e32 v11, v0, v1, vcc
	v_fma_f32 v18, -v9, v10, 1.0
	v_div_scale_f32 v17, vcc, 1.0, v8, 1.0
	v_fmac_f32_e32 v10, v18, v10
	v_mul_f32_e32 v18, v17, v10
	v_fma_f32 v19, -v9, v18, v17
	v_fmac_f32_e32 v18, v19, v10
	v_fma_f32 v9, -v9, v18, v17
	v_div_fmas_f32 v9, v9, v10, v18
	v_div_fixup_f32 v8, v9, v8, 1.0
	global_store_dword v[2:3], v8, off
	v_cvt_f32_f16_e32 v2, v5
	v_cvt_f32_f16_sdwa v3, v5 dst_sel:DWORD dst_unused:UNUSED_PAD src0_sel:WORD_1
	v_cmp_lt_f32_e32 vcc, v11, v2
	v_cndmask_b32_e32 v8, v11, v2, vcc
	v_cndmask_b32_e32 v4, v4, v29, vcc
	v_cmp_lt_f32_e32 vcc, v8, v3
	v_cndmask_b32_e32 v5, v4, v30, vcc
	v_cvt_f32_f16_e32 v4, v6
	v_cndmask_b32_e32 v8, v8, v3, vcc
	v_cmp_lt_f32_e32 vcc, v8, v4
	v_cndmask_b32_e32 v9, v5, v31, vcc
	v_cvt_f32_f16_sdwa v5, v6 dst_sel:DWORD dst_unused:UNUSED_PAD src0_sel:WORD_1
	v_cvt_f32_f16_e32 v6, v7
	v_cndmask_b32_e32 v8, v8, v4, vcc
	v_cvt_f32_f16_sdwa v7, v7 dst_sel:DWORD dst_unused:UNUSED_PAD src0_sel:WORD_1
	v_cmp_lt_f32_e32 vcc, v8, v5
	v_cndmask_b32_e32 v8, v8, v5, vcc
	v_cndmask_b32_e32 v9, v9, v32, vcc
	v_cmp_lt_f32_e32 vcc, v8, v6
	v_cndmask_b32_e32 v8, v8, v6, vcc
	v_cndmask_b32_e32 v9, v9, v33, vcc
	v_cmp_lt_f32_e32 vcc, v8, v7
	v_cndmask_b32_e32 v10, v8, v7, vcc
	s_waitcnt vmcnt(1)
	v_cvt_f32_f16_e32 v8, v12
	v_cndmask_b32_e32 v9, v9, v34, vcc
	v_cmp_lt_f32_e32 vcc, v10, v8
	v_cndmask_b32_e32 v11, v9, v35, vcc
	v_cvt_f32_f16_sdwa v9, v12 dst_sel:DWORD dst_unused:UNUSED_PAD src0_sel:WORD_1
	v_cndmask_b32_e32 v10, v10, v8, vcc
	v_cmp_lt_f32_e32 vcc, v10, v9
	v_cndmask_b32_e32 v12, v10, v9, vcc
	v_cvt_f32_f16_e32 v10, v13
	v_cndmask_b32_e32 v11, v11, v36, vcc
	v_cmp_lt_f32_e32 vcc, v12, v10
	v_cndmask_b32_e32 v17, v11, v37, vcc
	v_cvt_f32_f16_sdwa v11, v13 dst_sel:DWORD dst_unused:UNUSED_PAD src0_sel:WORD_1
	v_cndmask_b32_e32 v12, v12, v10, vcc
	v_cmp_lt_f32_e32 vcc, v12, v11
	v_cndmask_b32_e32 v13, v17, v38, vcc
	v_cndmask_b32_e32 v17, v12, v11, vcc
	v_cvt_f32_f16_e32 v12, v14
	v_cmp_lt_f32_e32 vcc, v17, v12
	v_cndmask_b32_e32 v18, v13, v39, vcc
	v_cvt_f32_f16_sdwa v13, v14 dst_sel:DWORD dst_unused:UNUSED_PAD src0_sel:WORD_1
	v_cvt_f32_f16_e32 v14, v15
	v_cndmask_b32_e32 v17, v17, v12, vcc
	v_cvt_f32_f16_sdwa v15, v15 dst_sel:DWORD dst_unused:UNUSED_PAD src0_sel:WORD_1
	v_cmp_lt_f32_e32 vcc, v17, v13
	v_cndmask_b32_e32 v17, v17, v13, vcc
	v_cndmask_b32_e32 v18, v18, v40, vcc
	v_cmp_lt_f32_e32 vcc, v17, v14
	v_cndmask_b32_e32 v19, v17, v14, vcc
	v_cndmask_b32_e32 v18, v18, v41, vcc
	;; [unrolled: 3-line block ×3, first 2 shown]
	s_nop 0
	v_mov_b32_dpp v18, v17 quad_perm:[1,0,3,2] row_mask:0xf bank_mask:0xf
	v_mov_b32_dpp v20, v19 quad_perm:[1,0,3,2] row_mask:0xf bank_mask:0xf
	v_cmp_eq_f32_e64 s[0:1], v19, v20
	v_cmp_lt_i32_e64 s[2:3], v18, v17
	v_cmp_lt_f32_e32 vcc, v19, v20
	s_and_b64 s[0:1], s[0:1], s[2:3]
	s_or_b64 s[0:1], vcc, s[0:1]
	s_cmp_gt_i32 s36, 0
	v_cndmask_b32_e64 v25, v19, v20, s[0:1]
	s_cselect_b64 s[44:45], -1, 0
	s_cmp_lt_i32 s36, 1
	v_cmp_eq_u32_e32 vcc, 0, v24
	s_cbranch_scc1 .LBB161_16
; %bb.5:
	s_load_dwordx4 s[40:43], s[4:5], 0x20
	v_cndmask_b32_e64 v44, v17, v18, s[0:1]
	v_mul_lo_u32 v20, v43, s6
	v_mul_lo_u32 v18, v43, s36
	v_mov_b32_e32 v26, 0
	s_and_saveexec_b64 s[4:5], vcc
	s_cbranch_execz .LBB161_7
; %bb.6:
	v_sub_f32_e32 v17, v25, v25
	v_mul_f32_e32 v19, 0x3fb8aa3b, v17
	s_mov_b32 s0, 0x3fb8aa3b
	v_rndne_f32_e32 v21, v19
	v_sub_f32_e32 v26, v19, v21
	v_fma_f32 v19, v17, s0, -v19
	v_fmac_f32_e32 v19, 0x32a5705f, v17
	v_add_f32_e32 v19, v26, v19
	v_exp_f32_e32 v19, v19
	v_cvt_i32_f32_e32 v21, v21
	v_cmp_le_i32_e64 s[0:1], s37, v44
	v_cmp_gt_i32_e64 s[2:3], s38, v44
	s_and_b64 s[2:3], s[0:1], s[2:3]
	s_mov_b32 s0, 0xc2ce8ed0
	v_ldexp_f32 v19, v19, v21
	v_cmp_ngt_f32_e64 s[0:1], s0, v17
	v_cndmask_b32_e64 v19, 0, v19, s[0:1]
	s_mov_b32 s0, 0x42b17218
	v_cmp_nlt_f32_e64 s[0:1], s0, v17
	v_ashrrev_i32_e32 v17, 31, v16
	v_mov_b32_e32 v21, 0x7f800000
	v_lshlrev_b64 v[46:47], 2, v[16:17]
	v_cndmask_b32_e64 v26, v21, v19, s[0:1]
	v_mov_b32_e32 v17, s35
	v_add_co_u32_e64 v46, s[0:1], s34, v46
	v_addc_co_u32_e64 v47, s[0:1], v17, v47, s[0:1]
	v_ashrrev_i32_e32 v21, 31, v20
	global_store_dword v[46:47], v26, off
	v_subrev_u32_e32 v17, s37, v44
	s_and_b64 s[0:1], s[46:47], s[2:3]
	v_lshlrev_b64 v[46:47], 2, v[20:21]
	v_cndmask_b32_e64 v17, 32, v17, s[0:1]
	s_waitcnt lgkmcnt(0)
	v_mov_b32_e32 v19, s41
	v_add_co_u32_e64 v46, s[0:1], s40, v46
	v_addc_co_u32_e64 v47, s[0:1], v19, v47, s[0:1]
	v_ashrrev_i32_e32 v19, 31, v18
	global_store_dword v[46:47], v17, off
	v_lshlrev_b64 v[46:47], 2, v[18:19]
	v_mov_b32_e32 v17, s43
	v_add_co_u32_e64 v46, s[0:1], s42, v46
	v_addc_co_u32_e64 v47, s[0:1], v17, v47, s[0:1]
	global_store_dword v[46:47], v43, off
.LBB161_7:
	s_or_b64 exec, exec, s[4:5]
	v_ashrrev_i32_e32 v19, 31, v44
	v_lshrrev_b32_e32 v17, 28, v19
	v_add_u32_e32 v21, v44, v17
	v_ashrrev_i32_e32 v17, 4, v21
	v_lshrrev_b32_e32 v21, 31, v21
	v_add_u32_e32 v21, v17, v21
	v_and_b32_e32 v21, -2, v21
	v_sub_u32_e32 v21, v17, v21
	v_cmp_eq_u32_e64 s[0:1], v24, v21
	s_and_saveexec_b64 s[48:49], s[0:1]
	s_cbranch_execz .LBB161_9
; %bb.8:
	v_lshrrev_b32_e32 v19, 27, v19
	v_add_u32_e32 v19, v44, v19
	v_lshlrev_b32_e32 v17, 4, v17
	v_sub_u32_e32 v17, v44, v17
	v_ashrrev_i32_e32 v19, 5, v19
	v_lshl_add_u32 v17, v19, 4, v17
	v_mov_b32_e32 v19, 0xff800000
	v_cmp_ne_u32_e64 s[0:1], 14, v17
	v_cmp_ne_u32_e64 s[2:3], 13, v17
	v_cmp_ne_u32_e64 s[4:5], 12, v17
	v_cmp_ne_u32_e64 s[6:7], 11, v17
	v_cmp_ne_u32_e64 s[8:9], 10, v17
	v_cmp_ne_u32_e64 s[10:11], 9, v17
	v_cmp_ne_u32_e64 s[12:13], 8, v17
	v_cmp_ne_u32_e64 s[14:15], 7, v17
	v_cmp_ne_u32_e64 s[16:17], 6, v17
	v_cmp_ne_u32_e64 s[18:19], 5, v17
	v_cmp_ne_u32_e64 s[20:21], 4, v17
	v_cmp_ne_u32_e64 s[22:23], 3, v17
	v_cmp_ne_u32_e64 s[24:25], 2, v17
	v_cmp_ne_u32_e64 s[26:27], 1, v17
	v_cmp_ne_u32_e64 s[28:29], 0, v17
	v_cmp_ne_u32_e64 s[30:31], 15, v17
	v_cndmask_b32_e64 v15, v19, v15, s[30:31]
	v_cndmask_b32_e64 v14, v19, v14, s[0:1]
	;; [unrolled: 1-line block ×16, first 2 shown]
.LBB161_9:
	s_or_b64 exec, exec, s[48:49]
	s_cmp_eq_u32 s36, 1
	s_cbranch_scc1 .LBB161_16
; %bb.10:
	s_add_i32 s50, s50, s33
	s_add_i32 s39, s36, -1
	v_add3_u32 v17, s50, v23, v22
	v_add_u32_e32 v18, 1, v18
	v_add_u32_e32 v20, 1, v20
	;; [unrolled: 1-line block ×3, first 2 shown]
	s_mov_b32 s50, 0x3fb8aa3b
	s_mov_b32 s51, 0xc2ce8ed0
	;; [unrolled: 1-line block ×3, first 2 shown]
	v_mov_b32_e32 v43, 0x7f800000
	v_mov_b32_e32 v44, 0xff800000
	s_branch .LBB161_12
.LBB161_11:                             ;   in Loop: Header=BB161_12 Depth=1
	s_or_b64 exec, exec, s[48:49]
	s_add_i32 s39, s39, -1
	v_add_u32_e32 v17, s33, v17
	v_add_u32_e32 v18, 1, v18
	;; [unrolled: 1-line block ×3, first 2 shown]
	s_cmp_eq_u32 s39, 0
	v_add_u32_e32 v22, 1, v22
	s_cbranch_scc1 .LBB161_16
.LBB161_12:                             ; =>This Inner Loop Header: Depth=1
	v_cmp_gt_f32_e64 s[0:1], v1, v0
	v_cndmask_b32_e64 v21, v0, v1, s[0:1]
	v_cndmask_b32_e64 v19, v27, v28, s[0:1]
	v_cmp_gt_f32_e64 s[0:1], v2, v21
	v_cndmask_b32_e64 v21, v21, v2, s[0:1]
	v_cndmask_b32_e64 v19, v19, v29, s[0:1]
	;; [unrolled: 3-line block ×15, first 2 shown]
	s_nop 0
	v_mov_b32_dpp v45, v23 quad_perm:[1,0,3,2] row_mask:0xf bank_mask:0xf
	v_mov_b32_dpp v21, v19 quad_perm:[1,0,3,2] row_mask:0xf bank_mask:0xf
	v_cmp_eq_f32_e64 s[2:3], v19, v21
	v_cmp_lt_i32_e64 s[4:5], v45, v23
	v_cmp_lt_f32_e64 s[0:1], v19, v21
	s_and_b64 s[2:3], s[2:3], s[4:5]
	s_or_b64 s[0:1], s[0:1], s[2:3]
	v_cndmask_b32_e64 v45, v23, v45, s[0:1]
	s_and_saveexec_b64 s[4:5], vcc
	s_cbranch_execz .LBB161_14
; %bb.13:                               ;   in Loop: Header=BB161_12 Depth=1
	v_cndmask_b32_e64 v19, v19, v21, s[0:1]
	v_sub_f32_e32 v19, v19, v25
	v_mul_f32_e32 v21, 0x3fb8aa3b, v19
	v_fma_f32 v23, v19, s50, -v21
	v_rndne_f32_e32 v46, v21
	v_fmac_f32_e32 v23, 0x32a5705f, v19
	v_sub_f32_e32 v21, v21, v46
	v_add_f32_e32 v21, v21, v23
	v_exp_f32_e32 v21, v21
	v_cvt_i32_f32_e32 v23, v46
	v_cmp_le_i32_e64 s[0:1], s37, v45
	v_cmp_gt_i32_e64 s[2:3], s38, v45
	s_and_b64 s[2:3], s[0:1], s[2:3]
	v_ldexp_f32 v21, v21, v23
	v_cmp_ngt_f32_e64 s[0:1], s51, v19
	v_ashrrev_i32_e32 v23, 31, v22
	v_cndmask_b32_e64 v21, 0, v21, s[0:1]
	v_cmp_nlt_f32_e64 s[0:1], s52, v19
	v_lshlrev_b64 v[46:47], 2, v[22:23]
	v_cndmask_b32_e64 v48, v43, v21, s[0:1]
	v_mov_b32_e32 v19, s35
	v_add_co_u32_e64 v46, s[0:1], s34, v46
	v_addc_co_u32_e64 v47, s[0:1], v19, v47, s[0:1]
	v_ashrrev_i32_e32 v21, 31, v20
	global_store_dword v[46:47], v48, off
	v_subrev_u32_e32 v19, s37, v45
	s_and_b64 s[0:1], s[46:47], s[2:3]
	v_lshlrev_b64 v[46:47], 2, v[20:21]
	v_cndmask_b32_e64 v19, 32, v19, s[0:1]
	s_waitcnt lgkmcnt(0)
	v_mov_b32_e32 v21, s41
	v_add_co_u32_e64 v46, s[0:1], s40, v46
	v_addc_co_u32_e64 v47, s[0:1], v21, v47, s[0:1]
	global_store_dword v[46:47], v19, off
	v_ashrrev_i32_e32 v19, 31, v18
	v_lshlrev_b64 v[46:47], 2, v[18:19]
	v_mov_b32_e32 v19, s43
	v_add_co_u32_e64 v46, s[0:1], s42, v46
	v_addc_co_u32_e64 v47, s[0:1], v19, v47, s[0:1]
	v_add_f32_e32 v26, v26, v48
	global_store_dword v[46:47], v17, off
.LBB161_14:                             ;   in Loop: Header=BB161_12 Depth=1
	s_or_b64 exec, exec, s[4:5]
	v_ashrrev_i32_e32 v21, 31, v45
	v_lshrrev_b32_e32 v19, 28, v21
	v_add_u32_e32 v23, v45, v19
	v_ashrrev_i32_e32 v19, 4, v23
	v_lshrrev_b32_e32 v23, 31, v23
	v_add_u32_e32 v23, v19, v23
	v_and_b32_e32 v23, -2, v23
	v_sub_u32_e32 v23, v19, v23
	v_cmp_eq_u32_e64 s[0:1], v24, v23
	s_and_saveexec_b64 s[48:49], s[0:1]
	s_cbranch_execz .LBB161_11
; %bb.15:                               ;   in Loop: Header=BB161_12 Depth=1
	v_lshrrev_b32_e32 v21, 27, v21
	v_add_u32_e32 v21, v45, v21
	v_lshlrev_b32_e32 v19, 4, v19
	v_sub_u32_e32 v19, v45, v19
	v_ashrrev_i32_e32 v21, 5, v21
	v_lshl_add_u32 v19, v21, 4, v19
	v_cmp_ne_u32_e64 s[0:1], 14, v19
	v_cmp_ne_u32_e64 s[2:3], 13, v19
	;; [unrolled: 1-line block ×16, first 2 shown]
	v_cndmask_b32_e64 v15, v44, v15, s[30:31]
	v_cndmask_b32_e64 v14, v44, v14, s[0:1]
	;; [unrolled: 1-line block ×16, first 2 shown]
	s_branch .LBB161_11
.LBB161_16:
	v_sub_f32_e32 v0, v0, v25
	s_mov_b32 s2, 0x3fb8aa3b
	v_mul_f32_e32 v17, 0x3fb8aa3b, v0
	v_fma_f32 v18, v0, s2, -v17
	v_rndne_f32_e32 v19, v17
	v_fmac_f32_e32 v18, 0x32a5705f, v0
	v_sub_f32_e32 v17, v17, v19
	v_add_f32_e32 v17, v17, v18
	v_exp_f32_e32 v17, v17
	v_cvt_i32_f32_e32 v18, v19
	v_sub_f32_e32 v1, v1, v25
	s_mov_b32 s4, 0xc2ce8ed0
	s_mov_b32 s3, 0x42b17218
	v_ldexp_f32 v17, v17, v18
	v_mul_f32_e32 v18, 0x3fb8aa3b, v1
	v_fma_f32 v19, v1, s2, -v18
	v_rndne_f32_e32 v20, v18
	v_fmac_f32_e32 v19, 0x32a5705f, v1
	v_sub_f32_e32 v18, v18, v20
	v_add_f32_e32 v18, v18, v19
	v_exp_f32_e32 v18, v18
	v_cvt_i32_f32_e32 v19, v20
	v_cmp_ngt_f32_e32 vcc, s4, v1
	v_cmp_ngt_f32_e64 s[0:1], s4, v0
	v_sub_f32_e32 v2, v2, v25
	v_ldexp_f32 v18, v18, v19
	v_cndmask_b32_e32 v18, 0, v18, vcc
	v_mov_b32_e32 v19, 0x7f800000
	v_cmp_nlt_f32_e32 vcc, s3, v1
	v_cndmask_b32_e64 v1, 0, v17, s[0:1]
	v_cmp_nlt_f32_e64 s[0:1], s3, v0
	v_cndmask_b32_e64 v0, v19, v1, s[0:1]
	v_cndmask_b32_e32 v1, v19, v18, vcc
	v_add_f32_e32 v0, v0, v1
	v_mul_f32_e32 v1, 0x3fb8aa3b, v2
	v_fma_f32 v17, v2, s2, -v1
	v_rndne_f32_e32 v18, v1
	v_fmac_f32_e32 v17, 0x32a5705f, v2
	v_sub_f32_e32 v1, v1, v18
	v_add_f32_e32 v1, v1, v17
	v_exp_f32_e32 v1, v1
	v_cvt_i32_f32_e32 v17, v18
	v_cmp_ngt_f32_e32 vcc, s4, v2
	v_sub_f32_e32 v3, v3, v25
	v_sub_f32_e32 v4, v4, v25
	v_ldexp_f32 v1, v1, v17
	v_cndmask_b32_e32 v1, 0, v1, vcc
	v_cmp_nlt_f32_e32 vcc, s3, v2
	v_cndmask_b32_e32 v1, v19, v1, vcc
	v_add_f32_e32 v0, v0, v1
	v_mul_f32_e32 v1, 0x3fb8aa3b, v3
	v_fma_f32 v2, v3, s2, -v1
	v_rndne_f32_e32 v17, v1
	v_fmac_f32_e32 v2, 0x32a5705f, v3
	v_sub_f32_e32 v1, v1, v17
	v_add_f32_e32 v1, v1, v2
	v_exp_f32_e32 v1, v1
	v_cvt_i32_f32_e32 v2, v17
	v_cmp_ngt_f32_e32 vcc, s4, v3
	v_sub_f32_e32 v5, v5, v25
	v_sub_f32_e32 v6, v6, v25
	v_ldexp_f32 v1, v1, v2
	v_cndmask_b32_e32 v1, 0, v1, vcc
	v_cmp_nlt_f32_e32 vcc, s3, v3
	;; [unrolled: 16-line block ×5, first 2 shown]
	v_cndmask_b32_e32 v1, v19, v1, vcc
	v_add_f32_e32 v0, v0, v1
	v_mul_f32_e32 v1, 0x3fb8aa3b, v7
	v_fma_f32 v2, v7, s2, -v1
	v_rndne_f32_e32 v3, v1
	v_fmac_f32_e32 v2, 0x32a5705f, v7
	v_sub_f32_e32 v1, v1, v3
	v_add_f32_e32 v1, v1, v2
	v_exp_f32_e32 v1, v1
	v_cvt_i32_f32_e32 v2, v3
	v_cmp_ngt_f32_e32 vcc, s4, v7
	v_ldexp_f32 v1, v1, v2
	v_mul_f32_e32 v2, 0x3fb8aa3b, v8
	v_fma_f32 v3, v8, s2, -v2
	v_rndne_f32_e32 v4, v2
	v_fmac_f32_e32 v3, 0x32a5705f, v8
	v_sub_f32_e32 v2, v2, v4
	v_add_f32_e32 v2, v2, v3
	v_exp_f32_e32 v2, v2
	v_cvt_i32_f32_e32 v3, v4
	v_cndmask_b32_e32 v1, 0, v1, vcc
	v_cmp_nlt_f32_e32 vcc, s3, v7
	v_cndmask_b32_e32 v1, v19, v1, vcc
	v_add_f32_e32 v0, v0, v1
	v_ldexp_f32 v1, v2, v3
	v_mul_f32_e32 v2, 0x3fb8aa3b, v9
	v_fma_f32 v3, v9, s2, -v2
	v_rndne_f32_e32 v4, v2
	v_fmac_f32_e32 v3, 0x32a5705f, v9
	v_sub_f32_e32 v2, v2, v4
	v_add_f32_e32 v2, v2, v3
	v_exp_f32_e32 v2, v2
	v_cvt_i32_f32_e32 v3, v4
	v_cmp_ngt_f32_e32 vcc, s4, v8
	v_cndmask_b32_e32 v1, 0, v1, vcc
	v_cmp_nlt_f32_e32 vcc, s3, v8
	v_cndmask_b32_e32 v1, v19, v1, vcc
	v_add_f32_e32 v0, v0, v1
	v_ldexp_f32 v1, v2, v3
	v_mul_f32_e32 v2, 0x3fb8aa3b, v10
	v_fma_f32 v3, v10, s2, -v2
	v_rndne_f32_e32 v4, v2
	v_fmac_f32_e32 v3, 0x32a5705f, v10
	v_sub_f32_e32 v2, v2, v4
	v_add_f32_e32 v2, v2, v3
	v_exp_f32_e32 v2, v2
	v_cvt_i32_f32_e32 v3, v4
	v_cmp_ngt_f32_e32 vcc, s4, v9
	;; [unrolled: 14-line block ×4, first 2 shown]
	v_cndmask_b32_e32 v1, 0, v1, vcc
	v_cmp_nlt_f32_e32 vcc, s3, v11
	v_cndmask_b32_e32 v1, v19, v1, vcc
	v_add_f32_e32 v0, v0, v1
	v_ldexp_f32 v1, v2, v3
	v_sub_f32_e32 v2, v13, v25
	v_mul_f32_e32 v3, 0x3fb8aa3b, v2
	v_fma_f32 v4, v2, s2, -v3
	v_rndne_f32_e32 v5, v3
	v_fmac_f32_e32 v4, 0x32a5705f, v2
	v_sub_f32_e32 v3, v3, v5
	v_add_f32_e32 v3, v3, v4
	v_exp_f32_e32 v3, v3
	v_cvt_i32_f32_e32 v4, v5
	v_cmp_ngt_f32_e32 vcc, s4, v12
	v_cndmask_b32_e32 v1, 0, v1, vcc
	v_cmp_nlt_f32_e32 vcc, s3, v12
	v_cndmask_b32_e32 v1, v19, v1, vcc
	v_add_f32_e32 v0, v0, v1
	v_ldexp_f32 v1, v3, v4
	v_sub_f32_e32 v3, v14, v25
	v_mul_f32_e32 v4, 0x3fb8aa3b, v3
	v_fma_f32 v5, v3, s2, -v4
	v_rndne_f32_e32 v6, v4
	v_fmac_f32_e32 v5, 0x32a5705f, v3
	v_sub_f32_e32 v4, v4, v6
	v_add_f32_e32 v4, v4, v5
	v_exp_f32_e32 v4, v4
	v_cvt_i32_f32_e32 v5, v6
	v_cmp_ngt_f32_e32 vcc, s4, v2
	v_cndmask_b32_e32 v1, 0, v1, vcc
	v_cmp_nlt_f32_e32 vcc, s3, v2
	v_cndmask_b32_e32 v1, v19, v1, vcc
	v_sub_f32_e32 v2, v15, v25
	v_add_f32_e32 v0, v0, v1
	v_ldexp_f32 v1, v4, v5
	v_mul_f32_e32 v4, 0x3fb8aa3b, v2
	v_fma_f32 v5, v2, s2, -v4
	v_rndne_f32_e32 v6, v4
	v_fmac_f32_e32 v5, 0x32a5705f, v2
	v_sub_f32_e32 v4, v4, v6
	v_add_f32_e32 v4, v4, v5
	v_exp_f32_e32 v4, v4
	v_cvt_i32_f32_e32 v5, v6
	v_cmp_ngt_f32_e32 vcc, s4, v3
	v_cndmask_b32_e32 v1, 0, v1, vcc
	v_cmp_nlt_f32_e32 vcc, s3, v3
	v_cndmask_b32_e32 v1, v19, v1, vcc
	v_add_f32_e32 v0, v0, v1
	v_ldexp_f32 v1, v4, v5
	v_cmp_ngt_f32_e32 vcc, s4, v2
	v_cndmask_b32_e32 v1, 0, v1, vcc
	v_cmp_nlt_f32_e32 vcc, s3, v2
	v_cndmask_b32_e32 v1, v19, v1, vcc
	v_add_f32_e32 v0, v0, v1
	v_cmp_eq_u32_e32 vcc, 0, v24
	s_nop 0
	v_mov_b32_dpp v1, v0 quad_perm:[1,0,3,2] row_mask:0xf bank_mask:0xf
	s_and_b64 exec, exec, vcc
	s_cbranch_execz .LBB161_29
; %bb.17:
	v_add_f32_e32 v0, v0, v1
	v_add_f32_e32 v0, v26, v0
	v_cmp_neq_f32_e32 vcc, 0, v0
	s_and_b64 exec, exec, vcc
	s_cbranch_execz .LBB161_29
; %bb.18:
	s_andn2_b64 vcc, exec, s[44:45]
	s_cbranch_vccnz .LBB161_29
; %bb.19:
	v_div_scale_f32 v1, s[0:1], v0, v0, 1.0
	v_rcp_f32_e32 v2, v1
	v_div_scale_f32 v3, vcc, 1.0, v0, 1.0
	s_cmp_gt_u32 s36, 3
	v_fma_f32 v4, -v1, v2, 1.0
	v_fmac_f32_e32 v2, v4, v2
	v_mul_f32_e32 v4, v3, v2
	v_fma_f32 v5, -v1, v4, v3
	v_fmac_f32_e32 v4, v5, v2
	v_fma_f32 v1, -v1, v4, v3
	v_div_fmas_f32 v1, v1, v2, v4
	v_div_fixup_f32 v0, v1, v0, 1.0
	v_ashrrev_i32_e32 v17, 31, v16
	s_cbranch_scc0 .LBB161_23
; %bb.20:
	v_lshlrev_b64 v[2:3], 2, v[16:17]
	v_mov_b32_e32 v4, s35
	v_add_co_u32_e32 v2, vcc, s34, v2
	v_addc_co_u32_e32 v3, vcc, v3, v4, vcc
	s_and_b32 s4, s36, 0x7ffffffc
	v_add_co_u32_e32 v2, vcc, 8, v2
	v_mov_b32_e32 v1, v0
	v_addc_co_u32_e32 v3, vcc, 0, v3, vcc
	s_mov_b32 s0, s4
.LBB161_21:                             ; =>This Inner Loop Header: Depth=1
	global_load_dwordx4 v[4:7], v[2:3], off offset:-8
	s_add_i32 s0, s0, -4
	s_cmp_lg_u32 s0, 0
	s_waitcnt vmcnt(0)
	v_pk_mul_f32 v[4:5], v[0:1], v[4:5]
	v_pk_mul_f32 v[6:7], v[0:1], v[6:7]
	global_store_dwordx4 v[2:3], v[4:7], off offset:-8
	v_add_co_u32_e32 v2, vcc, 16, v2
	v_addc_co_u32_e32 v3, vcc, 0, v3, vcc
	s_cbranch_scc1 .LBB161_21
; %bb.22:
	s_cmp_lg_u32 s4, s36
	s_mov_b64 s[2:3], 0
	s_cselect_b64 s[0:1], -1, 0
	s_branch .LBB161_24
.LBB161_23:
	s_mov_b64 s[2:3], -1
	s_mov_b64 s[0:1], 0
                                        ; implicit-def: $sgpr4
.LBB161_24:
	s_and_b64 vcc, exec, s[2:3]
	s_cbranch_vccz .LBB161_26
; %bb.25:
	s_mov_b64 s[0:1], -1
	s_mov_b32 s4, 0
.LBB161_26:
	s_andn2_b64 vcc, exec, s[0:1]
	s_cbranch_vccnz .LBB161_29
; %bb.27:
	v_add_co_u32_e32 v2, vcc, s4, v16
	v_addc_co_u32_e32 v3, vcc, 0, v17, vcc
	v_lshlrev_b64 v[2:3], 2, v[2:3]
	v_mov_b32_e32 v1, s35
	v_add_co_u32_e32 v2, vcc, s34, v2
	s_sub_i32 s0, s36, s4
	v_addc_co_u32_e32 v3, vcc, v1, v3, vcc
.LBB161_28:                             ; =>This Inner Loop Header: Depth=1
	global_load_dword v1, v[2:3], off
	s_add_i32 s0, s0, -1
	s_cmp_lg_u32 s0, 0
	s_waitcnt vmcnt(0)
	v_mul_f32_e32 v1, v0, v1
	global_store_dword v[2:3], v1, off
	v_add_co_u32_e32 v2, vcc, 4, v2
	v_addc_co_u32_e32 v3, vcc, 0, v3, vcc
	s_cbranch_scc1 .LBB161_28
.LBB161_29:
	s_endpgm
	.section	.rodata,"a",@progbits
	.p2align	6, 0x0
	.amdhsa_kernel _ZN4vllm3moe17topkGatingSoftmaxIDF16_Li16ELi32ELi8ELi32ELb0ELi2ELNS0_23SharedExpertScoringFuncE1EEEvPKT_PKbPfiPiS9_iiiiii
		.amdhsa_group_segment_fixed_size 0
		.amdhsa_private_segment_fixed_size 0
		.amdhsa_kernarg_size 72
		.amdhsa_user_sgpr_count 6
		.amdhsa_user_sgpr_private_segment_buffer 1
		.amdhsa_user_sgpr_dispatch_ptr 0
		.amdhsa_user_sgpr_queue_ptr 0
		.amdhsa_user_sgpr_kernarg_segment_ptr 1
		.amdhsa_user_sgpr_dispatch_id 0
		.amdhsa_user_sgpr_flat_scratch_init 0
		.amdhsa_user_sgpr_kernarg_preload_length 0
		.amdhsa_user_sgpr_kernarg_preload_offset 0
		.amdhsa_user_sgpr_private_segment_size 0
		.amdhsa_uses_dynamic_stack 0
		.amdhsa_system_sgpr_private_segment_wavefront_offset 0
		.amdhsa_system_sgpr_workgroup_id_x 1
		.amdhsa_system_sgpr_workgroup_id_y 0
		.amdhsa_system_sgpr_workgroup_id_z 0
		.amdhsa_system_sgpr_workgroup_info 0
		.amdhsa_system_vgpr_workitem_id 1
		.amdhsa_next_free_vgpr 49
		.amdhsa_next_free_sgpr 53
		.amdhsa_accum_offset 52
		.amdhsa_reserve_vcc 1
		.amdhsa_reserve_flat_scratch 0
		.amdhsa_float_round_mode_32 0
		.amdhsa_float_round_mode_16_64 0
		.amdhsa_float_denorm_mode_32 3
		.amdhsa_float_denorm_mode_16_64 3
		.amdhsa_dx10_clamp 1
		.amdhsa_ieee_mode 1
		.amdhsa_fp16_overflow 0
		.amdhsa_tg_split 0
		.amdhsa_exception_fp_ieee_invalid_op 0
		.amdhsa_exception_fp_denorm_src 0
		.amdhsa_exception_fp_ieee_div_zero 0
		.amdhsa_exception_fp_ieee_overflow 0
		.amdhsa_exception_fp_ieee_underflow 0
		.amdhsa_exception_fp_ieee_inexact 0
		.amdhsa_exception_int_div_zero 0
	.end_amdhsa_kernel
	.section	.text._ZN4vllm3moe17topkGatingSoftmaxIDF16_Li16ELi32ELi8ELi32ELb0ELi2ELNS0_23SharedExpertScoringFuncE1EEEvPKT_PKbPfiPiS9_iiiiii,"axG",@progbits,_ZN4vllm3moe17topkGatingSoftmaxIDF16_Li16ELi32ELi8ELi32ELb0ELi2ELNS0_23SharedExpertScoringFuncE1EEEvPKT_PKbPfiPiS9_iiiiii,comdat
.Lfunc_end161:
	.size	_ZN4vllm3moe17topkGatingSoftmaxIDF16_Li16ELi32ELi8ELi32ELb0ELi2ELNS0_23SharedExpertScoringFuncE1EEEvPKT_PKbPfiPiS9_iiiiii, .Lfunc_end161-_ZN4vllm3moe17topkGatingSoftmaxIDF16_Li16ELi32ELi8ELi32ELb0ELi2ELNS0_23SharedExpertScoringFuncE1EEEvPKT_PKbPfiPiS9_iiiiii
                                        ; -- End function
	.section	.AMDGPU.csdata,"",@progbits
; Kernel info:
; codeLenInByte = 4372
; NumSgprs: 57
; NumVgprs: 49
; NumAgprs: 0
; TotalNumVgprs: 49
; ScratchSize: 0
; MemoryBound: 0
; FloatMode: 240
; IeeeMode: 1
; LDSByteSize: 0 bytes/workgroup (compile time only)
; SGPRBlocks: 7
; VGPRBlocks: 6
; NumSGPRsForWavesPerEU: 57
; NumVGPRsForWavesPerEU: 49
; AccumOffset: 52
; Occupancy: 8
; WaveLimiterHint : 0
; COMPUTE_PGM_RSRC2:SCRATCH_EN: 0
; COMPUTE_PGM_RSRC2:USER_SGPR: 6
; COMPUTE_PGM_RSRC2:TRAP_HANDLER: 0
; COMPUTE_PGM_RSRC2:TGID_X_EN: 1
; COMPUTE_PGM_RSRC2:TGID_Y_EN: 0
; COMPUTE_PGM_RSRC2:TGID_Z_EN: 0
; COMPUTE_PGM_RSRC2:TIDIG_COMP_CNT: 1
; COMPUTE_PGM_RSRC3_GFX90A:ACCUM_OFFSET: 12
; COMPUTE_PGM_RSRC3_GFX90A:TG_SPLIT: 0
	.section	.text._ZN4vllm3moe17topkGatingSoftmaxIDF16_Li16ELi32ELi8ELi32ELb1ELi4ELNS0_23SharedExpertScoringFuncE1EEEvPKT_PKbPfiPiS9_iiiiii,"axG",@progbits,_ZN4vllm3moe17topkGatingSoftmaxIDF16_Li16ELi32ELi8ELi32ELb1ELi4ELNS0_23SharedExpertScoringFuncE1EEEvPKT_PKbPfiPiS9_iiiiii,comdat
	.protected	_ZN4vllm3moe17topkGatingSoftmaxIDF16_Li16ELi32ELi8ELi32ELb1ELi4ELNS0_23SharedExpertScoringFuncE1EEEvPKT_PKbPfiPiS9_iiiiii ; -- Begin function _ZN4vllm3moe17topkGatingSoftmaxIDF16_Li16ELi32ELi8ELi32ELb1ELi4ELNS0_23SharedExpertScoringFuncE1EEEvPKT_PKbPfiPiS9_iiiiii
	.globl	_ZN4vllm3moe17topkGatingSoftmaxIDF16_Li16ELi32ELi8ELi32ELb1ELi4ELNS0_23SharedExpertScoringFuncE1EEEvPKT_PKbPfiPiS9_iiiiii
	.p2align	8
	.type	_ZN4vllm3moe17topkGatingSoftmaxIDF16_Li16ELi32ELi8ELi32ELb1ELi4ELNS0_23SharedExpertScoringFuncE1EEEvPKT_PKbPfiPiS9_iiiiii,@function
_ZN4vllm3moe17topkGatingSoftmaxIDF16_Li16ELi32ELi8ELi32ELb1ELi4ELNS0_23SharedExpertScoringFuncE1EEEvPKT_PKbPfiPiS9_iiiiii: ; @_ZN4vllm3moe17topkGatingSoftmaxIDF16_Li16ELi32ELi8ELi32ELb1ELi4ELNS0_23SharedExpertScoringFuncE1EEEvPKT_PKbPfiPiS9_iiiiii
; %bb.0:
	s_load_dword s33, s[4:5], 0x18
	v_bfe_u32 v1, v0, 10, 10
	v_and_b32_e32 v0, 0x3ff, v0
	s_lshl_b32 s50, s6, 8
	v_lshlrev_b32_e32 v22, 5, v1
	v_lshrrev_b32_e32 v23, 1, v0
	v_add3_u32 v43, s50, v22, v23
	s_waitcnt lgkmcnt(0)
	v_cmp_gt_i32_e32 vcc, s33, v43
	s_and_saveexec_b64 s[0:1], vcc
	s_cbranch_execz .LBB162_30
; %bb.1:
	s_load_dwordx4 s[0:3], s[4:5], 0x0
	s_load_dwordx2 s[34:35], s[4:5], 0x10
	s_mov_b64 s[6:7], 0
	s_waitcnt lgkmcnt(0)
	s_cmp_eq_u64 s[2:3], 0
	s_cbranch_scc1 .LBB162_3
; %bb.2:
	v_ashrrev_i32_e32 v1, 31, v43
	v_mov_b32_e32 v3, s3
	v_add_co_u32_e32 v2, vcc, s2, v43
	v_addc_co_u32_e32 v3, vcc, v3, v1, vcc
	global_load_ubyte v1, v[2:3], off
	s_waitcnt vmcnt(0)
	v_and_b32_e32 v1, 1, v1
	v_cmp_eq_u32_e32 vcc, 1, v1
	s_xor_b64 s[2:3], vcc, -1
	s_orn2_b64 s[44:45], s[2:3], exec
	s_branch .LBB162_4
.LBB162_3:
	s_mov_b64 s[44:45], -1
.LBB162_4:
	s_load_dwordx2 s[8:9], s[4:5], 0x40
	s_load_dwordx4 s[36:39], s[4:5], 0x30
	v_mov_b32_e32 v1, s1
	v_and_b32_e32 v24, 1, v0
	v_lshlrev_b32_e32 v0, 5, v24
	s_waitcnt lgkmcnt(0)
	v_mul_lo_u32 v2, v43, s9
	v_ashrrev_i32_e32 v3, 31, v2
	v_lshlrev_b64 v[8:9], 1, v[2:3]
	v_add_co_u32_e32 v2, vcc, s0, v8
	v_addc_co_u32_e32 v1, vcc, v1, v9, vcc
	v_add_co_u32_e32 v0, vcc, v2, v0
	v_addc_co_u32_e32 v1, vcc, 0, v1, vcc
	global_load_dwordx4 v[12:15], v[0:1], off offset:16
	global_load_dwordx4 v[4:7], v[0:1], off
	v_lshlrev_b32_e32 v0, 1, v24
	v_add_co_u32_e32 v0, vcc, v8, v0
	v_addc_co_u32_e32 v1, vcc, 0, v9, vcc
	v_mov_b32_e32 v3, s1
	v_add_co_u32_e32 v0, vcc, s0, v0
	v_addc_co_u32_e32 v1, vcc, v1, v3, vcc
	v_mul_lo_u32 v16, v43, s39
	v_add_co_u32_e32 v0, vcc, 64, v0
	v_lshlrev_b32_e32 v25, 4, v24
	v_add_u32_e32 v2, s36, v16
	v_addc_co_u32_e32 v1, vcc, 0, v1, vcc
	s_mov_b32 s0, 0x3fb8aa3b
	s_mov_b32 s1, 0x32a5705f
	;; [unrolled: 1-line block ×4, first 2 shown]
	v_mov_b32_e32 v3, 0x7f800000
	v_mov_b32_e32 v8, s35
	;; [unrolled: 1-line block ×3, first 2 shown]
.LBB162_5:                              ; =>This Inner Loop Header: Depth=1
	global_load_ushort v17, v[0:1], off
	v_add_co_u32_e32 v0, vcc, 4, v0
	v_add_u32_e32 v18, 2, v9
	v_addc_co_u32_e32 v1, vcc, 0, v1, vcc
	v_add_u32_e32 v10, v2, v9
	v_cmp_lt_u32_e32 vcc, 1, v9
	v_mov_b32_e32 v9, v18
	v_ashrrev_i32_e32 v11, 31, v10
	v_lshlrev_b64 v[10:11], 2, v[10:11]
	s_or_b64 s[6:7], vcc, s[6:7]
	v_add_co_u32_e32 v10, vcc, s34, v10
	v_addc_co_u32_e32 v11, vcc, v8, v11, vcc
	s_waitcnt vmcnt(0)
	v_cvt_f32_f16_e64 v18, -v17
	v_mul_f32_e32 v19, 0x3fb8aa3b, v18
	v_rndne_f32_e32 v20, v19
	v_fma_mix_f32 v21, -v17, s0, -v19 op_sel_hi:[1,0,0]
	v_sub_f32_e32 v19, v19, v20
	v_fma_mix_f32 v17, -v17, s1, v21 op_sel_hi:[1,0,0]
	v_add_f32_e32 v17, v19, v17
	v_cvt_i32_f32_e32 v20, v20
	v_exp_f32_e32 v17, v17
	v_cmp_ngt_f32_e32 vcc, s2, v18
	v_ldexp_f32 v17, v17, v20
	v_cndmask_b32_e32 v17, 0, v17, vcc
	v_cmp_nlt_f32_e32 vcc, s3, v18
	v_cndmask_b32_e32 v17, v3, v17, vcc
	v_add_f32_e32 v17, 1.0, v17
	v_div_scale_f32 v18, s[10:11], v17, v17, 1.0
	v_rcp_f32_e32 v19, v18
	v_div_scale_f32 v20, vcc, 1.0, v17, 1.0
	v_fma_f32 v21, -v18, v19, 1.0
	v_fmac_f32_e32 v19, v21, v19
	v_mul_f32_e32 v21, v20, v19
	v_fma_f32 v26, -v18, v21, v20
	v_fmac_f32_e32 v21, v26, v19
	v_fma_f32 v18, -v18, v21, v20
	v_div_fmas_f32 v18, v18, v19, v21
	v_div_fixup_f32 v17, v18, v17, 1.0
	global_store_dword v[10:11], v17, off
	s_andn2_b64 exec, exec, s[6:7]
	s_cbranch_execnz .LBB162_5
; %bb.6:
	s_or_b64 exec, exec, s[6:7]
	v_cvt_f32_f16_e32 v0, v4
	v_cvt_f32_f16_sdwa v1, v4 dst_sel:DWORD dst_unused:UNUSED_PAD src0_sel:WORD_1
	v_cvt_f32_f16_e32 v2, v5
	v_cmp_lt_f16_sdwa vcc, v4, v4 src0_sel:DWORD src1_sel:WORD_1
	v_or_b32_e32 v26, 1, v25
	v_cndmask_b32_e32 v4, v0, v1, vcc
	v_cndmask_b32_e32 v3, v25, v26, vcc
	v_or_b32_e32 v27, 2, v25
	v_cmp_lt_f32_e32 vcc, v4, v2
	v_cndmask_b32_e32 v8, v3, v27, vcc
	v_cvt_f32_f16_sdwa v3, v5 dst_sel:DWORD dst_unused:UNUSED_PAD src0_sel:WORD_1
	v_cndmask_b32_e32 v4, v4, v2, vcc
	v_or_b32_e32 v28, 3, v25
	v_or_b32_e32 v29, 4, v25
	v_cmp_lt_f32_e32 vcc, v4, v3
	v_cndmask_b32_e32 v5, v8, v28, vcc
	v_cndmask_b32_e32 v8, v4, v3, vcc
	v_cvt_f32_f16_e32 v4, v6
	v_or_b32_e32 v30, 5, v25
	v_or_b32_e32 v31, 6, v25
	;; [unrolled: 1-line block ×3, first 2 shown]
	v_cmp_lt_f32_e32 vcc, v8, v4
	v_cndmask_b32_e32 v9, v5, v29, vcc
	v_cvt_f32_f16_sdwa v5, v6 dst_sel:DWORD dst_unused:UNUSED_PAD src0_sel:WORD_1
	v_cvt_f32_f16_e32 v6, v7
	v_cndmask_b32_e32 v8, v8, v4, vcc
	v_cvt_f32_f16_sdwa v7, v7 dst_sel:DWORD dst_unused:UNUSED_PAD src0_sel:WORD_1
	v_cmp_lt_f32_e32 vcc, v8, v5
	v_cndmask_b32_e32 v8, v8, v5, vcc
	v_cndmask_b32_e32 v9, v9, v30, vcc
	v_cmp_lt_f32_e32 vcc, v8, v6
	v_cndmask_b32_e32 v8, v8, v6, vcc
	v_cndmask_b32_e32 v9, v9, v31, vcc
	v_cmp_lt_f32_e32 vcc, v8, v7
	v_cndmask_b32_e32 v10, v8, v7, vcc
	v_cvt_f32_f16_e32 v8, v12
	v_cndmask_b32_e32 v9, v9, v32, vcc
	v_or_b32_e32 v33, 8, v25
	v_or_b32_e32 v34, 9, v25
	v_cmp_lt_f32_e32 vcc, v10, v8
	v_cndmask_b32_e32 v11, v9, v33, vcc
	v_cvt_f32_f16_sdwa v9, v12 dst_sel:DWORD dst_unused:UNUSED_PAD src0_sel:WORD_1
	v_cndmask_b32_e32 v10, v10, v8, vcc
	v_or_b32_e32 v35, 10, v25
	v_or_b32_e32 v36, 11, v25
	v_cmp_lt_f32_e32 vcc, v10, v9
	v_cndmask_b32_e32 v12, v10, v9, vcc
	v_cvt_f32_f16_e32 v10, v13
	v_cndmask_b32_e32 v11, v11, v34, vcc
	v_or_b32_e32 v37, 12, v25
	v_or_b32_e32 v38, 13, v25
	v_cmp_lt_f32_e32 vcc, v12, v10
	v_cndmask_b32_e32 v17, v11, v35, vcc
	v_cvt_f32_f16_sdwa v11, v13 dst_sel:DWORD dst_unused:UNUSED_PAD src0_sel:WORD_1
	v_cndmask_b32_e32 v12, v12, v10, vcc
	v_or_b32_e32 v39, 14, v25
	v_or_b32_e32 v40, 15, v25
	v_cmp_lt_f32_e32 vcc, v12, v11
	v_cndmask_b32_e32 v13, v17, v36, vcc
	v_cndmask_b32_e32 v17, v12, v11, vcc
	v_cvt_f32_f16_e32 v12, v14
	s_cmp_gt_i32 s36, 0
	s_cselect_b64 s[46:47], -1, 0
	v_cmp_eq_u32_e64 s[0:1], 0, v24
	v_cmp_lt_f32_e32 vcc, v17, v12
	v_cndmask_b32_e32 v18, v13, v37, vcc
	v_cvt_f32_f16_sdwa v13, v14 dst_sel:DWORD dst_unused:UNUSED_PAD src0_sel:WORD_1
	v_cvt_f32_f16_e32 v14, v15
	v_cndmask_b32_e32 v17, v17, v12, vcc
	v_cvt_f32_f16_sdwa v15, v15 dst_sel:DWORD dst_unused:UNUSED_PAD src0_sel:WORD_1
	v_cmp_lt_f32_e32 vcc, v17, v13
	v_cndmask_b32_e32 v17, v17, v13, vcc
	v_cndmask_b32_e32 v18, v18, v38, vcc
	v_cmp_lt_f32_e32 vcc, v17, v14
	v_cndmask_b32_e32 v17, v17, v14, vcc
	v_cndmask_b32_e32 v18, v18, v39, vcc
	;; [unrolled: 3-line block ×3, first 2 shown]
	s_and_b64 vcc, exec, s[46:47]
	v_mov_b32_dpp v20, v18 quad_perm:[1,0,3,2] row_mask:0xf bank_mask:0xf
	v_mov_b32_dpp v19, v17 quad_perm:[1,0,3,2] row_mask:0xf bank_mask:0xf
	s_cbranch_vccz .LBB162_18
; %bb.7:
	s_load_dwordx4 s[40:43], s[4:5], 0x20
	v_cmp_eq_f32_e64 s[2:3], v17, v19
	v_cmp_lt_i32_e64 s[6:7], v20, v18
	v_cmp_lt_f32_e32 vcc, v17, v19
	s_and_b64 s[2:3], s[2:3], s[6:7]
	s_or_b64 vcc, vcc, s[2:3]
	v_cndmask_b32_e32 v44, v18, v20, vcc
	v_cndmask_b32_e32 v42, v17, v19, vcc
	v_mul_lo_u32 v20, v43, s8
	v_mul_lo_u32 v18, v43, s36
	v_mov_b32_e32 v41, 0
	s_and_saveexec_b64 s[4:5], s[0:1]
	s_cbranch_execz .LBB162_9
; %bb.8:
	v_sub_f32_e32 v17, v42, v42
	v_mul_f32_e32 v19, 0x3fb8aa3b, v17
	s_mov_b32 s2, 0x3fb8aa3b
	v_rndne_f32_e32 v21, v19
	v_sub_f32_e32 v41, v19, v21
	v_fma_f32 v19, v17, s2, -v19
	v_fmac_f32_e32 v19, 0x32a5705f, v17
	v_add_f32_e32 v19, v41, v19
	v_exp_f32_e32 v19, v19
	v_cvt_i32_f32_e32 v21, v21
	v_cmp_le_i32_e32 vcc, s37, v44
	v_cmp_gt_i32_e64 s[2:3], s38, v44
	s_mov_b32 s6, 0xc2ce8ed0
	s_and_b64 s[2:3], vcc, s[2:3]
	v_ldexp_f32 v19, v19, v21
	v_cmp_ngt_f32_e32 vcc, s6, v17
	s_mov_b32 s6, 0x42b17218
	v_cndmask_b32_e32 v19, 0, v19, vcc
	v_cmp_nlt_f32_e32 vcc, s6, v17
	v_ashrrev_i32_e32 v17, 31, v16
	v_mov_b32_e32 v21, 0x7f800000
	v_lshlrev_b64 v[46:47], 2, v[16:17]
	v_cndmask_b32_e32 v41, v21, v19, vcc
	v_mov_b32_e32 v17, s35
	v_add_co_u32_e32 v46, vcc, s34, v46
	v_addc_co_u32_e32 v47, vcc, v17, v47, vcc
	v_ashrrev_i32_e32 v21, 31, v20
	global_store_dword v[46:47], v41, off
	v_subrev_u32_e32 v17, s37, v44
	s_and_b64 vcc, s[44:45], s[2:3]
	v_lshlrev_b64 v[46:47], 2, v[20:21]
	v_cndmask_b32_e32 v17, 32, v17, vcc
	s_waitcnt lgkmcnt(0)
	v_mov_b32_e32 v19, s41
	v_add_co_u32_e32 v46, vcc, s40, v46
	v_addc_co_u32_e32 v47, vcc, v19, v47, vcc
	v_ashrrev_i32_e32 v19, 31, v18
	global_store_dword v[46:47], v17, off
	v_lshlrev_b64 v[46:47], 2, v[18:19]
	v_mov_b32_e32 v17, s43
	v_add_co_u32_e32 v46, vcc, s42, v46
	v_addc_co_u32_e32 v47, vcc, v17, v47, vcc
	global_store_dword v[46:47], v43, off
.LBB162_9:
	s_or_b64 exec, exec, s[4:5]
	v_ashrrev_i32_e32 v19, 31, v44
	v_lshrrev_b32_e32 v17, 28, v19
	v_add_u32_e32 v21, v44, v17
	v_ashrrev_i32_e32 v17, 4, v21
	v_lshrrev_b32_e32 v21, 31, v21
	v_add_u32_e32 v21, v17, v21
	v_and_b32_e32 v21, -2, v21
	v_sub_u32_e32 v21, v17, v21
	v_cmp_eq_u32_e32 vcc, v24, v21
	s_and_saveexec_b64 s[48:49], vcc
	s_cbranch_execz .LBB162_11
; %bb.10:
	v_lshrrev_b32_e32 v19, 27, v19
	v_add_u32_e32 v19, v44, v19
	v_lshlrev_b32_e32 v17, 4, v17
	v_sub_u32_e32 v17, v44, v17
	v_ashrrev_i32_e32 v19, 5, v19
	v_lshl_add_u32 v17, v19, 4, v17
	v_mov_b32_e32 v19, 0xff800000
	v_cmp_ne_u32_e32 vcc, 14, v17
	v_cmp_ne_u32_e64 s[2:3], 13, v17
	v_cmp_ne_u32_e64 s[4:5], 12, v17
	;; [unrolled: 1-line block ×15, first 2 shown]
	v_cndmask_b32_e64 v15, v19, v15, s[30:31]
	v_cndmask_b32_e32 v14, v19, v14, vcc
	v_cndmask_b32_e64 v13, v19, v13, s[2:3]
	v_cndmask_b32_e64 v12, v19, v12, s[4:5]
	;; [unrolled: 1-line block ×14, first 2 shown]
.LBB162_11:
	s_or_b64 exec, exec, s[48:49]
	s_cmp_eq_u32 s36, 1
	s_cbranch_scc1 .LBB162_19
; %bb.12:
	s_add_i32 s50, s50, s33
	s_add_i32 s39, s36, -1
	v_add3_u32 v17, s50, v23, v22
	v_add_u32_e32 v18, 1, v18
	v_add_u32_e32 v20, 1, v20
	;; [unrolled: 1-line block ×3, first 2 shown]
	s_mov_b32 s50, 0x3fb8aa3b
	s_mov_b32 s51, 0xc2ce8ed0
	;; [unrolled: 1-line block ×3, first 2 shown]
	v_mov_b32_e32 v43, 0x7f800000
	v_mov_b32_e32 v44, 0xff800000
	s_branch .LBB162_14
.LBB162_13:                             ;   in Loop: Header=BB162_14 Depth=1
	s_or_b64 exec, exec, s[48:49]
	s_add_i32 s39, s39, -1
	v_add_u32_e32 v17, s33, v17
	v_add_u32_e32 v18, 1, v18
	;; [unrolled: 1-line block ×3, first 2 shown]
	s_cmp_eq_u32 s39, 0
	v_add_u32_e32 v22, 1, v22
	s_cbranch_scc1 .LBB162_19
.LBB162_14:                             ; =>This Inner Loop Header: Depth=1
	v_cmp_gt_f32_e32 vcc, v1, v0
	v_cndmask_b32_e32 v21, v0, v1, vcc
	v_cndmask_b32_e32 v19, v25, v26, vcc
	v_cmp_gt_f32_e32 vcc, v2, v21
	v_cndmask_b32_e32 v21, v21, v2, vcc
	v_cndmask_b32_e32 v19, v19, v27, vcc
	;; [unrolled: 3-line block ×15, first 2 shown]
	s_nop 0
	v_mov_b32_dpp v45, v23 quad_perm:[1,0,3,2] row_mask:0xf bank_mask:0xf
	v_mov_b32_dpp v21, v19 quad_perm:[1,0,3,2] row_mask:0xf bank_mask:0xf
	v_cmp_eq_f32_e64 s[2:3], v19, v21
	v_cmp_lt_i32_e64 s[4:5], v45, v23
	v_cmp_lt_f32_e32 vcc, v19, v21
	s_and_b64 s[2:3], s[2:3], s[4:5]
	s_or_b64 vcc, vcc, s[2:3]
	v_cndmask_b32_e32 v45, v23, v45, vcc
	s_and_saveexec_b64 s[4:5], s[0:1]
	s_cbranch_execz .LBB162_16
; %bb.15:                               ;   in Loop: Header=BB162_14 Depth=1
	v_cndmask_b32_e32 v19, v19, v21, vcc
	v_sub_f32_e32 v19, v19, v42
	v_mul_f32_e32 v21, 0x3fb8aa3b, v19
	v_fma_f32 v23, v19, s50, -v21
	v_rndne_f32_e32 v46, v21
	v_fmac_f32_e32 v23, 0x32a5705f, v19
	v_sub_f32_e32 v21, v21, v46
	v_add_f32_e32 v21, v21, v23
	v_exp_f32_e32 v21, v21
	v_cvt_i32_f32_e32 v23, v46
	v_cmp_le_i32_e32 vcc, s37, v45
	v_cmp_gt_i32_e64 s[2:3], s38, v45
	s_and_b64 s[2:3], vcc, s[2:3]
	v_ldexp_f32 v21, v21, v23
	v_cmp_ngt_f32_e32 vcc, s51, v19
	v_ashrrev_i32_e32 v23, 31, v22
	v_cndmask_b32_e32 v21, 0, v21, vcc
	v_cmp_nlt_f32_e32 vcc, s52, v19
	v_lshlrev_b64 v[46:47], 2, v[22:23]
	v_cndmask_b32_e32 v48, v43, v21, vcc
	v_mov_b32_e32 v19, s35
	v_add_co_u32_e32 v46, vcc, s34, v46
	v_addc_co_u32_e32 v47, vcc, v19, v47, vcc
	v_ashrrev_i32_e32 v21, 31, v20
	global_store_dword v[46:47], v48, off
	v_subrev_u32_e32 v19, s37, v45
	s_and_b64 vcc, s[44:45], s[2:3]
	v_lshlrev_b64 v[46:47], 2, v[20:21]
	v_cndmask_b32_e32 v19, 32, v19, vcc
	s_waitcnt lgkmcnt(0)
	v_mov_b32_e32 v21, s41
	v_add_co_u32_e32 v46, vcc, s40, v46
	v_addc_co_u32_e32 v47, vcc, v21, v47, vcc
	global_store_dword v[46:47], v19, off
	v_ashrrev_i32_e32 v19, 31, v18
	v_lshlrev_b64 v[46:47], 2, v[18:19]
	v_mov_b32_e32 v19, s43
	v_add_co_u32_e32 v46, vcc, s42, v46
	v_addc_co_u32_e32 v47, vcc, v19, v47, vcc
	v_add_f32_e32 v41, v41, v48
	global_store_dword v[46:47], v17, off
.LBB162_16:                             ;   in Loop: Header=BB162_14 Depth=1
	s_or_b64 exec, exec, s[4:5]
	v_ashrrev_i32_e32 v21, 31, v45
	v_lshrrev_b32_e32 v19, 28, v21
	v_add_u32_e32 v23, v45, v19
	v_ashrrev_i32_e32 v19, 4, v23
	v_lshrrev_b32_e32 v23, 31, v23
	v_add_u32_e32 v23, v19, v23
	v_and_b32_e32 v23, -2, v23
	v_sub_u32_e32 v23, v19, v23
	v_cmp_eq_u32_e32 vcc, v24, v23
	s_and_saveexec_b64 s[48:49], vcc
	s_cbranch_execz .LBB162_13
; %bb.17:                               ;   in Loop: Header=BB162_14 Depth=1
	v_lshrrev_b32_e32 v21, 27, v21
	v_add_u32_e32 v21, v45, v21
	v_lshlrev_b32_e32 v19, 4, v19
	v_sub_u32_e32 v19, v45, v19
	v_ashrrev_i32_e32 v21, 5, v21
	v_lshl_add_u32 v19, v21, 4, v19
	v_cmp_ne_u32_e32 vcc, 14, v19
	v_cmp_ne_u32_e64 s[2:3], 13, v19
	v_cmp_ne_u32_e64 s[4:5], 12, v19
	;; [unrolled: 1-line block ×15, first 2 shown]
	v_cndmask_b32_e64 v15, v44, v15, s[30:31]
	v_cndmask_b32_e32 v14, v44, v14, vcc
	v_cndmask_b32_e64 v13, v44, v13, s[2:3]
	v_cndmask_b32_e64 v12, v44, v12, s[4:5]
	;; [unrolled: 1-line block ×14, first 2 shown]
	s_branch .LBB162_13
.LBB162_18:
	v_mov_b32_e32 v41, 0
.LBB162_19:
	v_cmp_eq_u32_e32 vcc, 0, v24
	v_cmp_neq_f32_e64 s[0:1], 0, v41
	s_and_b64 s[0:1], vcc, s[0:1]
	s_and_b64 exec, exec, s[0:1]
	s_cbranch_execz .LBB162_30
; %bb.20:
	s_andn2_b64 vcc, exec, s[46:47]
	s_cbranch_vccnz .LBB162_30
; %bb.21:
	v_div_scale_f32 v0, s[0:1], v41, v41, 1.0
	v_rcp_f32_e32 v1, v0
	v_div_scale_f32 v2, vcc, 1.0, v41, 1.0
	s_cmp_gt_u32 s36, 3
	v_fma_f32 v3, -v0, v1, 1.0
	v_fmac_f32_e32 v1, v3, v1
	v_mul_f32_e32 v3, v2, v1
	v_fma_f32 v4, -v0, v3, v2
	v_fmac_f32_e32 v3, v4, v1
	v_fma_f32 v0, -v0, v3, v2
	v_div_fmas_f32 v0, v0, v1, v3
	v_div_fixup_f32 v0, v0, v41, 1.0
	v_ashrrev_i32_e32 v17, 31, v16
	s_cbranch_scc0 .LBB162_25
; %bb.22:
	v_lshlrev_b64 v[2:3], 2, v[16:17]
	v_mov_b32_e32 v4, s35
	v_add_co_u32_e32 v2, vcc, s34, v2
	v_addc_co_u32_e32 v3, vcc, v3, v4, vcc
	s_and_b32 s4, s36, 0x7ffffffc
	v_add_co_u32_e32 v2, vcc, 8, v2
	v_mov_b32_e32 v1, v0
	v_addc_co_u32_e32 v3, vcc, 0, v3, vcc
	s_mov_b32 s0, s4
.LBB162_23:                             ; =>This Inner Loop Header: Depth=1
	global_load_dwordx4 v[4:7], v[2:3], off offset:-8
	s_add_i32 s0, s0, -4
	s_cmp_lg_u32 s0, 0
	s_waitcnt vmcnt(0)
	v_pk_mul_f32 v[4:5], v[0:1], v[4:5]
	v_pk_mul_f32 v[6:7], v[0:1], v[6:7]
	global_store_dwordx4 v[2:3], v[4:7], off offset:-8
	v_add_co_u32_e32 v2, vcc, 16, v2
	v_addc_co_u32_e32 v3, vcc, 0, v3, vcc
	s_cbranch_scc1 .LBB162_23
; %bb.24:
	s_cmp_lg_u32 s4, s36
	s_cselect_b64 s[0:1], -1, 0
	s_branch .LBB162_27
.LBB162_25:
	s_mov_b64 s[0:1], 0
                                        ; implicit-def: $sgpr4
	s_cbranch_execz .LBB162_27
; %bb.26:
	s_mov_b64 s[0:1], -1
	s_mov_b32 s4, 0
.LBB162_27:
	s_andn2_b64 vcc, exec, s[0:1]
	s_cbranch_vccnz .LBB162_30
; %bb.28:
	v_add_co_u32_e32 v2, vcc, s4, v16
	v_addc_co_u32_e32 v3, vcc, 0, v17, vcc
	v_lshlrev_b64 v[2:3], 2, v[2:3]
	v_mov_b32_e32 v1, s35
	v_add_co_u32_e32 v2, vcc, s34, v2
	s_sub_i32 s0, s36, s4
	v_addc_co_u32_e32 v3, vcc, v1, v3, vcc
.LBB162_29:                             ; =>This Inner Loop Header: Depth=1
	global_load_dword v1, v[2:3], off
	s_add_i32 s0, s0, -1
	s_cmp_lg_u32 s0, 0
	s_waitcnt vmcnt(0)
	v_mul_f32_e32 v1, v0, v1
	global_store_dword v[2:3], v1, off
	v_add_co_u32_e32 v2, vcc, 4, v2
	v_addc_co_u32_e32 v3, vcc, 0, v3, vcc
	s_cbranch_scc1 .LBB162_29
.LBB162_30:
	s_endpgm
	.section	.rodata,"a",@progbits
	.p2align	6, 0x0
	.amdhsa_kernel _ZN4vllm3moe17topkGatingSoftmaxIDF16_Li16ELi32ELi8ELi32ELb1ELi4ELNS0_23SharedExpertScoringFuncE1EEEvPKT_PKbPfiPiS9_iiiiii
		.amdhsa_group_segment_fixed_size 0
		.amdhsa_private_segment_fixed_size 0
		.amdhsa_kernarg_size 72
		.amdhsa_user_sgpr_count 6
		.amdhsa_user_sgpr_private_segment_buffer 1
		.amdhsa_user_sgpr_dispatch_ptr 0
		.amdhsa_user_sgpr_queue_ptr 0
		.amdhsa_user_sgpr_kernarg_segment_ptr 1
		.amdhsa_user_sgpr_dispatch_id 0
		.amdhsa_user_sgpr_flat_scratch_init 0
		.amdhsa_user_sgpr_kernarg_preload_length 0
		.amdhsa_user_sgpr_kernarg_preload_offset 0
		.amdhsa_user_sgpr_private_segment_size 0
		.amdhsa_uses_dynamic_stack 0
		.amdhsa_system_sgpr_private_segment_wavefront_offset 0
		.amdhsa_system_sgpr_workgroup_id_x 1
		.amdhsa_system_sgpr_workgroup_id_y 0
		.amdhsa_system_sgpr_workgroup_id_z 0
		.amdhsa_system_sgpr_workgroup_info 0
		.amdhsa_system_vgpr_workitem_id 1
		.amdhsa_next_free_vgpr 49
		.amdhsa_next_free_sgpr 53
		.amdhsa_accum_offset 52
		.amdhsa_reserve_vcc 1
		.amdhsa_reserve_flat_scratch 0
		.amdhsa_float_round_mode_32 0
		.amdhsa_float_round_mode_16_64 0
		.amdhsa_float_denorm_mode_32 3
		.amdhsa_float_denorm_mode_16_64 3
		.amdhsa_dx10_clamp 1
		.amdhsa_ieee_mode 1
		.amdhsa_fp16_overflow 0
		.amdhsa_tg_split 0
		.amdhsa_exception_fp_ieee_invalid_op 0
		.amdhsa_exception_fp_denorm_src 0
		.amdhsa_exception_fp_ieee_div_zero 0
		.amdhsa_exception_fp_ieee_overflow 0
		.amdhsa_exception_fp_ieee_underflow 0
		.amdhsa_exception_fp_ieee_inexact 0
		.amdhsa_exception_int_div_zero 0
	.end_amdhsa_kernel
	.section	.text._ZN4vllm3moe17topkGatingSoftmaxIDF16_Li16ELi32ELi8ELi32ELb1ELi4ELNS0_23SharedExpertScoringFuncE1EEEvPKT_PKbPfiPiS9_iiiiii,"axG",@progbits,_ZN4vllm3moe17topkGatingSoftmaxIDF16_Li16ELi32ELi8ELi32ELb1ELi4ELNS0_23SharedExpertScoringFuncE1EEEvPKT_PKbPfiPiS9_iiiiii,comdat
.Lfunc_end162:
	.size	_ZN4vllm3moe17topkGatingSoftmaxIDF16_Li16ELi32ELi8ELi32ELb1ELi4ELNS0_23SharedExpertScoringFuncE1EEEvPKT_PKbPfiPiS9_iiiiii, .Lfunc_end162-_ZN4vllm3moe17topkGatingSoftmaxIDF16_Li16ELi32ELi8ELi32ELb1ELi4ELNS0_23SharedExpertScoringFuncE1EEEvPKT_PKbPfiPiS9_iiiiii
                                        ; -- End function
	.section	.AMDGPU.csdata,"",@progbits
; Kernel info:
; codeLenInByte = 2800
; NumSgprs: 57
; NumVgprs: 49
; NumAgprs: 0
; TotalNumVgprs: 49
; ScratchSize: 0
; MemoryBound: 0
; FloatMode: 240
; IeeeMode: 1
; LDSByteSize: 0 bytes/workgroup (compile time only)
; SGPRBlocks: 7
; VGPRBlocks: 6
; NumSGPRsForWavesPerEU: 57
; NumVGPRsForWavesPerEU: 49
; AccumOffset: 52
; Occupancy: 8
; WaveLimiterHint : 0
; COMPUTE_PGM_RSRC2:SCRATCH_EN: 0
; COMPUTE_PGM_RSRC2:USER_SGPR: 6
; COMPUTE_PGM_RSRC2:TRAP_HANDLER: 0
; COMPUTE_PGM_RSRC2:TGID_X_EN: 1
; COMPUTE_PGM_RSRC2:TGID_Y_EN: 0
; COMPUTE_PGM_RSRC2:TGID_Z_EN: 0
; COMPUTE_PGM_RSRC2:TIDIG_COMP_CNT: 1
; COMPUTE_PGM_RSRC3_GFX90A:ACCUM_OFFSET: 12
; COMPUTE_PGM_RSRC3_GFX90A:TG_SPLIT: 0
	.section	.text._ZN4vllm3moe17topkGatingSoftmaxIDF16_Li16ELi32ELi8ELi32ELb0ELi4ELNS0_23SharedExpertScoringFuncE1EEEvPKT_PKbPfiPiS9_iiiiii,"axG",@progbits,_ZN4vllm3moe17topkGatingSoftmaxIDF16_Li16ELi32ELi8ELi32ELb0ELi4ELNS0_23SharedExpertScoringFuncE1EEEvPKT_PKbPfiPiS9_iiiiii,comdat
	.protected	_ZN4vllm3moe17topkGatingSoftmaxIDF16_Li16ELi32ELi8ELi32ELb0ELi4ELNS0_23SharedExpertScoringFuncE1EEEvPKT_PKbPfiPiS9_iiiiii ; -- Begin function _ZN4vllm3moe17topkGatingSoftmaxIDF16_Li16ELi32ELi8ELi32ELb0ELi4ELNS0_23SharedExpertScoringFuncE1EEEvPKT_PKbPfiPiS9_iiiiii
	.globl	_ZN4vllm3moe17topkGatingSoftmaxIDF16_Li16ELi32ELi8ELi32ELb0ELi4ELNS0_23SharedExpertScoringFuncE1EEEvPKT_PKbPfiPiS9_iiiiii
	.p2align	8
	.type	_ZN4vllm3moe17topkGatingSoftmaxIDF16_Li16ELi32ELi8ELi32ELb0ELi4ELNS0_23SharedExpertScoringFuncE1EEEvPKT_PKbPfiPiS9_iiiiii,@function
_ZN4vllm3moe17topkGatingSoftmaxIDF16_Li16ELi32ELi8ELi32ELb0ELi4ELNS0_23SharedExpertScoringFuncE1EEEvPKT_PKbPfiPiS9_iiiiii: ; @_ZN4vllm3moe17topkGatingSoftmaxIDF16_Li16ELi32ELi8ELi32ELb0ELi4ELNS0_23SharedExpertScoringFuncE1EEEvPKT_PKbPfiPiS9_iiiiii
; %bb.0:
	s_load_dword s33, s[4:5], 0x18
	v_bfe_u32 v1, v0, 10, 10
	v_and_b32_e32 v0, 0x3ff, v0
	s_lshl_b32 s50, s6, 8
	v_lshlrev_b32_e32 v22, 5, v1
	v_lshrrev_b32_e32 v23, 1, v0
	v_add3_u32 v43, s50, v22, v23
	s_waitcnt lgkmcnt(0)
	v_cmp_gt_i32_e32 vcc, s33, v43
	s_and_saveexec_b64 s[0:1], vcc
	s_cbranch_execz .LBB163_32
; %bb.1:
	s_load_dwordx4 s[0:3], s[4:5], 0x0
	s_load_dwordx2 s[34:35], s[4:5], 0x10
	s_mov_b64 s[8:9], 0
	s_waitcnt lgkmcnt(0)
	s_cmp_eq_u64 s[2:3], 0
	s_cbranch_scc1 .LBB163_3
; %bb.2:
	v_ashrrev_i32_e32 v1, 31, v43
	v_mov_b32_e32 v3, s3
	v_add_co_u32_e32 v2, vcc, s2, v43
	v_addc_co_u32_e32 v3, vcc, v3, v1, vcc
	global_load_ubyte v1, v[2:3], off
	s_waitcnt vmcnt(0)
	v_and_b32_e32 v1, 1, v1
	v_cmp_eq_u32_e32 vcc, 1, v1
	s_xor_b64 s[2:3], vcc, -1
	s_orn2_b64 s[46:47], s[2:3], exec
	s_branch .LBB163_4
.LBB163_3:
	s_mov_b64 s[46:47], -1
.LBB163_4:
	s_load_dwordx2 s[6:7], s[4:5], 0x40
	s_load_dwordx4 s[36:39], s[4:5], 0x30
	v_mov_b32_e32 v1, s1
	v_and_b32_e32 v24, 1, v0
	v_lshlrev_b32_e32 v0, 5, v24
	s_waitcnt lgkmcnt(0)
	v_mul_lo_u32 v2, v43, s7
	v_ashrrev_i32_e32 v3, 31, v2
	v_lshlrev_b64 v[8:9], 1, v[2:3]
	v_add_co_u32_e32 v2, vcc, s0, v8
	v_addc_co_u32_e32 v1, vcc, v1, v9, vcc
	v_add_co_u32_e32 v0, vcc, v2, v0
	v_addc_co_u32_e32 v1, vcc, 0, v1, vcc
	global_load_dwordx4 v[12:15], v[0:1], off offset:16
	global_load_dwordx4 v[4:7], v[0:1], off
	v_lshlrev_b32_e32 v0, 1, v24
	v_add_co_u32_e32 v0, vcc, v8, v0
	v_addc_co_u32_e32 v1, vcc, 0, v9, vcc
	v_mov_b32_e32 v3, s1
	v_add_co_u32_e32 v0, vcc, s0, v0
	v_addc_co_u32_e32 v1, vcc, v1, v3, vcc
	v_mul_lo_u32 v16, v43, s39
	v_add_co_u32_e32 v0, vcc, 64, v0
	v_lshlrev_b32_e32 v27, 4, v24
	v_add_u32_e32 v2, s36, v16
	v_addc_co_u32_e32 v1, vcc, 0, v1, vcc
	s_mov_b32 s0, 0x3fb8aa3b
	s_mov_b32 s1, 0x32a5705f
	;; [unrolled: 1-line block ×4, first 2 shown]
	v_mov_b32_e32 v3, 0x7f800000
	v_mov_b32_e32 v8, s35
	;; [unrolled: 1-line block ×3, first 2 shown]
.LBB163_5:                              ; =>This Inner Loop Header: Depth=1
	global_load_ushort v17, v[0:1], off
	v_add_co_u32_e32 v0, vcc, 4, v0
	v_add_u32_e32 v18, 2, v9
	v_addc_co_u32_e32 v1, vcc, 0, v1, vcc
	v_add_u32_e32 v10, v2, v9
	v_cmp_lt_u32_e32 vcc, 1, v9
	v_mov_b32_e32 v9, v18
	v_ashrrev_i32_e32 v11, 31, v10
	v_lshlrev_b64 v[10:11], 2, v[10:11]
	s_or_b64 s[8:9], vcc, s[8:9]
	v_add_co_u32_e32 v10, vcc, s34, v10
	v_addc_co_u32_e32 v11, vcc, v8, v11, vcc
	s_waitcnt vmcnt(0)
	v_cvt_f32_f16_e64 v18, -v17
	v_mul_f32_e32 v19, 0x3fb8aa3b, v18
	v_rndne_f32_e32 v20, v19
	v_fma_mix_f32 v21, -v17, s0, -v19 op_sel_hi:[1,0,0]
	v_sub_f32_e32 v19, v19, v20
	v_fma_mix_f32 v17, -v17, s1, v21 op_sel_hi:[1,0,0]
	v_add_f32_e32 v17, v19, v17
	v_cvt_i32_f32_e32 v20, v20
	v_exp_f32_e32 v17, v17
	v_cmp_ngt_f32_e32 vcc, s2, v18
	v_ldexp_f32 v17, v17, v20
	v_cndmask_b32_e32 v17, 0, v17, vcc
	v_cmp_nlt_f32_e32 vcc, s3, v18
	v_cndmask_b32_e32 v17, v3, v17, vcc
	v_add_f32_e32 v17, 1.0, v17
	v_div_scale_f32 v18, s[10:11], v17, v17, 1.0
	v_rcp_f32_e32 v19, v18
	v_div_scale_f32 v20, vcc, 1.0, v17, 1.0
	v_fma_f32 v21, -v18, v19, 1.0
	v_fmac_f32_e32 v19, v21, v19
	v_mul_f32_e32 v21, v20, v19
	v_fma_f32 v25, -v18, v21, v20
	v_fmac_f32_e32 v21, v25, v19
	v_fma_f32 v18, -v18, v21, v20
	v_div_fmas_f32 v18, v18, v19, v21
	v_div_fixup_f32 v17, v18, v17, 1.0
	global_store_dword v[10:11], v17, off
	s_andn2_b64 exec, exec, s[8:9]
	s_cbranch_execnz .LBB163_5
; %bb.6:
	s_or_b64 exec, exec, s[8:9]
	v_cvt_f32_f16_e32 v0, v4
	v_cvt_f32_f16_sdwa v1, v4 dst_sel:DWORD dst_unused:UNUSED_PAD src0_sel:WORD_1
	v_cvt_f32_f16_e32 v2, v5
	v_cmp_lt_f16_sdwa vcc, v4, v4 src0_sel:DWORD src1_sel:WORD_1
	v_or_b32_e32 v28, 1, v27
	v_cndmask_b32_e32 v4, v0, v1, vcc
	v_cndmask_b32_e32 v3, v27, v28, vcc
	v_or_b32_e32 v29, 2, v27
	v_cmp_lt_f32_e32 vcc, v4, v2
	v_cndmask_b32_e32 v8, v3, v29, vcc
	v_cvt_f32_f16_sdwa v3, v5 dst_sel:DWORD dst_unused:UNUSED_PAD src0_sel:WORD_1
	v_cndmask_b32_e32 v4, v4, v2, vcc
	v_or_b32_e32 v30, 3, v27
	v_or_b32_e32 v31, 4, v27
	v_cmp_lt_f32_e32 vcc, v4, v3
	v_cndmask_b32_e32 v5, v8, v30, vcc
	v_cndmask_b32_e32 v8, v4, v3, vcc
	v_cvt_f32_f16_e32 v4, v6
	v_or_b32_e32 v32, 5, v27
	v_or_b32_e32 v33, 6, v27
	;; [unrolled: 1-line block ×3, first 2 shown]
	v_cmp_lt_f32_e32 vcc, v8, v4
	v_cndmask_b32_e32 v9, v5, v31, vcc
	v_cvt_f32_f16_sdwa v5, v6 dst_sel:DWORD dst_unused:UNUSED_PAD src0_sel:WORD_1
	v_cvt_f32_f16_e32 v6, v7
	v_cndmask_b32_e32 v8, v8, v4, vcc
	v_cvt_f32_f16_sdwa v7, v7 dst_sel:DWORD dst_unused:UNUSED_PAD src0_sel:WORD_1
	v_cmp_lt_f32_e32 vcc, v8, v5
	v_cndmask_b32_e32 v8, v8, v5, vcc
	v_cndmask_b32_e32 v9, v9, v32, vcc
	v_cmp_lt_f32_e32 vcc, v8, v6
	v_cndmask_b32_e32 v8, v8, v6, vcc
	v_cndmask_b32_e32 v9, v9, v33, vcc
	v_cmp_lt_f32_e32 vcc, v8, v7
	v_cndmask_b32_e32 v10, v8, v7, vcc
	v_cvt_f32_f16_e32 v8, v12
	v_cndmask_b32_e32 v9, v9, v34, vcc
	v_or_b32_e32 v35, 8, v27
	v_or_b32_e32 v36, 9, v27
	v_cmp_lt_f32_e32 vcc, v10, v8
	v_cndmask_b32_e32 v11, v9, v35, vcc
	v_cvt_f32_f16_sdwa v9, v12 dst_sel:DWORD dst_unused:UNUSED_PAD src0_sel:WORD_1
	v_cndmask_b32_e32 v10, v10, v8, vcc
	v_or_b32_e32 v37, 10, v27
	v_or_b32_e32 v38, 11, v27
	v_cmp_lt_f32_e32 vcc, v10, v9
	v_cndmask_b32_e32 v12, v10, v9, vcc
	v_cvt_f32_f16_e32 v10, v13
	v_cndmask_b32_e32 v11, v11, v36, vcc
	v_or_b32_e32 v39, 12, v27
	v_or_b32_e32 v40, 13, v27
	v_cmp_lt_f32_e32 vcc, v12, v10
	v_cndmask_b32_e32 v17, v11, v37, vcc
	v_cvt_f32_f16_sdwa v11, v13 dst_sel:DWORD dst_unused:UNUSED_PAD src0_sel:WORD_1
	v_cndmask_b32_e32 v12, v12, v10, vcc
	v_or_b32_e32 v41, 14, v27
	v_or_b32_e32 v42, 15, v27
	v_cmp_lt_f32_e32 vcc, v12, v11
	v_cndmask_b32_e32 v13, v17, v38, vcc
	v_cndmask_b32_e32 v17, v12, v11, vcc
	v_cvt_f32_f16_e32 v12, v14
	v_cmp_lt_f32_e32 vcc, v17, v12
	v_cndmask_b32_e32 v18, v13, v39, vcc
	v_cvt_f32_f16_sdwa v13, v14 dst_sel:DWORD dst_unused:UNUSED_PAD src0_sel:WORD_1
	v_cvt_f32_f16_e32 v14, v15
	v_cndmask_b32_e32 v17, v17, v12, vcc
	v_cvt_f32_f16_sdwa v15, v15 dst_sel:DWORD dst_unused:UNUSED_PAD src0_sel:WORD_1
	v_cmp_lt_f32_e32 vcc, v17, v13
	v_cndmask_b32_e32 v17, v17, v13, vcc
	v_cndmask_b32_e32 v18, v18, v40, vcc
	v_cmp_lt_f32_e32 vcc, v17, v14
	v_cndmask_b32_e32 v19, v17, v14, vcc
	v_cndmask_b32_e32 v18, v18, v41, vcc
	;; [unrolled: 3-line block ×3, first 2 shown]
	s_nop 0
	v_mov_b32_dpp v18, v17 quad_perm:[1,0,3,2] row_mask:0xf bank_mask:0xf
	v_mov_b32_dpp v20, v19 quad_perm:[1,0,3,2] row_mask:0xf bank_mask:0xf
	v_cmp_eq_f32_e64 s[0:1], v19, v20
	v_cmp_lt_i32_e64 s[2:3], v18, v17
	v_cmp_lt_f32_e32 vcc, v19, v20
	s_and_b64 s[0:1], s[0:1], s[2:3]
	s_or_b64 s[2:3], vcc, s[0:1]
	s_cmp_gt_i32 s36, 0
	s_cselect_b64 s[44:45], -1, 0
	v_cndmask_b32_e64 v25, v19, v20, s[2:3]
	s_and_b64 vcc, exec, s[44:45]
	v_cmp_eq_u32_e64 s[0:1], 0, v24
	s_cbranch_vccz .LBB163_18
; %bb.7:
	s_load_dwordx4 s[40:43], s[4:5], 0x20
	v_cndmask_b32_e64 v44, v17, v18, s[2:3]
	v_mul_lo_u32 v20, v43, s6
	v_mul_lo_u32 v18, v43, s36
	v_mov_b32_e32 v26, 0
	s_and_saveexec_b64 s[4:5], s[0:1]
	s_cbranch_execz .LBB163_9
; %bb.8:
	v_sub_f32_e32 v17, v25, v25
	v_mul_f32_e32 v19, 0x3fb8aa3b, v17
	s_mov_b32 s2, 0x3fb8aa3b
	v_rndne_f32_e32 v21, v19
	v_sub_f32_e32 v26, v19, v21
	v_fma_f32 v19, v17, s2, -v19
	v_fmac_f32_e32 v19, 0x32a5705f, v17
	v_add_f32_e32 v19, v26, v19
	v_exp_f32_e32 v19, v19
	v_cvt_i32_f32_e32 v21, v21
	v_cmp_le_i32_e32 vcc, s37, v44
	v_cmp_gt_i32_e64 s[2:3], s38, v44
	s_mov_b32 s6, 0xc2ce8ed0
	s_and_b64 s[2:3], vcc, s[2:3]
	v_ldexp_f32 v19, v19, v21
	v_cmp_ngt_f32_e32 vcc, s6, v17
	s_mov_b32 s6, 0x42b17218
	v_cndmask_b32_e32 v19, 0, v19, vcc
	v_cmp_nlt_f32_e32 vcc, s6, v17
	v_ashrrev_i32_e32 v17, 31, v16
	v_mov_b32_e32 v21, 0x7f800000
	v_lshlrev_b64 v[46:47], 2, v[16:17]
	v_cndmask_b32_e32 v26, v21, v19, vcc
	v_mov_b32_e32 v17, s35
	v_add_co_u32_e32 v46, vcc, s34, v46
	v_addc_co_u32_e32 v47, vcc, v17, v47, vcc
	v_ashrrev_i32_e32 v21, 31, v20
	global_store_dword v[46:47], v26, off
	v_subrev_u32_e32 v17, s37, v44
	s_and_b64 vcc, s[46:47], s[2:3]
	v_lshlrev_b64 v[46:47], 2, v[20:21]
	v_cndmask_b32_e32 v17, 32, v17, vcc
	s_waitcnt lgkmcnt(0)
	v_mov_b32_e32 v19, s41
	v_add_co_u32_e32 v46, vcc, s40, v46
	v_addc_co_u32_e32 v47, vcc, v19, v47, vcc
	v_ashrrev_i32_e32 v19, 31, v18
	global_store_dword v[46:47], v17, off
	v_lshlrev_b64 v[46:47], 2, v[18:19]
	v_mov_b32_e32 v17, s43
	v_add_co_u32_e32 v46, vcc, s42, v46
	v_addc_co_u32_e32 v47, vcc, v17, v47, vcc
	global_store_dword v[46:47], v43, off
.LBB163_9:
	s_or_b64 exec, exec, s[4:5]
	v_ashrrev_i32_e32 v19, 31, v44
	v_lshrrev_b32_e32 v17, 28, v19
	v_add_u32_e32 v21, v44, v17
	v_ashrrev_i32_e32 v17, 4, v21
	v_lshrrev_b32_e32 v21, 31, v21
	v_add_u32_e32 v21, v17, v21
	v_and_b32_e32 v21, -2, v21
	v_sub_u32_e32 v21, v17, v21
	v_cmp_eq_u32_e32 vcc, v24, v21
	s_and_saveexec_b64 s[48:49], vcc
	s_cbranch_execz .LBB163_11
; %bb.10:
	v_lshrrev_b32_e32 v19, 27, v19
	v_add_u32_e32 v19, v44, v19
	v_lshlrev_b32_e32 v17, 4, v17
	v_sub_u32_e32 v17, v44, v17
	v_ashrrev_i32_e32 v19, 5, v19
	v_lshl_add_u32 v17, v19, 4, v17
	v_mov_b32_e32 v19, 0xff800000
	v_cmp_ne_u32_e32 vcc, 14, v17
	v_cmp_ne_u32_e64 s[2:3], 13, v17
	v_cmp_ne_u32_e64 s[4:5], 12, v17
	;; [unrolled: 1-line block ×15, first 2 shown]
	v_cndmask_b32_e64 v15, v19, v15, s[30:31]
	v_cndmask_b32_e32 v14, v19, v14, vcc
	v_cndmask_b32_e64 v13, v19, v13, s[2:3]
	v_cndmask_b32_e64 v12, v19, v12, s[4:5]
	;; [unrolled: 1-line block ×14, first 2 shown]
.LBB163_11:
	s_or_b64 exec, exec, s[48:49]
	s_cmp_eq_u32 s36, 1
	s_cbranch_scc1 .LBB163_19
; %bb.12:
	s_add_i32 s50, s50, s33
	s_add_i32 s39, s36, -1
	v_add3_u32 v17, s50, v23, v22
	v_add_u32_e32 v18, 1, v18
	v_add_u32_e32 v20, 1, v20
	;; [unrolled: 1-line block ×3, first 2 shown]
	s_mov_b32 s50, 0x3fb8aa3b
	s_mov_b32 s51, 0xc2ce8ed0
	s_mov_b32 s52, 0x42b17218
	v_mov_b32_e32 v43, 0x7f800000
	v_mov_b32_e32 v44, 0xff800000
	s_branch .LBB163_14
.LBB163_13:                             ;   in Loop: Header=BB163_14 Depth=1
	s_or_b64 exec, exec, s[48:49]
	s_add_i32 s39, s39, -1
	v_add_u32_e32 v17, s33, v17
	v_add_u32_e32 v18, 1, v18
	v_add_u32_e32 v20, 1, v20
	s_cmp_eq_u32 s39, 0
	v_add_u32_e32 v22, 1, v22
	s_cbranch_scc1 .LBB163_19
.LBB163_14:                             ; =>This Inner Loop Header: Depth=1
	v_cmp_gt_f32_e32 vcc, v1, v0
	v_cndmask_b32_e32 v21, v0, v1, vcc
	v_cndmask_b32_e32 v19, v27, v28, vcc
	v_cmp_gt_f32_e32 vcc, v2, v21
	v_cndmask_b32_e32 v21, v21, v2, vcc
	v_cndmask_b32_e32 v19, v19, v29, vcc
	;; [unrolled: 3-line block ×15, first 2 shown]
	s_nop 0
	v_mov_b32_dpp v45, v23 quad_perm:[1,0,3,2] row_mask:0xf bank_mask:0xf
	v_mov_b32_dpp v21, v19 quad_perm:[1,0,3,2] row_mask:0xf bank_mask:0xf
	v_cmp_eq_f32_e64 s[2:3], v19, v21
	v_cmp_lt_i32_e64 s[4:5], v45, v23
	v_cmp_lt_f32_e32 vcc, v19, v21
	s_and_b64 s[2:3], s[2:3], s[4:5]
	s_or_b64 vcc, vcc, s[2:3]
	v_cndmask_b32_e32 v45, v23, v45, vcc
	s_and_saveexec_b64 s[4:5], s[0:1]
	s_cbranch_execz .LBB163_16
; %bb.15:                               ;   in Loop: Header=BB163_14 Depth=1
	v_cndmask_b32_e32 v19, v19, v21, vcc
	v_sub_f32_e32 v19, v19, v25
	v_mul_f32_e32 v21, 0x3fb8aa3b, v19
	v_fma_f32 v23, v19, s50, -v21
	v_rndne_f32_e32 v46, v21
	v_fmac_f32_e32 v23, 0x32a5705f, v19
	v_sub_f32_e32 v21, v21, v46
	v_add_f32_e32 v21, v21, v23
	v_exp_f32_e32 v21, v21
	v_cvt_i32_f32_e32 v23, v46
	v_cmp_le_i32_e32 vcc, s37, v45
	v_cmp_gt_i32_e64 s[2:3], s38, v45
	s_and_b64 s[2:3], vcc, s[2:3]
	v_ldexp_f32 v21, v21, v23
	v_cmp_ngt_f32_e32 vcc, s51, v19
	v_ashrrev_i32_e32 v23, 31, v22
	v_cndmask_b32_e32 v21, 0, v21, vcc
	v_cmp_nlt_f32_e32 vcc, s52, v19
	v_lshlrev_b64 v[46:47], 2, v[22:23]
	v_cndmask_b32_e32 v48, v43, v21, vcc
	v_mov_b32_e32 v19, s35
	v_add_co_u32_e32 v46, vcc, s34, v46
	v_addc_co_u32_e32 v47, vcc, v19, v47, vcc
	v_ashrrev_i32_e32 v21, 31, v20
	global_store_dword v[46:47], v48, off
	v_subrev_u32_e32 v19, s37, v45
	s_and_b64 vcc, s[46:47], s[2:3]
	v_lshlrev_b64 v[46:47], 2, v[20:21]
	v_cndmask_b32_e32 v19, 32, v19, vcc
	s_waitcnt lgkmcnt(0)
	v_mov_b32_e32 v21, s41
	v_add_co_u32_e32 v46, vcc, s40, v46
	v_addc_co_u32_e32 v47, vcc, v21, v47, vcc
	global_store_dword v[46:47], v19, off
	v_ashrrev_i32_e32 v19, 31, v18
	v_lshlrev_b64 v[46:47], 2, v[18:19]
	v_mov_b32_e32 v19, s43
	v_add_co_u32_e32 v46, vcc, s42, v46
	v_addc_co_u32_e32 v47, vcc, v19, v47, vcc
	v_add_f32_e32 v26, v26, v48
	global_store_dword v[46:47], v17, off
.LBB163_16:                             ;   in Loop: Header=BB163_14 Depth=1
	s_or_b64 exec, exec, s[4:5]
	v_ashrrev_i32_e32 v21, 31, v45
	v_lshrrev_b32_e32 v19, 28, v21
	v_add_u32_e32 v23, v45, v19
	v_ashrrev_i32_e32 v19, 4, v23
	v_lshrrev_b32_e32 v23, 31, v23
	v_add_u32_e32 v23, v19, v23
	v_and_b32_e32 v23, -2, v23
	v_sub_u32_e32 v23, v19, v23
	v_cmp_eq_u32_e32 vcc, v24, v23
	s_and_saveexec_b64 s[48:49], vcc
	s_cbranch_execz .LBB163_13
; %bb.17:                               ;   in Loop: Header=BB163_14 Depth=1
	v_lshrrev_b32_e32 v21, 27, v21
	v_add_u32_e32 v21, v45, v21
	v_lshlrev_b32_e32 v19, 4, v19
	v_sub_u32_e32 v19, v45, v19
	v_ashrrev_i32_e32 v21, 5, v21
	v_lshl_add_u32 v19, v21, 4, v19
	v_cmp_ne_u32_e32 vcc, 14, v19
	v_cmp_ne_u32_e64 s[2:3], 13, v19
	v_cmp_ne_u32_e64 s[4:5], 12, v19
	;; [unrolled: 1-line block ×15, first 2 shown]
	v_cndmask_b32_e64 v15, v44, v15, s[30:31]
	v_cndmask_b32_e32 v14, v44, v14, vcc
	v_cndmask_b32_e64 v13, v44, v13, s[2:3]
	v_cndmask_b32_e64 v12, v44, v12, s[4:5]
	;; [unrolled: 1-line block ×14, first 2 shown]
	s_branch .LBB163_13
.LBB163_18:
	v_mov_b32_e32 v26, 0
.LBB163_19:
	v_sub_f32_e32 v0, v0, v25
	s_mov_b32 s2, 0x3fb8aa3b
	v_mul_f32_e32 v17, 0x3fb8aa3b, v0
	v_fma_f32 v18, v0, s2, -v17
	v_rndne_f32_e32 v19, v17
	v_fmac_f32_e32 v18, 0x32a5705f, v0
	v_sub_f32_e32 v17, v17, v19
	v_add_f32_e32 v17, v17, v18
	v_exp_f32_e32 v17, v17
	v_cvt_i32_f32_e32 v18, v19
	v_sub_f32_e32 v1, v1, v25
	s_mov_b32 s4, 0xc2ce8ed0
	s_mov_b32 s3, 0x42b17218
	v_ldexp_f32 v17, v17, v18
	v_mul_f32_e32 v18, 0x3fb8aa3b, v1
	v_fma_f32 v19, v1, s2, -v18
	v_rndne_f32_e32 v20, v18
	v_fmac_f32_e32 v19, 0x32a5705f, v1
	v_sub_f32_e32 v18, v18, v20
	v_add_f32_e32 v18, v18, v19
	v_exp_f32_e32 v18, v18
	v_cvt_i32_f32_e32 v19, v20
	v_cmp_ngt_f32_e32 vcc, s4, v1
	v_cmp_ngt_f32_e64 s[0:1], s4, v0
	v_sub_f32_e32 v2, v2, v25
	v_ldexp_f32 v18, v18, v19
	v_cndmask_b32_e32 v18, 0, v18, vcc
	v_mov_b32_e32 v19, 0x7f800000
	v_cmp_nlt_f32_e32 vcc, s3, v1
	v_cndmask_b32_e64 v1, 0, v17, s[0:1]
	v_cmp_nlt_f32_e64 s[0:1], s3, v0
	v_cndmask_b32_e64 v0, v19, v1, s[0:1]
	v_cndmask_b32_e32 v1, v19, v18, vcc
	v_add_f32_e32 v0, v0, v1
	v_mul_f32_e32 v1, 0x3fb8aa3b, v2
	v_fma_f32 v17, v2, s2, -v1
	v_rndne_f32_e32 v18, v1
	v_fmac_f32_e32 v17, 0x32a5705f, v2
	v_sub_f32_e32 v1, v1, v18
	v_add_f32_e32 v1, v1, v17
	v_exp_f32_e32 v1, v1
	v_cvt_i32_f32_e32 v17, v18
	v_cmp_ngt_f32_e32 vcc, s4, v2
	v_sub_f32_e32 v3, v3, v25
	v_sub_f32_e32 v4, v4, v25
	v_ldexp_f32 v1, v1, v17
	v_cndmask_b32_e32 v1, 0, v1, vcc
	v_cmp_nlt_f32_e32 vcc, s3, v2
	v_cndmask_b32_e32 v1, v19, v1, vcc
	v_add_f32_e32 v0, v0, v1
	v_mul_f32_e32 v1, 0x3fb8aa3b, v3
	v_fma_f32 v2, v3, s2, -v1
	v_rndne_f32_e32 v17, v1
	v_fmac_f32_e32 v2, 0x32a5705f, v3
	v_sub_f32_e32 v1, v1, v17
	v_add_f32_e32 v1, v1, v2
	v_exp_f32_e32 v1, v1
	v_cvt_i32_f32_e32 v2, v17
	v_cmp_ngt_f32_e32 vcc, s4, v3
	v_sub_f32_e32 v5, v5, v25
	v_sub_f32_e32 v6, v6, v25
	v_ldexp_f32 v1, v1, v2
	v_cndmask_b32_e32 v1, 0, v1, vcc
	v_cmp_nlt_f32_e32 vcc, s3, v3
	;; [unrolled: 16-line block ×5, first 2 shown]
	v_cndmask_b32_e32 v1, v19, v1, vcc
	v_add_f32_e32 v0, v0, v1
	v_mul_f32_e32 v1, 0x3fb8aa3b, v7
	v_fma_f32 v2, v7, s2, -v1
	v_rndne_f32_e32 v3, v1
	v_fmac_f32_e32 v2, 0x32a5705f, v7
	v_sub_f32_e32 v1, v1, v3
	v_add_f32_e32 v1, v1, v2
	v_exp_f32_e32 v1, v1
	v_cvt_i32_f32_e32 v2, v3
	v_cmp_ngt_f32_e32 vcc, s4, v7
	v_ldexp_f32 v1, v1, v2
	v_mul_f32_e32 v2, 0x3fb8aa3b, v8
	v_fma_f32 v3, v8, s2, -v2
	v_rndne_f32_e32 v4, v2
	v_fmac_f32_e32 v3, 0x32a5705f, v8
	v_sub_f32_e32 v2, v2, v4
	v_add_f32_e32 v2, v2, v3
	v_exp_f32_e32 v2, v2
	v_cvt_i32_f32_e32 v3, v4
	v_cndmask_b32_e32 v1, 0, v1, vcc
	v_cmp_nlt_f32_e32 vcc, s3, v7
	v_cndmask_b32_e32 v1, v19, v1, vcc
	v_add_f32_e32 v0, v0, v1
	v_ldexp_f32 v1, v2, v3
	v_mul_f32_e32 v2, 0x3fb8aa3b, v9
	v_fma_f32 v3, v9, s2, -v2
	v_rndne_f32_e32 v4, v2
	v_fmac_f32_e32 v3, 0x32a5705f, v9
	v_sub_f32_e32 v2, v2, v4
	v_add_f32_e32 v2, v2, v3
	v_exp_f32_e32 v2, v2
	v_cvt_i32_f32_e32 v3, v4
	v_cmp_ngt_f32_e32 vcc, s4, v8
	v_cndmask_b32_e32 v1, 0, v1, vcc
	v_cmp_nlt_f32_e32 vcc, s3, v8
	v_cndmask_b32_e32 v1, v19, v1, vcc
	v_add_f32_e32 v0, v0, v1
	v_ldexp_f32 v1, v2, v3
	v_mul_f32_e32 v2, 0x3fb8aa3b, v10
	v_fma_f32 v3, v10, s2, -v2
	v_rndne_f32_e32 v4, v2
	v_fmac_f32_e32 v3, 0x32a5705f, v10
	v_sub_f32_e32 v2, v2, v4
	v_add_f32_e32 v2, v2, v3
	v_exp_f32_e32 v2, v2
	v_cvt_i32_f32_e32 v3, v4
	v_cmp_ngt_f32_e32 vcc, s4, v9
	;; [unrolled: 14-line block ×4, first 2 shown]
	v_cndmask_b32_e32 v1, 0, v1, vcc
	v_cmp_nlt_f32_e32 vcc, s3, v11
	v_cndmask_b32_e32 v1, v19, v1, vcc
	v_add_f32_e32 v0, v0, v1
	v_ldexp_f32 v1, v2, v3
	v_sub_f32_e32 v2, v13, v25
	v_mul_f32_e32 v3, 0x3fb8aa3b, v2
	v_fma_f32 v4, v2, s2, -v3
	v_rndne_f32_e32 v5, v3
	v_fmac_f32_e32 v4, 0x32a5705f, v2
	v_sub_f32_e32 v3, v3, v5
	v_add_f32_e32 v3, v3, v4
	v_exp_f32_e32 v3, v3
	v_cvt_i32_f32_e32 v4, v5
	v_cmp_ngt_f32_e32 vcc, s4, v12
	v_cndmask_b32_e32 v1, 0, v1, vcc
	v_cmp_nlt_f32_e32 vcc, s3, v12
	v_cndmask_b32_e32 v1, v19, v1, vcc
	v_add_f32_e32 v0, v0, v1
	v_ldexp_f32 v1, v3, v4
	v_sub_f32_e32 v3, v14, v25
	v_mul_f32_e32 v4, 0x3fb8aa3b, v3
	v_fma_f32 v5, v3, s2, -v4
	v_rndne_f32_e32 v6, v4
	v_fmac_f32_e32 v5, 0x32a5705f, v3
	v_sub_f32_e32 v4, v4, v6
	v_add_f32_e32 v4, v4, v5
	v_exp_f32_e32 v4, v4
	v_cvt_i32_f32_e32 v5, v6
	v_cmp_ngt_f32_e32 vcc, s4, v2
	v_cndmask_b32_e32 v1, 0, v1, vcc
	v_cmp_nlt_f32_e32 vcc, s3, v2
	v_cndmask_b32_e32 v1, v19, v1, vcc
	v_sub_f32_e32 v2, v15, v25
	v_add_f32_e32 v0, v0, v1
	v_ldexp_f32 v1, v4, v5
	v_mul_f32_e32 v4, 0x3fb8aa3b, v2
	v_fma_f32 v5, v2, s2, -v4
	v_rndne_f32_e32 v6, v4
	v_fmac_f32_e32 v5, 0x32a5705f, v2
	v_sub_f32_e32 v4, v4, v6
	v_add_f32_e32 v4, v4, v5
	v_exp_f32_e32 v4, v4
	v_cvt_i32_f32_e32 v5, v6
	v_cmp_ngt_f32_e32 vcc, s4, v3
	v_cndmask_b32_e32 v1, 0, v1, vcc
	v_cmp_nlt_f32_e32 vcc, s3, v3
	v_cndmask_b32_e32 v1, v19, v1, vcc
	v_add_f32_e32 v0, v0, v1
	v_ldexp_f32 v1, v4, v5
	v_cmp_ngt_f32_e32 vcc, s4, v2
	v_cndmask_b32_e32 v1, 0, v1, vcc
	v_cmp_nlt_f32_e32 vcc, s3, v2
	v_cndmask_b32_e32 v1, v19, v1, vcc
	v_add_f32_e32 v0, v0, v1
	v_cmp_eq_u32_e32 vcc, 0, v24
	s_nop 0
	v_mov_b32_dpp v1, v0 quad_perm:[1,0,3,2] row_mask:0xf bank_mask:0xf
	s_and_b64 exec, exec, vcc
	s_cbranch_execz .LBB163_32
; %bb.20:
	v_add_f32_e32 v0, v0, v1
	v_add_f32_e32 v0, v26, v0
	v_cmp_neq_f32_e32 vcc, 0, v0
	s_and_b64 exec, exec, vcc
	s_cbranch_execz .LBB163_32
; %bb.21:
	s_andn2_b64 vcc, exec, s[44:45]
	s_cbranch_vccnz .LBB163_32
; %bb.22:
	v_div_scale_f32 v1, s[0:1], v0, v0, 1.0
	v_rcp_f32_e32 v2, v1
	v_div_scale_f32 v3, vcc, 1.0, v0, 1.0
	s_cmp_gt_u32 s36, 3
	v_fma_f32 v4, -v1, v2, 1.0
	v_fmac_f32_e32 v2, v4, v2
	v_mul_f32_e32 v4, v3, v2
	v_fma_f32 v5, -v1, v4, v3
	v_fmac_f32_e32 v4, v5, v2
	v_fma_f32 v1, -v1, v4, v3
	v_div_fmas_f32 v1, v1, v2, v4
	v_div_fixup_f32 v0, v1, v0, 1.0
	v_ashrrev_i32_e32 v17, 31, v16
	s_cbranch_scc0 .LBB163_26
; %bb.23:
	v_lshlrev_b64 v[2:3], 2, v[16:17]
	v_mov_b32_e32 v4, s35
	v_add_co_u32_e32 v2, vcc, s34, v2
	v_addc_co_u32_e32 v3, vcc, v3, v4, vcc
	s_and_b32 s4, s36, 0x7ffffffc
	v_add_co_u32_e32 v2, vcc, 8, v2
	v_mov_b32_e32 v1, v0
	v_addc_co_u32_e32 v3, vcc, 0, v3, vcc
	s_mov_b32 s0, s4
.LBB163_24:                             ; =>This Inner Loop Header: Depth=1
	global_load_dwordx4 v[4:7], v[2:3], off offset:-8
	s_add_i32 s0, s0, -4
	s_cmp_lg_u32 s0, 0
	s_waitcnt vmcnt(0)
	v_pk_mul_f32 v[4:5], v[0:1], v[4:5]
	v_pk_mul_f32 v[6:7], v[0:1], v[6:7]
	global_store_dwordx4 v[2:3], v[4:7], off offset:-8
	v_add_co_u32_e32 v2, vcc, 16, v2
	v_addc_co_u32_e32 v3, vcc, 0, v3, vcc
	s_cbranch_scc1 .LBB163_24
; %bb.25:
	s_cmp_lg_u32 s4, s36
	s_mov_b64 s[2:3], 0
	s_cselect_b64 s[0:1], -1, 0
	s_branch .LBB163_27
.LBB163_26:
	s_mov_b64 s[2:3], -1
	s_mov_b64 s[0:1], 0
                                        ; implicit-def: $sgpr4
.LBB163_27:
	s_and_b64 vcc, exec, s[2:3]
	s_cbranch_vccz .LBB163_29
; %bb.28:
	s_mov_b64 s[0:1], -1
	s_mov_b32 s4, 0
.LBB163_29:
	s_andn2_b64 vcc, exec, s[0:1]
	s_cbranch_vccnz .LBB163_32
; %bb.30:
	v_add_co_u32_e32 v2, vcc, s4, v16
	v_addc_co_u32_e32 v3, vcc, 0, v17, vcc
	v_lshlrev_b64 v[2:3], 2, v[2:3]
	v_mov_b32_e32 v1, s35
	v_add_co_u32_e32 v2, vcc, s34, v2
	s_sub_i32 s0, s36, s4
	v_addc_co_u32_e32 v3, vcc, v1, v3, vcc
.LBB163_31:                             ; =>This Inner Loop Header: Depth=1
	global_load_dword v1, v[2:3], off
	s_add_i32 s0, s0, -1
	s_cmp_lg_u32 s0, 0
	s_waitcnt vmcnt(0)
	v_mul_f32_e32 v1, v0, v1
	global_store_dword v[2:3], v1, off
	v_add_co_u32_e32 v2, vcc, 4, v2
	v_addc_co_u32_e32 v3, vcc, 0, v3, vcc
	s_cbranch_scc1 .LBB163_31
.LBB163_32:
	s_endpgm
	.section	.rodata,"a",@progbits
	.p2align	6, 0x0
	.amdhsa_kernel _ZN4vllm3moe17topkGatingSoftmaxIDF16_Li16ELi32ELi8ELi32ELb0ELi4ELNS0_23SharedExpertScoringFuncE1EEEvPKT_PKbPfiPiS9_iiiiii
		.amdhsa_group_segment_fixed_size 0
		.amdhsa_private_segment_fixed_size 0
		.amdhsa_kernarg_size 72
		.amdhsa_user_sgpr_count 6
		.amdhsa_user_sgpr_private_segment_buffer 1
		.amdhsa_user_sgpr_dispatch_ptr 0
		.amdhsa_user_sgpr_queue_ptr 0
		.amdhsa_user_sgpr_kernarg_segment_ptr 1
		.amdhsa_user_sgpr_dispatch_id 0
		.amdhsa_user_sgpr_flat_scratch_init 0
		.amdhsa_user_sgpr_kernarg_preload_length 0
		.amdhsa_user_sgpr_kernarg_preload_offset 0
		.amdhsa_user_sgpr_private_segment_size 0
		.amdhsa_uses_dynamic_stack 0
		.amdhsa_system_sgpr_private_segment_wavefront_offset 0
		.amdhsa_system_sgpr_workgroup_id_x 1
		.amdhsa_system_sgpr_workgroup_id_y 0
		.amdhsa_system_sgpr_workgroup_id_z 0
		.amdhsa_system_sgpr_workgroup_info 0
		.amdhsa_system_vgpr_workitem_id 1
		.amdhsa_next_free_vgpr 49
		.amdhsa_next_free_sgpr 53
		.amdhsa_accum_offset 52
		.amdhsa_reserve_vcc 1
		.amdhsa_reserve_flat_scratch 0
		.amdhsa_float_round_mode_32 0
		.amdhsa_float_round_mode_16_64 0
		.amdhsa_float_denorm_mode_32 3
		.amdhsa_float_denorm_mode_16_64 3
		.amdhsa_dx10_clamp 1
		.amdhsa_ieee_mode 1
		.amdhsa_fp16_overflow 0
		.amdhsa_tg_split 0
		.amdhsa_exception_fp_ieee_invalid_op 0
		.amdhsa_exception_fp_denorm_src 0
		.amdhsa_exception_fp_ieee_div_zero 0
		.amdhsa_exception_fp_ieee_overflow 0
		.amdhsa_exception_fp_ieee_underflow 0
		.amdhsa_exception_fp_ieee_inexact 0
		.amdhsa_exception_int_div_zero 0
	.end_amdhsa_kernel
	.section	.text._ZN4vllm3moe17topkGatingSoftmaxIDF16_Li16ELi32ELi8ELi32ELb0ELi4ELNS0_23SharedExpertScoringFuncE1EEEvPKT_PKbPfiPiS9_iiiiii,"axG",@progbits,_ZN4vllm3moe17topkGatingSoftmaxIDF16_Li16ELi32ELi8ELi32ELb0ELi4ELNS0_23SharedExpertScoringFuncE1EEEvPKT_PKbPfiPiS9_iiiiii,comdat
.Lfunc_end163:
	.size	_ZN4vllm3moe17topkGatingSoftmaxIDF16_Li16ELi32ELi8ELi32ELb0ELi4ELNS0_23SharedExpertScoringFuncE1EEEvPKT_PKbPfiPiS9_iiiiii, .Lfunc_end163-_ZN4vllm3moe17topkGatingSoftmaxIDF16_Li16ELi32ELi8ELi32ELb0ELi4ELNS0_23SharedExpertScoringFuncE1EEEvPKT_PKbPfiPiS9_iiiiii
                                        ; -- End function
	.section	.AMDGPU.csdata,"",@progbits
; Kernel info:
; codeLenInByte = 4104
; NumSgprs: 57
; NumVgprs: 49
; NumAgprs: 0
; TotalNumVgprs: 49
; ScratchSize: 0
; MemoryBound: 0
; FloatMode: 240
; IeeeMode: 1
; LDSByteSize: 0 bytes/workgroup (compile time only)
; SGPRBlocks: 7
; VGPRBlocks: 6
; NumSGPRsForWavesPerEU: 57
; NumVGPRsForWavesPerEU: 49
; AccumOffset: 52
; Occupancy: 8
; WaveLimiterHint : 0
; COMPUTE_PGM_RSRC2:SCRATCH_EN: 0
; COMPUTE_PGM_RSRC2:USER_SGPR: 6
; COMPUTE_PGM_RSRC2:TRAP_HANDLER: 0
; COMPUTE_PGM_RSRC2:TGID_X_EN: 1
; COMPUTE_PGM_RSRC2:TGID_Y_EN: 0
; COMPUTE_PGM_RSRC2:TGID_Z_EN: 0
; COMPUTE_PGM_RSRC2:TIDIG_COMP_CNT: 1
; COMPUTE_PGM_RSRC3_GFX90A:ACCUM_OFFSET: 12
; COMPUTE_PGM_RSRC3_GFX90A:TG_SPLIT: 0
	.section	.text._ZN4vllm3moe17topkGatingSoftmaxIDF16_Li16ELi32ELi8ELi32ELb1ELi8ELNS0_23SharedExpertScoringFuncE1EEEvPKT_PKbPfiPiS9_iiiiii,"axG",@progbits,_ZN4vllm3moe17topkGatingSoftmaxIDF16_Li16ELi32ELi8ELi32ELb1ELi8ELNS0_23SharedExpertScoringFuncE1EEEvPKT_PKbPfiPiS9_iiiiii,comdat
	.protected	_ZN4vllm3moe17topkGatingSoftmaxIDF16_Li16ELi32ELi8ELi32ELb1ELi8ELNS0_23SharedExpertScoringFuncE1EEEvPKT_PKbPfiPiS9_iiiiii ; -- Begin function _ZN4vllm3moe17topkGatingSoftmaxIDF16_Li16ELi32ELi8ELi32ELb1ELi8ELNS0_23SharedExpertScoringFuncE1EEEvPKT_PKbPfiPiS9_iiiiii
	.globl	_ZN4vllm3moe17topkGatingSoftmaxIDF16_Li16ELi32ELi8ELi32ELb1ELi8ELNS0_23SharedExpertScoringFuncE1EEEvPKT_PKbPfiPiS9_iiiiii
	.p2align	8
	.type	_ZN4vllm3moe17topkGatingSoftmaxIDF16_Li16ELi32ELi8ELi32ELb1ELi8ELNS0_23SharedExpertScoringFuncE1EEEvPKT_PKbPfiPiS9_iiiiii,@function
_ZN4vllm3moe17topkGatingSoftmaxIDF16_Li16ELi32ELi8ELi32ELb1ELi8ELNS0_23SharedExpertScoringFuncE1EEEvPKT_PKbPfiPiS9_iiiiii: ; @_ZN4vllm3moe17topkGatingSoftmaxIDF16_Li16ELi32ELi8ELi32ELb1ELi8ELNS0_23SharedExpertScoringFuncE1EEEvPKT_PKbPfiPiS9_iiiiii
; %bb.0:
	s_load_dword s33, s[4:5], 0x18
	v_bfe_u32 v1, v0, 10, 10
	v_and_b32_e32 v0, 0x3ff, v0
	s_lshl_b32 s50, s6, 8
	v_lshlrev_b32_e32 v22, 5, v1
	v_lshrrev_b32_e32 v23, 1, v0
	v_add3_u32 v43, s50, v22, v23
	s_waitcnt lgkmcnt(0)
	v_cmp_gt_i32_e32 vcc, s33, v43
	s_and_saveexec_b64 s[0:1], vcc
	s_cbranch_execz .LBB164_30
; %bb.1:
	s_load_dwordx4 s[0:3], s[4:5], 0x0
	s_load_dwordx2 s[34:35], s[4:5], 0x10
	s_mov_b64 s[6:7], 0
	s_waitcnt lgkmcnt(0)
	s_cmp_eq_u64 s[2:3], 0
	s_cbranch_scc1 .LBB164_3
; %bb.2:
	v_ashrrev_i32_e32 v1, 31, v43
	v_mov_b32_e32 v3, s3
	v_add_co_u32_e32 v2, vcc, s2, v43
	v_addc_co_u32_e32 v3, vcc, v3, v1, vcc
	global_load_ubyte v1, v[2:3], off
	s_waitcnt vmcnt(0)
	v_and_b32_e32 v1, 1, v1
	v_cmp_eq_u32_e32 vcc, 1, v1
	s_xor_b64 s[2:3], vcc, -1
	s_orn2_b64 s[44:45], s[2:3], exec
	s_branch .LBB164_4
.LBB164_3:
	s_mov_b64 s[44:45], -1
.LBB164_4:
	s_load_dwordx2 s[8:9], s[4:5], 0x40
	s_load_dwordx4 s[36:39], s[4:5], 0x30
	v_mov_b32_e32 v1, s1
	v_and_b32_e32 v24, 1, v0
	v_lshlrev_b32_e32 v0, 5, v24
	s_waitcnt lgkmcnt(0)
	v_mul_lo_u32 v2, v43, s9
	v_ashrrev_i32_e32 v3, 31, v2
	v_lshlrev_b64 v[8:9], 1, v[2:3]
	v_add_co_u32_e32 v2, vcc, s0, v8
	v_addc_co_u32_e32 v1, vcc, v1, v9, vcc
	v_add_co_u32_e32 v0, vcc, v2, v0
	v_addc_co_u32_e32 v1, vcc, 0, v1, vcc
	global_load_dwordx4 v[12:15], v[0:1], off offset:16
	global_load_dwordx4 v[4:7], v[0:1], off
	v_lshlrev_b32_e32 v0, 1, v24
	v_add_co_u32_e32 v0, vcc, v8, v0
	v_addc_co_u32_e32 v1, vcc, 0, v9, vcc
	v_mov_b32_e32 v3, s1
	v_add_co_u32_e32 v0, vcc, s0, v0
	v_addc_co_u32_e32 v1, vcc, v1, v3, vcc
	v_mul_lo_u32 v16, v43, s39
	v_add_co_u32_e32 v0, vcc, 64, v0
	v_lshlrev_b32_e32 v25, 4, v24
	v_add_u32_e32 v2, s36, v16
	v_addc_co_u32_e32 v1, vcc, 0, v1, vcc
	s_mov_b32 s0, 0x3fb8aa3b
	s_mov_b32 s1, 0x32a5705f
	;; [unrolled: 1-line block ×4, first 2 shown]
	v_mov_b32_e32 v3, 0x7f800000
	v_mov_b32_e32 v8, s35
	;; [unrolled: 1-line block ×3, first 2 shown]
.LBB164_5:                              ; =>This Inner Loop Header: Depth=1
	global_load_ushort v17, v[0:1], off
	v_add_co_u32_e32 v0, vcc, 4, v0
	v_add_u32_e32 v18, 2, v9
	v_addc_co_u32_e32 v1, vcc, 0, v1, vcc
	v_add_u32_e32 v10, v2, v9
	v_cmp_lt_u32_e32 vcc, 5, v9
	v_mov_b32_e32 v9, v18
	v_ashrrev_i32_e32 v11, 31, v10
	v_lshlrev_b64 v[10:11], 2, v[10:11]
	s_or_b64 s[6:7], vcc, s[6:7]
	v_add_co_u32_e32 v10, vcc, s34, v10
	v_addc_co_u32_e32 v11, vcc, v8, v11, vcc
	s_waitcnt vmcnt(0)
	v_cvt_f32_f16_e64 v18, -v17
	v_mul_f32_e32 v19, 0x3fb8aa3b, v18
	v_rndne_f32_e32 v20, v19
	v_fma_mix_f32 v21, -v17, s0, -v19 op_sel_hi:[1,0,0]
	v_sub_f32_e32 v19, v19, v20
	v_fma_mix_f32 v17, -v17, s1, v21 op_sel_hi:[1,0,0]
	v_add_f32_e32 v17, v19, v17
	v_cvt_i32_f32_e32 v20, v20
	v_exp_f32_e32 v17, v17
	v_cmp_ngt_f32_e32 vcc, s2, v18
	v_ldexp_f32 v17, v17, v20
	v_cndmask_b32_e32 v17, 0, v17, vcc
	v_cmp_nlt_f32_e32 vcc, s3, v18
	v_cndmask_b32_e32 v17, v3, v17, vcc
	v_add_f32_e32 v17, 1.0, v17
	v_div_scale_f32 v18, s[10:11], v17, v17, 1.0
	v_rcp_f32_e32 v19, v18
	v_div_scale_f32 v20, vcc, 1.0, v17, 1.0
	v_fma_f32 v21, -v18, v19, 1.0
	v_fmac_f32_e32 v19, v21, v19
	v_mul_f32_e32 v21, v20, v19
	v_fma_f32 v26, -v18, v21, v20
	v_fmac_f32_e32 v21, v26, v19
	v_fma_f32 v18, -v18, v21, v20
	v_div_fmas_f32 v18, v18, v19, v21
	v_div_fixup_f32 v17, v18, v17, 1.0
	global_store_dword v[10:11], v17, off
	s_andn2_b64 exec, exec, s[6:7]
	s_cbranch_execnz .LBB164_5
; %bb.6:
	s_or_b64 exec, exec, s[6:7]
	v_cvt_f32_f16_e32 v0, v4
	v_cvt_f32_f16_sdwa v1, v4 dst_sel:DWORD dst_unused:UNUSED_PAD src0_sel:WORD_1
	v_cvt_f32_f16_e32 v2, v5
	v_cmp_lt_f16_sdwa vcc, v4, v4 src0_sel:DWORD src1_sel:WORD_1
	v_or_b32_e32 v26, 1, v25
	v_cndmask_b32_e32 v4, v0, v1, vcc
	v_cndmask_b32_e32 v3, v25, v26, vcc
	v_or_b32_e32 v27, 2, v25
	v_cmp_lt_f32_e32 vcc, v4, v2
	v_cndmask_b32_e32 v8, v3, v27, vcc
	v_cvt_f32_f16_sdwa v3, v5 dst_sel:DWORD dst_unused:UNUSED_PAD src0_sel:WORD_1
	v_cndmask_b32_e32 v4, v4, v2, vcc
	v_or_b32_e32 v28, 3, v25
	v_or_b32_e32 v29, 4, v25
	v_cmp_lt_f32_e32 vcc, v4, v3
	v_cndmask_b32_e32 v5, v8, v28, vcc
	v_cndmask_b32_e32 v8, v4, v3, vcc
	v_cvt_f32_f16_e32 v4, v6
	v_or_b32_e32 v30, 5, v25
	v_or_b32_e32 v31, 6, v25
	;; [unrolled: 1-line block ×3, first 2 shown]
	v_cmp_lt_f32_e32 vcc, v8, v4
	v_cndmask_b32_e32 v9, v5, v29, vcc
	v_cvt_f32_f16_sdwa v5, v6 dst_sel:DWORD dst_unused:UNUSED_PAD src0_sel:WORD_1
	v_cvt_f32_f16_e32 v6, v7
	v_cndmask_b32_e32 v8, v8, v4, vcc
	v_cvt_f32_f16_sdwa v7, v7 dst_sel:DWORD dst_unused:UNUSED_PAD src0_sel:WORD_1
	v_cmp_lt_f32_e32 vcc, v8, v5
	v_cndmask_b32_e32 v8, v8, v5, vcc
	v_cndmask_b32_e32 v9, v9, v30, vcc
	v_cmp_lt_f32_e32 vcc, v8, v6
	v_cndmask_b32_e32 v8, v8, v6, vcc
	v_cndmask_b32_e32 v9, v9, v31, vcc
	v_cmp_lt_f32_e32 vcc, v8, v7
	v_cndmask_b32_e32 v10, v8, v7, vcc
	v_cvt_f32_f16_e32 v8, v12
	v_cndmask_b32_e32 v9, v9, v32, vcc
	v_or_b32_e32 v33, 8, v25
	v_or_b32_e32 v34, 9, v25
	v_cmp_lt_f32_e32 vcc, v10, v8
	v_cndmask_b32_e32 v11, v9, v33, vcc
	v_cvt_f32_f16_sdwa v9, v12 dst_sel:DWORD dst_unused:UNUSED_PAD src0_sel:WORD_1
	v_cndmask_b32_e32 v10, v10, v8, vcc
	v_or_b32_e32 v35, 10, v25
	v_or_b32_e32 v36, 11, v25
	v_cmp_lt_f32_e32 vcc, v10, v9
	v_cndmask_b32_e32 v12, v10, v9, vcc
	v_cvt_f32_f16_e32 v10, v13
	v_cndmask_b32_e32 v11, v11, v34, vcc
	v_or_b32_e32 v37, 12, v25
	v_or_b32_e32 v38, 13, v25
	v_cmp_lt_f32_e32 vcc, v12, v10
	v_cndmask_b32_e32 v17, v11, v35, vcc
	v_cvt_f32_f16_sdwa v11, v13 dst_sel:DWORD dst_unused:UNUSED_PAD src0_sel:WORD_1
	v_cndmask_b32_e32 v12, v12, v10, vcc
	v_or_b32_e32 v39, 14, v25
	v_or_b32_e32 v40, 15, v25
	v_cmp_lt_f32_e32 vcc, v12, v11
	v_cndmask_b32_e32 v13, v17, v36, vcc
	v_cndmask_b32_e32 v17, v12, v11, vcc
	v_cvt_f32_f16_e32 v12, v14
	s_cmp_gt_i32 s36, 0
	s_cselect_b64 s[46:47], -1, 0
	v_cmp_eq_u32_e64 s[0:1], 0, v24
	v_cmp_lt_f32_e32 vcc, v17, v12
	v_cndmask_b32_e32 v18, v13, v37, vcc
	v_cvt_f32_f16_sdwa v13, v14 dst_sel:DWORD dst_unused:UNUSED_PAD src0_sel:WORD_1
	v_cvt_f32_f16_e32 v14, v15
	v_cndmask_b32_e32 v17, v17, v12, vcc
	v_cvt_f32_f16_sdwa v15, v15 dst_sel:DWORD dst_unused:UNUSED_PAD src0_sel:WORD_1
	v_cmp_lt_f32_e32 vcc, v17, v13
	v_cndmask_b32_e32 v17, v17, v13, vcc
	v_cndmask_b32_e32 v18, v18, v38, vcc
	v_cmp_lt_f32_e32 vcc, v17, v14
	v_cndmask_b32_e32 v17, v17, v14, vcc
	v_cndmask_b32_e32 v18, v18, v39, vcc
	;; [unrolled: 3-line block ×3, first 2 shown]
	s_and_b64 vcc, exec, s[46:47]
	v_mov_b32_dpp v20, v18 quad_perm:[1,0,3,2] row_mask:0xf bank_mask:0xf
	v_mov_b32_dpp v19, v17 quad_perm:[1,0,3,2] row_mask:0xf bank_mask:0xf
	s_cbranch_vccz .LBB164_18
; %bb.7:
	s_load_dwordx4 s[40:43], s[4:5], 0x20
	v_cmp_eq_f32_e64 s[2:3], v17, v19
	v_cmp_lt_i32_e64 s[6:7], v20, v18
	v_cmp_lt_f32_e32 vcc, v17, v19
	s_and_b64 s[2:3], s[2:3], s[6:7]
	s_or_b64 vcc, vcc, s[2:3]
	v_cndmask_b32_e32 v44, v18, v20, vcc
	v_cndmask_b32_e32 v42, v17, v19, vcc
	v_mul_lo_u32 v20, v43, s8
	v_mul_lo_u32 v18, v43, s36
	v_mov_b32_e32 v41, 0
	s_and_saveexec_b64 s[4:5], s[0:1]
	s_cbranch_execz .LBB164_9
; %bb.8:
	v_sub_f32_e32 v17, v42, v42
	v_mul_f32_e32 v19, 0x3fb8aa3b, v17
	s_mov_b32 s2, 0x3fb8aa3b
	v_rndne_f32_e32 v21, v19
	v_sub_f32_e32 v41, v19, v21
	v_fma_f32 v19, v17, s2, -v19
	v_fmac_f32_e32 v19, 0x32a5705f, v17
	v_add_f32_e32 v19, v41, v19
	v_exp_f32_e32 v19, v19
	v_cvt_i32_f32_e32 v21, v21
	v_cmp_le_i32_e32 vcc, s37, v44
	v_cmp_gt_i32_e64 s[2:3], s38, v44
	s_mov_b32 s6, 0xc2ce8ed0
	s_and_b64 s[2:3], vcc, s[2:3]
	v_ldexp_f32 v19, v19, v21
	v_cmp_ngt_f32_e32 vcc, s6, v17
	s_mov_b32 s6, 0x42b17218
	v_cndmask_b32_e32 v19, 0, v19, vcc
	v_cmp_nlt_f32_e32 vcc, s6, v17
	v_ashrrev_i32_e32 v17, 31, v16
	v_mov_b32_e32 v21, 0x7f800000
	v_lshlrev_b64 v[46:47], 2, v[16:17]
	v_cndmask_b32_e32 v41, v21, v19, vcc
	v_mov_b32_e32 v17, s35
	v_add_co_u32_e32 v46, vcc, s34, v46
	v_addc_co_u32_e32 v47, vcc, v17, v47, vcc
	v_ashrrev_i32_e32 v21, 31, v20
	global_store_dword v[46:47], v41, off
	v_subrev_u32_e32 v17, s37, v44
	s_and_b64 vcc, s[44:45], s[2:3]
	v_lshlrev_b64 v[46:47], 2, v[20:21]
	v_cndmask_b32_e32 v17, 32, v17, vcc
	s_waitcnt lgkmcnt(0)
	v_mov_b32_e32 v19, s41
	v_add_co_u32_e32 v46, vcc, s40, v46
	v_addc_co_u32_e32 v47, vcc, v19, v47, vcc
	v_ashrrev_i32_e32 v19, 31, v18
	global_store_dword v[46:47], v17, off
	v_lshlrev_b64 v[46:47], 2, v[18:19]
	v_mov_b32_e32 v17, s43
	v_add_co_u32_e32 v46, vcc, s42, v46
	v_addc_co_u32_e32 v47, vcc, v17, v47, vcc
	global_store_dword v[46:47], v43, off
.LBB164_9:
	s_or_b64 exec, exec, s[4:5]
	v_ashrrev_i32_e32 v19, 31, v44
	v_lshrrev_b32_e32 v17, 28, v19
	v_add_u32_e32 v21, v44, v17
	v_ashrrev_i32_e32 v17, 4, v21
	v_lshrrev_b32_e32 v21, 31, v21
	v_add_u32_e32 v21, v17, v21
	v_and_b32_e32 v21, -2, v21
	v_sub_u32_e32 v21, v17, v21
	v_cmp_eq_u32_e32 vcc, v24, v21
	s_and_saveexec_b64 s[48:49], vcc
	s_cbranch_execz .LBB164_11
; %bb.10:
	v_lshrrev_b32_e32 v19, 27, v19
	v_add_u32_e32 v19, v44, v19
	v_lshlrev_b32_e32 v17, 4, v17
	v_sub_u32_e32 v17, v44, v17
	v_ashrrev_i32_e32 v19, 5, v19
	v_lshl_add_u32 v17, v19, 4, v17
	v_mov_b32_e32 v19, 0xff800000
	v_cmp_ne_u32_e32 vcc, 14, v17
	v_cmp_ne_u32_e64 s[2:3], 13, v17
	v_cmp_ne_u32_e64 s[4:5], 12, v17
	;; [unrolled: 1-line block ×15, first 2 shown]
	v_cndmask_b32_e64 v15, v19, v15, s[30:31]
	v_cndmask_b32_e32 v14, v19, v14, vcc
	v_cndmask_b32_e64 v13, v19, v13, s[2:3]
	v_cndmask_b32_e64 v12, v19, v12, s[4:5]
	v_cndmask_b32_e64 v11, v19, v11, s[6:7]
	v_cndmask_b32_e64 v10, v19, v10, s[8:9]
	v_cndmask_b32_e64 v9, v19, v9, s[10:11]
	v_cndmask_b32_e64 v8, v19, v8, s[12:13]
	v_cndmask_b32_e64 v7, v19, v7, s[14:15]
	v_cndmask_b32_e64 v6, v19, v6, s[16:17]
	v_cndmask_b32_e64 v5, v19, v5, s[18:19]
	v_cndmask_b32_e64 v4, v19, v4, s[20:21]
	v_cndmask_b32_e64 v3, v19, v3, s[22:23]
	v_cndmask_b32_e64 v2, v19, v2, s[24:25]
	v_cndmask_b32_e64 v1, v19, v1, s[26:27]
	v_cndmask_b32_e64 v0, v19, v0, s[28:29]
.LBB164_11:
	s_or_b64 exec, exec, s[48:49]
	s_cmp_eq_u32 s36, 1
	s_cbranch_scc1 .LBB164_19
; %bb.12:
	s_add_i32 s50, s50, s33
	s_add_i32 s39, s36, -1
	v_add3_u32 v17, s50, v23, v22
	v_add_u32_e32 v18, 1, v18
	v_add_u32_e32 v20, 1, v20
	;; [unrolled: 1-line block ×3, first 2 shown]
	s_mov_b32 s50, 0x3fb8aa3b
	s_mov_b32 s51, 0xc2ce8ed0
	;; [unrolled: 1-line block ×3, first 2 shown]
	v_mov_b32_e32 v43, 0x7f800000
	v_mov_b32_e32 v44, 0xff800000
	s_branch .LBB164_14
.LBB164_13:                             ;   in Loop: Header=BB164_14 Depth=1
	s_or_b64 exec, exec, s[48:49]
	s_add_i32 s39, s39, -1
	v_add_u32_e32 v17, s33, v17
	v_add_u32_e32 v18, 1, v18
	;; [unrolled: 1-line block ×3, first 2 shown]
	s_cmp_eq_u32 s39, 0
	v_add_u32_e32 v22, 1, v22
	s_cbranch_scc1 .LBB164_19
.LBB164_14:                             ; =>This Inner Loop Header: Depth=1
	v_cmp_gt_f32_e32 vcc, v1, v0
	v_cndmask_b32_e32 v21, v0, v1, vcc
	v_cndmask_b32_e32 v19, v25, v26, vcc
	v_cmp_gt_f32_e32 vcc, v2, v21
	v_cndmask_b32_e32 v21, v21, v2, vcc
	v_cndmask_b32_e32 v19, v19, v27, vcc
	;; [unrolled: 3-line block ×15, first 2 shown]
	s_nop 0
	v_mov_b32_dpp v45, v23 quad_perm:[1,0,3,2] row_mask:0xf bank_mask:0xf
	v_mov_b32_dpp v21, v19 quad_perm:[1,0,3,2] row_mask:0xf bank_mask:0xf
	v_cmp_eq_f32_e64 s[2:3], v19, v21
	v_cmp_lt_i32_e64 s[4:5], v45, v23
	v_cmp_lt_f32_e32 vcc, v19, v21
	s_and_b64 s[2:3], s[2:3], s[4:5]
	s_or_b64 vcc, vcc, s[2:3]
	v_cndmask_b32_e32 v45, v23, v45, vcc
	s_and_saveexec_b64 s[4:5], s[0:1]
	s_cbranch_execz .LBB164_16
; %bb.15:                               ;   in Loop: Header=BB164_14 Depth=1
	v_cndmask_b32_e32 v19, v19, v21, vcc
	v_sub_f32_e32 v19, v19, v42
	v_mul_f32_e32 v21, 0x3fb8aa3b, v19
	v_fma_f32 v23, v19, s50, -v21
	v_rndne_f32_e32 v46, v21
	v_fmac_f32_e32 v23, 0x32a5705f, v19
	v_sub_f32_e32 v21, v21, v46
	v_add_f32_e32 v21, v21, v23
	v_exp_f32_e32 v21, v21
	v_cvt_i32_f32_e32 v23, v46
	v_cmp_le_i32_e32 vcc, s37, v45
	v_cmp_gt_i32_e64 s[2:3], s38, v45
	s_and_b64 s[2:3], vcc, s[2:3]
	v_ldexp_f32 v21, v21, v23
	v_cmp_ngt_f32_e32 vcc, s51, v19
	v_ashrrev_i32_e32 v23, 31, v22
	v_cndmask_b32_e32 v21, 0, v21, vcc
	v_cmp_nlt_f32_e32 vcc, s52, v19
	v_lshlrev_b64 v[46:47], 2, v[22:23]
	v_cndmask_b32_e32 v48, v43, v21, vcc
	v_mov_b32_e32 v19, s35
	v_add_co_u32_e32 v46, vcc, s34, v46
	v_addc_co_u32_e32 v47, vcc, v19, v47, vcc
	v_ashrrev_i32_e32 v21, 31, v20
	global_store_dword v[46:47], v48, off
	v_subrev_u32_e32 v19, s37, v45
	s_and_b64 vcc, s[44:45], s[2:3]
	v_lshlrev_b64 v[46:47], 2, v[20:21]
	v_cndmask_b32_e32 v19, 32, v19, vcc
	s_waitcnt lgkmcnt(0)
	v_mov_b32_e32 v21, s41
	v_add_co_u32_e32 v46, vcc, s40, v46
	v_addc_co_u32_e32 v47, vcc, v21, v47, vcc
	global_store_dword v[46:47], v19, off
	v_ashrrev_i32_e32 v19, 31, v18
	v_lshlrev_b64 v[46:47], 2, v[18:19]
	v_mov_b32_e32 v19, s43
	v_add_co_u32_e32 v46, vcc, s42, v46
	v_addc_co_u32_e32 v47, vcc, v19, v47, vcc
	v_add_f32_e32 v41, v41, v48
	global_store_dword v[46:47], v17, off
.LBB164_16:                             ;   in Loop: Header=BB164_14 Depth=1
	s_or_b64 exec, exec, s[4:5]
	v_ashrrev_i32_e32 v21, 31, v45
	v_lshrrev_b32_e32 v19, 28, v21
	v_add_u32_e32 v23, v45, v19
	v_ashrrev_i32_e32 v19, 4, v23
	v_lshrrev_b32_e32 v23, 31, v23
	v_add_u32_e32 v23, v19, v23
	v_and_b32_e32 v23, -2, v23
	v_sub_u32_e32 v23, v19, v23
	v_cmp_eq_u32_e32 vcc, v24, v23
	s_and_saveexec_b64 s[48:49], vcc
	s_cbranch_execz .LBB164_13
; %bb.17:                               ;   in Loop: Header=BB164_14 Depth=1
	v_lshrrev_b32_e32 v21, 27, v21
	v_add_u32_e32 v21, v45, v21
	v_lshlrev_b32_e32 v19, 4, v19
	v_sub_u32_e32 v19, v45, v19
	v_ashrrev_i32_e32 v21, 5, v21
	v_lshl_add_u32 v19, v21, 4, v19
	v_cmp_ne_u32_e32 vcc, 14, v19
	v_cmp_ne_u32_e64 s[2:3], 13, v19
	v_cmp_ne_u32_e64 s[4:5], 12, v19
	;; [unrolled: 1-line block ×15, first 2 shown]
	v_cndmask_b32_e64 v15, v44, v15, s[30:31]
	v_cndmask_b32_e32 v14, v44, v14, vcc
	v_cndmask_b32_e64 v13, v44, v13, s[2:3]
	v_cndmask_b32_e64 v12, v44, v12, s[4:5]
	;; [unrolled: 1-line block ×14, first 2 shown]
	s_branch .LBB164_13
.LBB164_18:
	v_mov_b32_e32 v41, 0
.LBB164_19:
	v_cmp_eq_u32_e32 vcc, 0, v24
	v_cmp_neq_f32_e64 s[0:1], 0, v41
	s_and_b64 s[0:1], vcc, s[0:1]
	s_and_b64 exec, exec, s[0:1]
	s_cbranch_execz .LBB164_30
; %bb.20:
	s_andn2_b64 vcc, exec, s[46:47]
	s_cbranch_vccnz .LBB164_30
; %bb.21:
	v_div_scale_f32 v0, s[0:1], v41, v41, 1.0
	v_rcp_f32_e32 v1, v0
	v_div_scale_f32 v2, vcc, 1.0, v41, 1.0
	s_cmp_gt_u32 s36, 3
	v_fma_f32 v3, -v0, v1, 1.0
	v_fmac_f32_e32 v1, v3, v1
	v_mul_f32_e32 v3, v2, v1
	v_fma_f32 v4, -v0, v3, v2
	v_fmac_f32_e32 v3, v4, v1
	v_fma_f32 v0, -v0, v3, v2
	v_div_fmas_f32 v0, v0, v1, v3
	v_div_fixup_f32 v0, v0, v41, 1.0
	v_ashrrev_i32_e32 v17, 31, v16
	s_cbranch_scc0 .LBB164_25
; %bb.22:
	v_lshlrev_b64 v[2:3], 2, v[16:17]
	v_mov_b32_e32 v4, s35
	v_add_co_u32_e32 v2, vcc, s34, v2
	v_addc_co_u32_e32 v3, vcc, v3, v4, vcc
	s_and_b32 s4, s36, 0x7ffffffc
	v_add_co_u32_e32 v2, vcc, 8, v2
	v_mov_b32_e32 v1, v0
	v_addc_co_u32_e32 v3, vcc, 0, v3, vcc
	s_mov_b32 s0, s4
.LBB164_23:                             ; =>This Inner Loop Header: Depth=1
	global_load_dwordx4 v[4:7], v[2:3], off offset:-8
	s_add_i32 s0, s0, -4
	s_cmp_lg_u32 s0, 0
	s_waitcnt vmcnt(0)
	v_pk_mul_f32 v[4:5], v[0:1], v[4:5]
	v_pk_mul_f32 v[6:7], v[0:1], v[6:7]
	global_store_dwordx4 v[2:3], v[4:7], off offset:-8
	v_add_co_u32_e32 v2, vcc, 16, v2
	v_addc_co_u32_e32 v3, vcc, 0, v3, vcc
	s_cbranch_scc1 .LBB164_23
; %bb.24:
	s_cmp_lg_u32 s4, s36
	s_cselect_b64 s[0:1], -1, 0
	s_branch .LBB164_27
.LBB164_25:
	s_mov_b64 s[0:1], 0
                                        ; implicit-def: $sgpr4
	s_cbranch_execz .LBB164_27
; %bb.26:
	s_mov_b64 s[0:1], -1
	s_mov_b32 s4, 0
.LBB164_27:
	s_andn2_b64 vcc, exec, s[0:1]
	s_cbranch_vccnz .LBB164_30
; %bb.28:
	v_add_co_u32_e32 v2, vcc, s4, v16
	v_addc_co_u32_e32 v3, vcc, 0, v17, vcc
	v_lshlrev_b64 v[2:3], 2, v[2:3]
	v_mov_b32_e32 v1, s35
	v_add_co_u32_e32 v2, vcc, s34, v2
	s_sub_i32 s0, s36, s4
	v_addc_co_u32_e32 v3, vcc, v1, v3, vcc
.LBB164_29:                             ; =>This Inner Loop Header: Depth=1
	global_load_dword v1, v[2:3], off
	s_add_i32 s0, s0, -1
	s_cmp_lg_u32 s0, 0
	s_waitcnt vmcnt(0)
	v_mul_f32_e32 v1, v0, v1
	global_store_dword v[2:3], v1, off
	v_add_co_u32_e32 v2, vcc, 4, v2
	v_addc_co_u32_e32 v3, vcc, 0, v3, vcc
	s_cbranch_scc1 .LBB164_29
.LBB164_30:
	s_endpgm
	.section	.rodata,"a",@progbits
	.p2align	6, 0x0
	.amdhsa_kernel _ZN4vllm3moe17topkGatingSoftmaxIDF16_Li16ELi32ELi8ELi32ELb1ELi8ELNS0_23SharedExpertScoringFuncE1EEEvPKT_PKbPfiPiS9_iiiiii
		.amdhsa_group_segment_fixed_size 0
		.amdhsa_private_segment_fixed_size 0
		.amdhsa_kernarg_size 72
		.amdhsa_user_sgpr_count 6
		.amdhsa_user_sgpr_private_segment_buffer 1
		.amdhsa_user_sgpr_dispatch_ptr 0
		.amdhsa_user_sgpr_queue_ptr 0
		.amdhsa_user_sgpr_kernarg_segment_ptr 1
		.amdhsa_user_sgpr_dispatch_id 0
		.amdhsa_user_sgpr_flat_scratch_init 0
		.amdhsa_user_sgpr_kernarg_preload_length 0
		.amdhsa_user_sgpr_kernarg_preload_offset 0
		.amdhsa_user_sgpr_private_segment_size 0
		.amdhsa_uses_dynamic_stack 0
		.amdhsa_system_sgpr_private_segment_wavefront_offset 0
		.amdhsa_system_sgpr_workgroup_id_x 1
		.amdhsa_system_sgpr_workgroup_id_y 0
		.amdhsa_system_sgpr_workgroup_id_z 0
		.amdhsa_system_sgpr_workgroup_info 0
		.amdhsa_system_vgpr_workitem_id 1
		.amdhsa_next_free_vgpr 49
		.amdhsa_next_free_sgpr 53
		.amdhsa_accum_offset 52
		.amdhsa_reserve_vcc 1
		.amdhsa_reserve_flat_scratch 0
		.amdhsa_float_round_mode_32 0
		.amdhsa_float_round_mode_16_64 0
		.amdhsa_float_denorm_mode_32 3
		.amdhsa_float_denorm_mode_16_64 3
		.amdhsa_dx10_clamp 1
		.amdhsa_ieee_mode 1
		.amdhsa_fp16_overflow 0
		.amdhsa_tg_split 0
		.amdhsa_exception_fp_ieee_invalid_op 0
		.amdhsa_exception_fp_denorm_src 0
		.amdhsa_exception_fp_ieee_div_zero 0
		.amdhsa_exception_fp_ieee_overflow 0
		.amdhsa_exception_fp_ieee_underflow 0
		.amdhsa_exception_fp_ieee_inexact 0
		.amdhsa_exception_int_div_zero 0
	.end_amdhsa_kernel
	.section	.text._ZN4vllm3moe17topkGatingSoftmaxIDF16_Li16ELi32ELi8ELi32ELb1ELi8ELNS0_23SharedExpertScoringFuncE1EEEvPKT_PKbPfiPiS9_iiiiii,"axG",@progbits,_ZN4vllm3moe17topkGatingSoftmaxIDF16_Li16ELi32ELi8ELi32ELb1ELi8ELNS0_23SharedExpertScoringFuncE1EEEvPKT_PKbPfiPiS9_iiiiii,comdat
.Lfunc_end164:
	.size	_ZN4vllm3moe17topkGatingSoftmaxIDF16_Li16ELi32ELi8ELi32ELb1ELi8ELNS0_23SharedExpertScoringFuncE1EEEvPKT_PKbPfiPiS9_iiiiii, .Lfunc_end164-_ZN4vllm3moe17topkGatingSoftmaxIDF16_Li16ELi32ELi8ELi32ELb1ELi8ELNS0_23SharedExpertScoringFuncE1EEEvPKT_PKbPfiPiS9_iiiiii
                                        ; -- End function
	.section	.AMDGPU.csdata,"",@progbits
; Kernel info:
; codeLenInByte = 2800
; NumSgprs: 57
; NumVgprs: 49
; NumAgprs: 0
; TotalNumVgprs: 49
; ScratchSize: 0
; MemoryBound: 0
; FloatMode: 240
; IeeeMode: 1
; LDSByteSize: 0 bytes/workgroup (compile time only)
; SGPRBlocks: 7
; VGPRBlocks: 6
; NumSGPRsForWavesPerEU: 57
; NumVGPRsForWavesPerEU: 49
; AccumOffset: 52
; Occupancy: 8
; WaveLimiterHint : 0
; COMPUTE_PGM_RSRC2:SCRATCH_EN: 0
; COMPUTE_PGM_RSRC2:USER_SGPR: 6
; COMPUTE_PGM_RSRC2:TRAP_HANDLER: 0
; COMPUTE_PGM_RSRC2:TGID_X_EN: 1
; COMPUTE_PGM_RSRC2:TGID_Y_EN: 0
; COMPUTE_PGM_RSRC2:TGID_Z_EN: 0
; COMPUTE_PGM_RSRC2:TIDIG_COMP_CNT: 1
; COMPUTE_PGM_RSRC3_GFX90A:ACCUM_OFFSET: 12
; COMPUTE_PGM_RSRC3_GFX90A:TG_SPLIT: 0
	.section	.text._ZN4vllm3moe17topkGatingSoftmaxIDF16_Li16ELi32ELi8ELi32ELb0ELi8ELNS0_23SharedExpertScoringFuncE1EEEvPKT_PKbPfiPiS9_iiiiii,"axG",@progbits,_ZN4vllm3moe17topkGatingSoftmaxIDF16_Li16ELi32ELi8ELi32ELb0ELi8ELNS0_23SharedExpertScoringFuncE1EEEvPKT_PKbPfiPiS9_iiiiii,comdat
	.protected	_ZN4vllm3moe17topkGatingSoftmaxIDF16_Li16ELi32ELi8ELi32ELb0ELi8ELNS0_23SharedExpertScoringFuncE1EEEvPKT_PKbPfiPiS9_iiiiii ; -- Begin function _ZN4vllm3moe17topkGatingSoftmaxIDF16_Li16ELi32ELi8ELi32ELb0ELi8ELNS0_23SharedExpertScoringFuncE1EEEvPKT_PKbPfiPiS9_iiiiii
	.globl	_ZN4vllm3moe17topkGatingSoftmaxIDF16_Li16ELi32ELi8ELi32ELb0ELi8ELNS0_23SharedExpertScoringFuncE1EEEvPKT_PKbPfiPiS9_iiiiii
	.p2align	8
	.type	_ZN4vllm3moe17topkGatingSoftmaxIDF16_Li16ELi32ELi8ELi32ELb0ELi8ELNS0_23SharedExpertScoringFuncE1EEEvPKT_PKbPfiPiS9_iiiiii,@function
_ZN4vllm3moe17topkGatingSoftmaxIDF16_Li16ELi32ELi8ELi32ELb0ELi8ELNS0_23SharedExpertScoringFuncE1EEEvPKT_PKbPfiPiS9_iiiiii: ; @_ZN4vllm3moe17topkGatingSoftmaxIDF16_Li16ELi32ELi8ELi32ELb0ELi8ELNS0_23SharedExpertScoringFuncE1EEEvPKT_PKbPfiPiS9_iiiiii
; %bb.0:
	s_load_dword s33, s[4:5], 0x18
	v_bfe_u32 v1, v0, 10, 10
	v_and_b32_e32 v0, 0x3ff, v0
	s_lshl_b32 s50, s6, 8
	v_lshlrev_b32_e32 v22, 5, v1
	v_lshrrev_b32_e32 v23, 1, v0
	v_add3_u32 v43, s50, v22, v23
	s_waitcnt lgkmcnt(0)
	v_cmp_gt_i32_e32 vcc, s33, v43
	s_and_saveexec_b64 s[0:1], vcc
	s_cbranch_execz .LBB165_32
; %bb.1:
	s_load_dwordx4 s[0:3], s[4:5], 0x0
	s_load_dwordx2 s[34:35], s[4:5], 0x10
	s_mov_b64 s[8:9], 0
	s_waitcnt lgkmcnt(0)
	s_cmp_eq_u64 s[2:3], 0
	s_cbranch_scc1 .LBB165_3
; %bb.2:
	v_ashrrev_i32_e32 v1, 31, v43
	v_mov_b32_e32 v3, s3
	v_add_co_u32_e32 v2, vcc, s2, v43
	v_addc_co_u32_e32 v3, vcc, v3, v1, vcc
	global_load_ubyte v1, v[2:3], off
	s_waitcnt vmcnt(0)
	v_and_b32_e32 v1, 1, v1
	v_cmp_eq_u32_e32 vcc, 1, v1
	s_xor_b64 s[2:3], vcc, -1
	s_orn2_b64 s[46:47], s[2:3], exec
	s_branch .LBB165_4
.LBB165_3:
	s_mov_b64 s[46:47], -1
.LBB165_4:
	s_load_dwordx2 s[6:7], s[4:5], 0x40
	s_load_dwordx4 s[36:39], s[4:5], 0x30
	v_mov_b32_e32 v1, s1
	v_and_b32_e32 v24, 1, v0
	v_lshlrev_b32_e32 v0, 5, v24
	s_waitcnt lgkmcnt(0)
	v_mul_lo_u32 v2, v43, s7
	v_ashrrev_i32_e32 v3, 31, v2
	v_lshlrev_b64 v[8:9], 1, v[2:3]
	v_add_co_u32_e32 v2, vcc, s0, v8
	v_addc_co_u32_e32 v1, vcc, v1, v9, vcc
	v_add_co_u32_e32 v0, vcc, v2, v0
	v_addc_co_u32_e32 v1, vcc, 0, v1, vcc
	global_load_dwordx4 v[12:15], v[0:1], off offset:16
	global_load_dwordx4 v[4:7], v[0:1], off
	v_lshlrev_b32_e32 v0, 1, v24
	v_add_co_u32_e32 v0, vcc, v8, v0
	v_addc_co_u32_e32 v1, vcc, 0, v9, vcc
	v_mov_b32_e32 v3, s1
	v_add_co_u32_e32 v0, vcc, s0, v0
	v_addc_co_u32_e32 v1, vcc, v1, v3, vcc
	v_mul_lo_u32 v16, v43, s39
	v_add_co_u32_e32 v0, vcc, 64, v0
	v_lshlrev_b32_e32 v27, 4, v24
	v_add_u32_e32 v2, s36, v16
	v_addc_co_u32_e32 v1, vcc, 0, v1, vcc
	s_mov_b32 s0, 0x3fb8aa3b
	s_mov_b32 s1, 0x32a5705f
	;; [unrolled: 1-line block ×4, first 2 shown]
	v_mov_b32_e32 v3, 0x7f800000
	v_mov_b32_e32 v8, s35
	;; [unrolled: 1-line block ×3, first 2 shown]
.LBB165_5:                              ; =>This Inner Loop Header: Depth=1
	global_load_ushort v17, v[0:1], off
	v_add_co_u32_e32 v0, vcc, 4, v0
	v_add_u32_e32 v18, 2, v9
	v_addc_co_u32_e32 v1, vcc, 0, v1, vcc
	v_add_u32_e32 v10, v2, v9
	v_cmp_lt_u32_e32 vcc, 5, v9
	v_mov_b32_e32 v9, v18
	v_ashrrev_i32_e32 v11, 31, v10
	v_lshlrev_b64 v[10:11], 2, v[10:11]
	s_or_b64 s[8:9], vcc, s[8:9]
	v_add_co_u32_e32 v10, vcc, s34, v10
	v_addc_co_u32_e32 v11, vcc, v8, v11, vcc
	s_waitcnt vmcnt(0)
	v_cvt_f32_f16_e64 v18, -v17
	v_mul_f32_e32 v19, 0x3fb8aa3b, v18
	v_rndne_f32_e32 v20, v19
	v_fma_mix_f32 v21, -v17, s0, -v19 op_sel_hi:[1,0,0]
	v_sub_f32_e32 v19, v19, v20
	v_fma_mix_f32 v17, -v17, s1, v21 op_sel_hi:[1,0,0]
	v_add_f32_e32 v17, v19, v17
	v_cvt_i32_f32_e32 v20, v20
	v_exp_f32_e32 v17, v17
	v_cmp_ngt_f32_e32 vcc, s2, v18
	v_ldexp_f32 v17, v17, v20
	v_cndmask_b32_e32 v17, 0, v17, vcc
	v_cmp_nlt_f32_e32 vcc, s3, v18
	v_cndmask_b32_e32 v17, v3, v17, vcc
	v_add_f32_e32 v17, 1.0, v17
	v_div_scale_f32 v18, s[10:11], v17, v17, 1.0
	v_rcp_f32_e32 v19, v18
	v_div_scale_f32 v20, vcc, 1.0, v17, 1.0
	v_fma_f32 v21, -v18, v19, 1.0
	v_fmac_f32_e32 v19, v21, v19
	v_mul_f32_e32 v21, v20, v19
	v_fma_f32 v25, -v18, v21, v20
	v_fmac_f32_e32 v21, v25, v19
	v_fma_f32 v18, -v18, v21, v20
	v_div_fmas_f32 v18, v18, v19, v21
	v_div_fixup_f32 v17, v18, v17, 1.0
	global_store_dword v[10:11], v17, off
	s_andn2_b64 exec, exec, s[8:9]
	s_cbranch_execnz .LBB165_5
; %bb.6:
	s_or_b64 exec, exec, s[8:9]
	v_cvt_f32_f16_e32 v0, v4
	v_cvt_f32_f16_sdwa v1, v4 dst_sel:DWORD dst_unused:UNUSED_PAD src0_sel:WORD_1
	v_cvt_f32_f16_e32 v2, v5
	v_cmp_lt_f16_sdwa vcc, v4, v4 src0_sel:DWORD src1_sel:WORD_1
	v_or_b32_e32 v28, 1, v27
	v_cndmask_b32_e32 v4, v0, v1, vcc
	v_cndmask_b32_e32 v3, v27, v28, vcc
	v_or_b32_e32 v29, 2, v27
	v_cmp_lt_f32_e32 vcc, v4, v2
	v_cndmask_b32_e32 v8, v3, v29, vcc
	v_cvt_f32_f16_sdwa v3, v5 dst_sel:DWORD dst_unused:UNUSED_PAD src0_sel:WORD_1
	v_cndmask_b32_e32 v4, v4, v2, vcc
	v_or_b32_e32 v30, 3, v27
	v_or_b32_e32 v31, 4, v27
	v_cmp_lt_f32_e32 vcc, v4, v3
	v_cndmask_b32_e32 v5, v8, v30, vcc
	v_cndmask_b32_e32 v8, v4, v3, vcc
	v_cvt_f32_f16_e32 v4, v6
	v_or_b32_e32 v32, 5, v27
	v_or_b32_e32 v33, 6, v27
	;; [unrolled: 1-line block ×3, first 2 shown]
	v_cmp_lt_f32_e32 vcc, v8, v4
	v_cndmask_b32_e32 v9, v5, v31, vcc
	v_cvt_f32_f16_sdwa v5, v6 dst_sel:DWORD dst_unused:UNUSED_PAD src0_sel:WORD_1
	v_cvt_f32_f16_e32 v6, v7
	v_cndmask_b32_e32 v8, v8, v4, vcc
	v_cvt_f32_f16_sdwa v7, v7 dst_sel:DWORD dst_unused:UNUSED_PAD src0_sel:WORD_1
	v_cmp_lt_f32_e32 vcc, v8, v5
	v_cndmask_b32_e32 v8, v8, v5, vcc
	v_cndmask_b32_e32 v9, v9, v32, vcc
	v_cmp_lt_f32_e32 vcc, v8, v6
	v_cndmask_b32_e32 v8, v8, v6, vcc
	v_cndmask_b32_e32 v9, v9, v33, vcc
	v_cmp_lt_f32_e32 vcc, v8, v7
	v_cndmask_b32_e32 v10, v8, v7, vcc
	v_cvt_f32_f16_e32 v8, v12
	v_cndmask_b32_e32 v9, v9, v34, vcc
	v_or_b32_e32 v35, 8, v27
	v_or_b32_e32 v36, 9, v27
	v_cmp_lt_f32_e32 vcc, v10, v8
	v_cndmask_b32_e32 v11, v9, v35, vcc
	v_cvt_f32_f16_sdwa v9, v12 dst_sel:DWORD dst_unused:UNUSED_PAD src0_sel:WORD_1
	v_cndmask_b32_e32 v10, v10, v8, vcc
	v_or_b32_e32 v37, 10, v27
	v_or_b32_e32 v38, 11, v27
	v_cmp_lt_f32_e32 vcc, v10, v9
	v_cndmask_b32_e32 v12, v10, v9, vcc
	v_cvt_f32_f16_e32 v10, v13
	v_cndmask_b32_e32 v11, v11, v36, vcc
	v_or_b32_e32 v39, 12, v27
	v_or_b32_e32 v40, 13, v27
	v_cmp_lt_f32_e32 vcc, v12, v10
	v_cndmask_b32_e32 v17, v11, v37, vcc
	v_cvt_f32_f16_sdwa v11, v13 dst_sel:DWORD dst_unused:UNUSED_PAD src0_sel:WORD_1
	v_cndmask_b32_e32 v12, v12, v10, vcc
	v_or_b32_e32 v41, 14, v27
	v_or_b32_e32 v42, 15, v27
	v_cmp_lt_f32_e32 vcc, v12, v11
	v_cndmask_b32_e32 v13, v17, v38, vcc
	v_cndmask_b32_e32 v17, v12, v11, vcc
	v_cvt_f32_f16_e32 v12, v14
	v_cmp_lt_f32_e32 vcc, v17, v12
	v_cndmask_b32_e32 v18, v13, v39, vcc
	v_cvt_f32_f16_sdwa v13, v14 dst_sel:DWORD dst_unused:UNUSED_PAD src0_sel:WORD_1
	v_cvt_f32_f16_e32 v14, v15
	v_cndmask_b32_e32 v17, v17, v12, vcc
	v_cvt_f32_f16_sdwa v15, v15 dst_sel:DWORD dst_unused:UNUSED_PAD src0_sel:WORD_1
	v_cmp_lt_f32_e32 vcc, v17, v13
	v_cndmask_b32_e32 v17, v17, v13, vcc
	v_cndmask_b32_e32 v18, v18, v40, vcc
	v_cmp_lt_f32_e32 vcc, v17, v14
	v_cndmask_b32_e32 v19, v17, v14, vcc
	v_cndmask_b32_e32 v18, v18, v41, vcc
	;; [unrolled: 3-line block ×3, first 2 shown]
	s_nop 0
	v_mov_b32_dpp v18, v17 quad_perm:[1,0,3,2] row_mask:0xf bank_mask:0xf
	v_mov_b32_dpp v20, v19 quad_perm:[1,0,3,2] row_mask:0xf bank_mask:0xf
	v_cmp_eq_f32_e64 s[0:1], v19, v20
	v_cmp_lt_i32_e64 s[2:3], v18, v17
	v_cmp_lt_f32_e32 vcc, v19, v20
	s_and_b64 s[0:1], s[0:1], s[2:3]
	s_or_b64 s[2:3], vcc, s[0:1]
	s_cmp_gt_i32 s36, 0
	s_cselect_b64 s[44:45], -1, 0
	v_cndmask_b32_e64 v25, v19, v20, s[2:3]
	s_and_b64 vcc, exec, s[44:45]
	v_cmp_eq_u32_e64 s[0:1], 0, v24
	s_cbranch_vccz .LBB165_18
; %bb.7:
	s_load_dwordx4 s[40:43], s[4:5], 0x20
	v_cndmask_b32_e64 v44, v17, v18, s[2:3]
	v_mul_lo_u32 v20, v43, s6
	v_mul_lo_u32 v18, v43, s36
	v_mov_b32_e32 v26, 0
	s_and_saveexec_b64 s[4:5], s[0:1]
	s_cbranch_execz .LBB165_9
; %bb.8:
	v_sub_f32_e32 v17, v25, v25
	v_mul_f32_e32 v19, 0x3fb8aa3b, v17
	s_mov_b32 s2, 0x3fb8aa3b
	v_rndne_f32_e32 v21, v19
	v_sub_f32_e32 v26, v19, v21
	v_fma_f32 v19, v17, s2, -v19
	v_fmac_f32_e32 v19, 0x32a5705f, v17
	v_add_f32_e32 v19, v26, v19
	v_exp_f32_e32 v19, v19
	v_cvt_i32_f32_e32 v21, v21
	v_cmp_le_i32_e32 vcc, s37, v44
	v_cmp_gt_i32_e64 s[2:3], s38, v44
	s_mov_b32 s6, 0xc2ce8ed0
	s_and_b64 s[2:3], vcc, s[2:3]
	v_ldexp_f32 v19, v19, v21
	v_cmp_ngt_f32_e32 vcc, s6, v17
	s_mov_b32 s6, 0x42b17218
	v_cndmask_b32_e32 v19, 0, v19, vcc
	v_cmp_nlt_f32_e32 vcc, s6, v17
	v_ashrrev_i32_e32 v17, 31, v16
	v_mov_b32_e32 v21, 0x7f800000
	v_lshlrev_b64 v[46:47], 2, v[16:17]
	v_cndmask_b32_e32 v26, v21, v19, vcc
	v_mov_b32_e32 v17, s35
	v_add_co_u32_e32 v46, vcc, s34, v46
	v_addc_co_u32_e32 v47, vcc, v17, v47, vcc
	v_ashrrev_i32_e32 v21, 31, v20
	global_store_dword v[46:47], v26, off
	v_subrev_u32_e32 v17, s37, v44
	s_and_b64 vcc, s[46:47], s[2:3]
	v_lshlrev_b64 v[46:47], 2, v[20:21]
	v_cndmask_b32_e32 v17, 32, v17, vcc
	s_waitcnt lgkmcnt(0)
	v_mov_b32_e32 v19, s41
	v_add_co_u32_e32 v46, vcc, s40, v46
	v_addc_co_u32_e32 v47, vcc, v19, v47, vcc
	v_ashrrev_i32_e32 v19, 31, v18
	global_store_dword v[46:47], v17, off
	v_lshlrev_b64 v[46:47], 2, v[18:19]
	v_mov_b32_e32 v17, s43
	v_add_co_u32_e32 v46, vcc, s42, v46
	v_addc_co_u32_e32 v47, vcc, v17, v47, vcc
	global_store_dword v[46:47], v43, off
.LBB165_9:
	s_or_b64 exec, exec, s[4:5]
	v_ashrrev_i32_e32 v19, 31, v44
	v_lshrrev_b32_e32 v17, 28, v19
	v_add_u32_e32 v21, v44, v17
	v_ashrrev_i32_e32 v17, 4, v21
	v_lshrrev_b32_e32 v21, 31, v21
	v_add_u32_e32 v21, v17, v21
	v_and_b32_e32 v21, -2, v21
	v_sub_u32_e32 v21, v17, v21
	v_cmp_eq_u32_e32 vcc, v24, v21
	s_and_saveexec_b64 s[48:49], vcc
	s_cbranch_execz .LBB165_11
; %bb.10:
	v_lshrrev_b32_e32 v19, 27, v19
	v_add_u32_e32 v19, v44, v19
	v_lshlrev_b32_e32 v17, 4, v17
	v_sub_u32_e32 v17, v44, v17
	v_ashrrev_i32_e32 v19, 5, v19
	v_lshl_add_u32 v17, v19, 4, v17
	v_mov_b32_e32 v19, 0xff800000
	v_cmp_ne_u32_e32 vcc, 14, v17
	v_cmp_ne_u32_e64 s[2:3], 13, v17
	v_cmp_ne_u32_e64 s[4:5], 12, v17
	;; [unrolled: 1-line block ×15, first 2 shown]
	v_cndmask_b32_e64 v15, v19, v15, s[30:31]
	v_cndmask_b32_e32 v14, v19, v14, vcc
	v_cndmask_b32_e64 v13, v19, v13, s[2:3]
	v_cndmask_b32_e64 v12, v19, v12, s[4:5]
	;; [unrolled: 1-line block ×14, first 2 shown]
.LBB165_11:
	s_or_b64 exec, exec, s[48:49]
	s_cmp_eq_u32 s36, 1
	s_cbranch_scc1 .LBB165_19
; %bb.12:
	s_add_i32 s50, s50, s33
	s_add_i32 s39, s36, -1
	v_add3_u32 v17, s50, v23, v22
	v_add_u32_e32 v18, 1, v18
	v_add_u32_e32 v20, 1, v20
	;; [unrolled: 1-line block ×3, first 2 shown]
	s_mov_b32 s50, 0x3fb8aa3b
	s_mov_b32 s51, 0xc2ce8ed0
	;; [unrolled: 1-line block ×3, first 2 shown]
	v_mov_b32_e32 v43, 0x7f800000
	v_mov_b32_e32 v44, 0xff800000
	s_branch .LBB165_14
.LBB165_13:                             ;   in Loop: Header=BB165_14 Depth=1
	s_or_b64 exec, exec, s[48:49]
	s_add_i32 s39, s39, -1
	v_add_u32_e32 v17, s33, v17
	v_add_u32_e32 v18, 1, v18
	;; [unrolled: 1-line block ×3, first 2 shown]
	s_cmp_eq_u32 s39, 0
	v_add_u32_e32 v22, 1, v22
	s_cbranch_scc1 .LBB165_19
.LBB165_14:                             ; =>This Inner Loop Header: Depth=1
	v_cmp_gt_f32_e32 vcc, v1, v0
	v_cndmask_b32_e32 v21, v0, v1, vcc
	v_cndmask_b32_e32 v19, v27, v28, vcc
	v_cmp_gt_f32_e32 vcc, v2, v21
	v_cndmask_b32_e32 v21, v21, v2, vcc
	v_cndmask_b32_e32 v19, v19, v29, vcc
	;; [unrolled: 3-line block ×15, first 2 shown]
	s_nop 0
	v_mov_b32_dpp v45, v23 quad_perm:[1,0,3,2] row_mask:0xf bank_mask:0xf
	v_mov_b32_dpp v21, v19 quad_perm:[1,0,3,2] row_mask:0xf bank_mask:0xf
	v_cmp_eq_f32_e64 s[2:3], v19, v21
	v_cmp_lt_i32_e64 s[4:5], v45, v23
	v_cmp_lt_f32_e32 vcc, v19, v21
	s_and_b64 s[2:3], s[2:3], s[4:5]
	s_or_b64 vcc, vcc, s[2:3]
	v_cndmask_b32_e32 v45, v23, v45, vcc
	s_and_saveexec_b64 s[4:5], s[0:1]
	s_cbranch_execz .LBB165_16
; %bb.15:                               ;   in Loop: Header=BB165_14 Depth=1
	v_cndmask_b32_e32 v19, v19, v21, vcc
	v_sub_f32_e32 v19, v19, v25
	v_mul_f32_e32 v21, 0x3fb8aa3b, v19
	v_fma_f32 v23, v19, s50, -v21
	v_rndne_f32_e32 v46, v21
	v_fmac_f32_e32 v23, 0x32a5705f, v19
	v_sub_f32_e32 v21, v21, v46
	v_add_f32_e32 v21, v21, v23
	v_exp_f32_e32 v21, v21
	v_cvt_i32_f32_e32 v23, v46
	v_cmp_le_i32_e32 vcc, s37, v45
	v_cmp_gt_i32_e64 s[2:3], s38, v45
	s_and_b64 s[2:3], vcc, s[2:3]
	v_ldexp_f32 v21, v21, v23
	v_cmp_ngt_f32_e32 vcc, s51, v19
	v_ashrrev_i32_e32 v23, 31, v22
	v_cndmask_b32_e32 v21, 0, v21, vcc
	v_cmp_nlt_f32_e32 vcc, s52, v19
	v_lshlrev_b64 v[46:47], 2, v[22:23]
	v_cndmask_b32_e32 v48, v43, v21, vcc
	v_mov_b32_e32 v19, s35
	v_add_co_u32_e32 v46, vcc, s34, v46
	v_addc_co_u32_e32 v47, vcc, v19, v47, vcc
	v_ashrrev_i32_e32 v21, 31, v20
	global_store_dword v[46:47], v48, off
	v_subrev_u32_e32 v19, s37, v45
	s_and_b64 vcc, s[46:47], s[2:3]
	v_lshlrev_b64 v[46:47], 2, v[20:21]
	v_cndmask_b32_e32 v19, 32, v19, vcc
	s_waitcnt lgkmcnt(0)
	v_mov_b32_e32 v21, s41
	v_add_co_u32_e32 v46, vcc, s40, v46
	v_addc_co_u32_e32 v47, vcc, v21, v47, vcc
	global_store_dword v[46:47], v19, off
	v_ashrrev_i32_e32 v19, 31, v18
	v_lshlrev_b64 v[46:47], 2, v[18:19]
	v_mov_b32_e32 v19, s43
	v_add_co_u32_e32 v46, vcc, s42, v46
	v_addc_co_u32_e32 v47, vcc, v19, v47, vcc
	v_add_f32_e32 v26, v26, v48
	global_store_dword v[46:47], v17, off
.LBB165_16:                             ;   in Loop: Header=BB165_14 Depth=1
	s_or_b64 exec, exec, s[4:5]
	v_ashrrev_i32_e32 v21, 31, v45
	v_lshrrev_b32_e32 v19, 28, v21
	v_add_u32_e32 v23, v45, v19
	v_ashrrev_i32_e32 v19, 4, v23
	v_lshrrev_b32_e32 v23, 31, v23
	v_add_u32_e32 v23, v19, v23
	v_and_b32_e32 v23, -2, v23
	v_sub_u32_e32 v23, v19, v23
	v_cmp_eq_u32_e32 vcc, v24, v23
	s_and_saveexec_b64 s[48:49], vcc
	s_cbranch_execz .LBB165_13
; %bb.17:                               ;   in Loop: Header=BB165_14 Depth=1
	v_lshrrev_b32_e32 v21, 27, v21
	v_add_u32_e32 v21, v45, v21
	v_lshlrev_b32_e32 v19, 4, v19
	v_sub_u32_e32 v19, v45, v19
	v_ashrrev_i32_e32 v21, 5, v21
	v_lshl_add_u32 v19, v21, 4, v19
	v_cmp_ne_u32_e32 vcc, 14, v19
	v_cmp_ne_u32_e64 s[2:3], 13, v19
	v_cmp_ne_u32_e64 s[4:5], 12, v19
	;; [unrolled: 1-line block ×15, first 2 shown]
	v_cndmask_b32_e64 v15, v44, v15, s[30:31]
	v_cndmask_b32_e32 v14, v44, v14, vcc
	v_cndmask_b32_e64 v13, v44, v13, s[2:3]
	v_cndmask_b32_e64 v12, v44, v12, s[4:5]
	;; [unrolled: 1-line block ×14, first 2 shown]
	s_branch .LBB165_13
.LBB165_18:
	v_mov_b32_e32 v26, 0
.LBB165_19:
	v_sub_f32_e32 v0, v0, v25
	s_mov_b32 s2, 0x3fb8aa3b
	v_mul_f32_e32 v17, 0x3fb8aa3b, v0
	v_fma_f32 v18, v0, s2, -v17
	v_rndne_f32_e32 v19, v17
	v_fmac_f32_e32 v18, 0x32a5705f, v0
	v_sub_f32_e32 v17, v17, v19
	v_add_f32_e32 v17, v17, v18
	v_exp_f32_e32 v17, v17
	v_cvt_i32_f32_e32 v18, v19
	v_sub_f32_e32 v1, v1, v25
	s_mov_b32 s4, 0xc2ce8ed0
	s_mov_b32 s3, 0x42b17218
	v_ldexp_f32 v17, v17, v18
	v_mul_f32_e32 v18, 0x3fb8aa3b, v1
	v_fma_f32 v19, v1, s2, -v18
	v_rndne_f32_e32 v20, v18
	v_fmac_f32_e32 v19, 0x32a5705f, v1
	v_sub_f32_e32 v18, v18, v20
	v_add_f32_e32 v18, v18, v19
	v_exp_f32_e32 v18, v18
	v_cvt_i32_f32_e32 v19, v20
	v_cmp_ngt_f32_e32 vcc, s4, v1
	v_cmp_ngt_f32_e64 s[0:1], s4, v0
	v_sub_f32_e32 v2, v2, v25
	v_ldexp_f32 v18, v18, v19
	v_cndmask_b32_e32 v18, 0, v18, vcc
	v_mov_b32_e32 v19, 0x7f800000
	v_cmp_nlt_f32_e32 vcc, s3, v1
	v_cndmask_b32_e64 v1, 0, v17, s[0:1]
	v_cmp_nlt_f32_e64 s[0:1], s3, v0
	v_cndmask_b32_e64 v0, v19, v1, s[0:1]
	v_cndmask_b32_e32 v1, v19, v18, vcc
	v_add_f32_e32 v0, v0, v1
	v_mul_f32_e32 v1, 0x3fb8aa3b, v2
	v_fma_f32 v17, v2, s2, -v1
	v_rndne_f32_e32 v18, v1
	v_fmac_f32_e32 v17, 0x32a5705f, v2
	v_sub_f32_e32 v1, v1, v18
	v_add_f32_e32 v1, v1, v17
	v_exp_f32_e32 v1, v1
	v_cvt_i32_f32_e32 v17, v18
	v_cmp_ngt_f32_e32 vcc, s4, v2
	v_sub_f32_e32 v3, v3, v25
	v_sub_f32_e32 v4, v4, v25
	v_ldexp_f32 v1, v1, v17
	v_cndmask_b32_e32 v1, 0, v1, vcc
	v_cmp_nlt_f32_e32 vcc, s3, v2
	v_cndmask_b32_e32 v1, v19, v1, vcc
	v_add_f32_e32 v0, v0, v1
	v_mul_f32_e32 v1, 0x3fb8aa3b, v3
	v_fma_f32 v2, v3, s2, -v1
	v_rndne_f32_e32 v17, v1
	v_fmac_f32_e32 v2, 0x32a5705f, v3
	v_sub_f32_e32 v1, v1, v17
	v_add_f32_e32 v1, v1, v2
	v_exp_f32_e32 v1, v1
	v_cvt_i32_f32_e32 v2, v17
	v_cmp_ngt_f32_e32 vcc, s4, v3
	v_sub_f32_e32 v5, v5, v25
	v_sub_f32_e32 v6, v6, v25
	v_ldexp_f32 v1, v1, v2
	v_cndmask_b32_e32 v1, 0, v1, vcc
	v_cmp_nlt_f32_e32 vcc, s3, v3
	;; [unrolled: 16-line block ×5, first 2 shown]
	v_cndmask_b32_e32 v1, v19, v1, vcc
	v_add_f32_e32 v0, v0, v1
	v_mul_f32_e32 v1, 0x3fb8aa3b, v7
	v_fma_f32 v2, v7, s2, -v1
	v_rndne_f32_e32 v3, v1
	v_fmac_f32_e32 v2, 0x32a5705f, v7
	v_sub_f32_e32 v1, v1, v3
	v_add_f32_e32 v1, v1, v2
	v_exp_f32_e32 v1, v1
	v_cvt_i32_f32_e32 v2, v3
	v_cmp_ngt_f32_e32 vcc, s4, v7
	v_ldexp_f32 v1, v1, v2
	v_mul_f32_e32 v2, 0x3fb8aa3b, v8
	v_fma_f32 v3, v8, s2, -v2
	v_rndne_f32_e32 v4, v2
	v_fmac_f32_e32 v3, 0x32a5705f, v8
	v_sub_f32_e32 v2, v2, v4
	v_add_f32_e32 v2, v2, v3
	v_exp_f32_e32 v2, v2
	v_cvt_i32_f32_e32 v3, v4
	v_cndmask_b32_e32 v1, 0, v1, vcc
	v_cmp_nlt_f32_e32 vcc, s3, v7
	v_cndmask_b32_e32 v1, v19, v1, vcc
	v_add_f32_e32 v0, v0, v1
	v_ldexp_f32 v1, v2, v3
	v_mul_f32_e32 v2, 0x3fb8aa3b, v9
	v_fma_f32 v3, v9, s2, -v2
	v_rndne_f32_e32 v4, v2
	v_fmac_f32_e32 v3, 0x32a5705f, v9
	v_sub_f32_e32 v2, v2, v4
	v_add_f32_e32 v2, v2, v3
	v_exp_f32_e32 v2, v2
	v_cvt_i32_f32_e32 v3, v4
	v_cmp_ngt_f32_e32 vcc, s4, v8
	v_cndmask_b32_e32 v1, 0, v1, vcc
	v_cmp_nlt_f32_e32 vcc, s3, v8
	v_cndmask_b32_e32 v1, v19, v1, vcc
	v_add_f32_e32 v0, v0, v1
	v_ldexp_f32 v1, v2, v3
	v_mul_f32_e32 v2, 0x3fb8aa3b, v10
	v_fma_f32 v3, v10, s2, -v2
	v_rndne_f32_e32 v4, v2
	v_fmac_f32_e32 v3, 0x32a5705f, v10
	v_sub_f32_e32 v2, v2, v4
	v_add_f32_e32 v2, v2, v3
	v_exp_f32_e32 v2, v2
	v_cvt_i32_f32_e32 v3, v4
	v_cmp_ngt_f32_e32 vcc, s4, v9
	;; [unrolled: 14-line block ×4, first 2 shown]
	v_cndmask_b32_e32 v1, 0, v1, vcc
	v_cmp_nlt_f32_e32 vcc, s3, v11
	v_cndmask_b32_e32 v1, v19, v1, vcc
	v_add_f32_e32 v0, v0, v1
	v_ldexp_f32 v1, v2, v3
	v_sub_f32_e32 v2, v13, v25
	v_mul_f32_e32 v3, 0x3fb8aa3b, v2
	v_fma_f32 v4, v2, s2, -v3
	v_rndne_f32_e32 v5, v3
	v_fmac_f32_e32 v4, 0x32a5705f, v2
	v_sub_f32_e32 v3, v3, v5
	v_add_f32_e32 v3, v3, v4
	v_exp_f32_e32 v3, v3
	v_cvt_i32_f32_e32 v4, v5
	v_cmp_ngt_f32_e32 vcc, s4, v12
	v_cndmask_b32_e32 v1, 0, v1, vcc
	v_cmp_nlt_f32_e32 vcc, s3, v12
	v_cndmask_b32_e32 v1, v19, v1, vcc
	v_add_f32_e32 v0, v0, v1
	v_ldexp_f32 v1, v3, v4
	v_sub_f32_e32 v3, v14, v25
	v_mul_f32_e32 v4, 0x3fb8aa3b, v3
	v_fma_f32 v5, v3, s2, -v4
	v_rndne_f32_e32 v6, v4
	v_fmac_f32_e32 v5, 0x32a5705f, v3
	v_sub_f32_e32 v4, v4, v6
	v_add_f32_e32 v4, v4, v5
	v_exp_f32_e32 v4, v4
	v_cvt_i32_f32_e32 v5, v6
	v_cmp_ngt_f32_e32 vcc, s4, v2
	v_cndmask_b32_e32 v1, 0, v1, vcc
	v_cmp_nlt_f32_e32 vcc, s3, v2
	v_cndmask_b32_e32 v1, v19, v1, vcc
	v_sub_f32_e32 v2, v15, v25
	v_add_f32_e32 v0, v0, v1
	v_ldexp_f32 v1, v4, v5
	v_mul_f32_e32 v4, 0x3fb8aa3b, v2
	v_fma_f32 v5, v2, s2, -v4
	v_rndne_f32_e32 v6, v4
	v_fmac_f32_e32 v5, 0x32a5705f, v2
	v_sub_f32_e32 v4, v4, v6
	v_add_f32_e32 v4, v4, v5
	v_exp_f32_e32 v4, v4
	v_cvt_i32_f32_e32 v5, v6
	v_cmp_ngt_f32_e32 vcc, s4, v3
	v_cndmask_b32_e32 v1, 0, v1, vcc
	v_cmp_nlt_f32_e32 vcc, s3, v3
	v_cndmask_b32_e32 v1, v19, v1, vcc
	v_add_f32_e32 v0, v0, v1
	v_ldexp_f32 v1, v4, v5
	v_cmp_ngt_f32_e32 vcc, s4, v2
	v_cndmask_b32_e32 v1, 0, v1, vcc
	v_cmp_nlt_f32_e32 vcc, s3, v2
	v_cndmask_b32_e32 v1, v19, v1, vcc
	v_add_f32_e32 v0, v0, v1
	v_cmp_eq_u32_e32 vcc, 0, v24
	s_nop 0
	v_mov_b32_dpp v1, v0 quad_perm:[1,0,3,2] row_mask:0xf bank_mask:0xf
	s_and_b64 exec, exec, vcc
	s_cbranch_execz .LBB165_32
; %bb.20:
	v_add_f32_e32 v0, v0, v1
	v_add_f32_e32 v0, v26, v0
	v_cmp_neq_f32_e32 vcc, 0, v0
	s_and_b64 exec, exec, vcc
	s_cbranch_execz .LBB165_32
; %bb.21:
	s_andn2_b64 vcc, exec, s[44:45]
	s_cbranch_vccnz .LBB165_32
; %bb.22:
	v_div_scale_f32 v1, s[0:1], v0, v0, 1.0
	v_rcp_f32_e32 v2, v1
	v_div_scale_f32 v3, vcc, 1.0, v0, 1.0
	s_cmp_gt_u32 s36, 3
	v_fma_f32 v4, -v1, v2, 1.0
	v_fmac_f32_e32 v2, v4, v2
	v_mul_f32_e32 v4, v3, v2
	v_fma_f32 v5, -v1, v4, v3
	v_fmac_f32_e32 v4, v5, v2
	v_fma_f32 v1, -v1, v4, v3
	v_div_fmas_f32 v1, v1, v2, v4
	v_div_fixup_f32 v0, v1, v0, 1.0
	v_ashrrev_i32_e32 v17, 31, v16
	s_cbranch_scc0 .LBB165_26
; %bb.23:
	v_lshlrev_b64 v[2:3], 2, v[16:17]
	v_mov_b32_e32 v4, s35
	v_add_co_u32_e32 v2, vcc, s34, v2
	v_addc_co_u32_e32 v3, vcc, v3, v4, vcc
	s_and_b32 s4, s36, 0x7ffffffc
	v_add_co_u32_e32 v2, vcc, 8, v2
	v_mov_b32_e32 v1, v0
	v_addc_co_u32_e32 v3, vcc, 0, v3, vcc
	s_mov_b32 s0, s4
.LBB165_24:                             ; =>This Inner Loop Header: Depth=1
	global_load_dwordx4 v[4:7], v[2:3], off offset:-8
	s_add_i32 s0, s0, -4
	s_cmp_lg_u32 s0, 0
	s_waitcnt vmcnt(0)
	v_pk_mul_f32 v[4:5], v[0:1], v[4:5]
	v_pk_mul_f32 v[6:7], v[0:1], v[6:7]
	global_store_dwordx4 v[2:3], v[4:7], off offset:-8
	v_add_co_u32_e32 v2, vcc, 16, v2
	v_addc_co_u32_e32 v3, vcc, 0, v3, vcc
	s_cbranch_scc1 .LBB165_24
; %bb.25:
	s_cmp_lg_u32 s4, s36
	s_mov_b64 s[2:3], 0
	s_cselect_b64 s[0:1], -1, 0
	s_branch .LBB165_27
.LBB165_26:
	s_mov_b64 s[2:3], -1
	s_mov_b64 s[0:1], 0
                                        ; implicit-def: $sgpr4
.LBB165_27:
	s_and_b64 vcc, exec, s[2:3]
	s_cbranch_vccz .LBB165_29
; %bb.28:
	s_mov_b64 s[0:1], -1
	s_mov_b32 s4, 0
.LBB165_29:
	s_andn2_b64 vcc, exec, s[0:1]
	s_cbranch_vccnz .LBB165_32
; %bb.30:
	v_add_co_u32_e32 v2, vcc, s4, v16
	v_addc_co_u32_e32 v3, vcc, 0, v17, vcc
	v_lshlrev_b64 v[2:3], 2, v[2:3]
	v_mov_b32_e32 v1, s35
	v_add_co_u32_e32 v2, vcc, s34, v2
	s_sub_i32 s0, s36, s4
	v_addc_co_u32_e32 v3, vcc, v1, v3, vcc
.LBB165_31:                             ; =>This Inner Loop Header: Depth=1
	global_load_dword v1, v[2:3], off
	s_add_i32 s0, s0, -1
	s_cmp_lg_u32 s0, 0
	s_waitcnt vmcnt(0)
	v_mul_f32_e32 v1, v0, v1
	global_store_dword v[2:3], v1, off
	v_add_co_u32_e32 v2, vcc, 4, v2
	v_addc_co_u32_e32 v3, vcc, 0, v3, vcc
	s_cbranch_scc1 .LBB165_31
.LBB165_32:
	s_endpgm
	.section	.rodata,"a",@progbits
	.p2align	6, 0x0
	.amdhsa_kernel _ZN4vllm3moe17topkGatingSoftmaxIDF16_Li16ELi32ELi8ELi32ELb0ELi8ELNS0_23SharedExpertScoringFuncE1EEEvPKT_PKbPfiPiS9_iiiiii
		.amdhsa_group_segment_fixed_size 0
		.amdhsa_private_segment_fixed_size 0
		.amdhsa_kernarg_size 72
		.amdhsa_user_sgpr_count 6
		.amdhsa_user_sgpr_private_segment_buffer 1
		.amdhsa_user_sgpr_dispatch_ptr 0
		.amdhsa_user_sgpr_queue_ptr 0
		.amdhsa_user_sgpr_kernarg_segment_ptr 1
		.amdhsa_user_sgpr_dispatch_id 0
		.amdhsa_user_sgpr_flat_scratch_init 0
		.amdhsa_user_sgpr_kernarg_preload_length 0
		.amdhsa_user_sgpr_kernarg_preload_offset 0
		.amdhsa_user_sgpr_private_segment_size 0
		.amdhsa_uses_dynamic_stack 0
		.amdhsa_system_sgpr_private_segment_wavefront_offset 0
		.amdhsa_system_sgpr_workgroup_id_x 1
		.amdhsa_system_sgpr_workgroup_id_y 0
		.amdhsa_system_sgpr_workgroup_id_z 0
		.amdhsa_system_sgpr_workgroup_info 0
		.amdhsa_system_vgpr_workitem_id 1
		.amdhsa_next_free_vgpr 49
		.amdhsa_next_free_sgpr 53
		.amdhsa_accum_offset 52
		.amdhsa_reserve_vcc 1
		.amdhsa_reserve_flat_scratch 0
		.amdhsa_float_round_mode_32 0
		.amdhsa_float_round_mode_16_64 0
		.amdhsa_float_denorm_mode_32 3
		.amdhsa_float_denorm_mode_16_64 3
		.amdhsa_dx10_clamp 1
		.amdhsa_ieee_mode 1
		.amdhsa_fp16_overflow 0
		.amdhsa_tg_split 0
		.amdhsa_exception_fp_ieee_invalid_op 0
		.amdhsa_exception_fp_denorm_src 0
		.amdhsa_exception_fp_ieee_div_zero 0
		.amdhsa_exception_fp_ieee_overflow 0
		.amdhsa_exception_fp_ieee_underflow 0
		.amdhsa_exception_fp_ieee_inexact 0
		.amdhsa_exception_int_div_zero 0
	.end_amdhsa_kernel
	.section	.text._ZN4vllm3moe17topkGatingSoftmaxIDF16_Li16ELi32ELi8ELi32ELb0ELi8ELNS0_23SharedExpertScoringFuncE1EEEvPKT_PKbPfiPiS9_iiiiii,"axG",@progbits,_ZN4vllm3moe17topkGatingSoftmaxIDF16_Li16ELi32ELi8ELi32ELb0ELi8ELNS0_23SharedExpertScoringFuncE1EEEvPKT_PKbPfiPiS9_iiiiii,comdat
.Lfunc_end165:
	.size	_ZN4vllm3moe17topkGatingSoftmaxIDF16_Li16ELi32ELi8ELi32ELb0ELi8ELNS0_23SharedExpertScoringFuncE1EEEvPKT_PKbPfiPiS9_iiiiii, .Lfunc_end165-_ZN4vllm3moe17topkGatingSoftmaxIDF16_Li16ELi32ELi8ELi32ELb0ELi8ELNS0_23SharedExpertScoringFuncE1EEEvPKT_PKbPfiPiS9_iiiiii
                                        ; -- End function
	.section	.AMDGPU.csdata,"",@progbits
; Kernel info:
; codeLenInByte = 4104
; NumSgprs: 57
; NumVgprs: 49
; NumAgprs: 0
; TotalNumVgprs: 49
; ScratchSize: 0
; MemoryBound: 0
; FloatMode: 240
; IeeeMode: 1
; LDSByteSize: 0 bytes/workgroup (compile time only)
; SGPRBlocks: 7
; VGPRBlocks: 6
; NumSGPRsForWavesPerEU: 57
; NumVGPRsForWavesPerEU: 49
; AccumOffset: 52
; Occupancy: 8
; WaveLimiterHint : 0
; COMPUTE_PGM_RSRC2:SCRATCH_EN: 0
; COMPUTE_PGM_RSRC2:USER_SGPR: 6
; COMPUTE_PGM_RSRC2:TRAP_HANDLER: 0
; COMPUTE_PGM_RSRC2:TGID_X_EN: 1
; COMPUTE_PGM_RSRC2:TGID_Y_EN: 0
; COMPUTE_PGM_RSRC2:TGID_Z_EN: 0
; COMPUTE_PGM_RSRC2:TIDIG_COMP_CNT: 1
; COMPUTE_PGM_RSRC3_GFX90A:ACCUM_OFFSET: 12
; COMPUTE_PGM_RSRC3_GFX90A:TG_SPLIT: 0
	.section	.text._ZN4vllm3moe17topkGatingSoftmaxIDF16_Li16ELi64ELi8ELi32ELb1ELi0ELNS0_23SharedExpertScoringFuncE0EEEvPKT_PKbPfiPiS9_iiiiii,"axG",@progbits,_ZN4vllm3moe17topkGatingSoftmaxIDF16_Li16ELi64ELi8ELi32ELb1ELi0ELNS0_23SharedExpertScoringFuncE0EEEvPKT_PKbPfiPiS9_iiiiii,comdat
	.protected	_ZN4vllm3moe17topkGatingSoftmaxIDF16_Li16ELi64ELi8ELi32ELb1ELi0ELNS0_23SharedExpertScoringFuncE0EEEvPKT_PKbPfiPiS9_iiiiii ; -- Begin function _ZN4vllm3moe17topkGatingSoftmaxIDF16_Li16ELi64ELi8ELi32ELb1ELi0ELNS0_23SharedExpertScoringFuncE0EEEvPKT_PKbPfiPiS9_iiiiii
	.globl	_ZN4vllm3moe17topkGatingSoftmaxIDF16_Li16ELi64ELi8ELi32ELb1ELi0ELNS0_23SharedExpertScoringFuncE0EEEvPKT_PKbPfiPiS9_iiiiii
	.p2align	8
	.type	_ZN4vllm3moe17topkGatingSoftmaxIDF16_Li16ELi64ELi8ELi32ELb1ELi0ELNS0_23SharedExpertScoringFuncE0EEEvPKT_PKbPfiPiS9_iiiiii,@function
_ZN4vllm3moe17topkGatingSoftmaxIDF16_Li16ELi64ELi8ELi32ELb1ELi0ELNS0_23SharedExpertScoringFuncE0EEEvPKT_PKbPfiPiS9_iiiiii: ; @_ZN4vllm3moe17topkGatingSoftmaxIDF16_Li16ELi64ELi8ELi32ELb1ELi0ELNS0_23SharedExpertScoringFuncE0EEEvPKT_PKbPfiPiS9_iiiiii
; %bb.0:
	s_load_dword s33, s[4:5], 0x18
	v_bfe_u32 v1, v0, 10, 10
	v_and_b32_e32 v0, 0x3ff, v0
	s_lshl_b32 s50, s6, 7
	v_lshlrev_b32_e32 v42, 4, v1
	v_lshrrev_b32_e32 v43, 2, v0
	v_add3_u32 v22, s50, v42, v43
	s_waitcnt lgkmcnt(0)
	v_cmp_gt_i32_e32 vcc, s33, v22
	s_and_saveexec_b64 s[0:1], vcc
	s_cbranch_execz .LBB166_27
; %bb.1:
	s_load_dwordx4 s[0:3], s[4:5], 0x0
	s_load_dwordx2 s[34:35], s[4:5], 0x10
	s_waitcnt lgkmcnt(0)
	s_cmp_eq_u64 s[2:3], 0
	s_cbranch_scc1 .LBB166_3
; %bb.2:
	v_ashrrev_i32_e32 v1, 31, v22
	v_mov_b32_e32 v3, s3
	v_add_co_u32_e32 v2, vcc, s2, v22
	v_addc_co_u32_e32 v3, vcc, v3, v1, vcc
	global_load_ubyte v1, v[2:3], off
	s_waitcnt vmcnt(0)
	v_and_b32_e32 v1, 1, v1
	v_cmp_eq_u32_e32 vcc, 1, v1
	s_xor_b64 s[2:3], vcc, -1
	s_orn2_b64 s[44:45], s[2:3], exec
	s_branch .LBB166_4
.LBB166_3:
	s_mov_b64 s[44:45], -1
.LBB166_4:
	s_load_dwordx2 s[8:9], s[4:5], 0x40
	s_load_dwordx4 s[36:39], s[4:5], 0x30
	v_mov_b32_e32 v1, s1
	v_and_b32_e32 v23, 3, v0
	v_lshlrev_b32_e32 v0, 5, v23
	s_waitcnt lgkmcnt(0)
	v_mul_lo_u32 v2, v22, s9
	v_ashrrev_i32_e32 v3, 31, v2
	v_lshlrev_b64 v[2:3], 1, v[2:3]
	v_add_co_u32_e32 v2, vcc, s0, v2
	v_addc_co_u32_e32 v1, vcc, v1, v3, vcc
	v_add_co_u32_e32 v8, vcc, v2, v0
	v_addc_co_u32_e32 v9, vcc, 0, v1, vcc
	global_load_dwordx4 v[4:7], v[8:9], off
	global_load_dwordx4 v[12:15], v[8:9], off offset:16
	v_lshlrev_b32_e32 v24, 4, v23
	v_or_b32_e32 v25, 1, v24
	v_or_b32_e32 v26, 2, v24
	;; [unrolled: 1-line block ×15, first 2 shown]
	v_mov_b32_e32 v40, 0
	s_waitcnt vmcnt(1)
	v_cvt_f32_f16_e32 v0, v4
	v_cvt_f32_f16_sdwa v1, v4 dst_sel:DWORD dst_unused:UNUSED_PAD src0_sel:WORD_1
	v_cvt_f32_f16_e32 v2, v5
	v_cmp_lt_f16_sdwa vcc, v4, v4 src0_sel:DWORD src1_sel:WORD_1
	v_cndmask_b32_e32 v3, v24, v25, vcc
	v_cndmask_b32_e32 v4, v0, v1, vcc
	v_cmp_lt_f32_e32 vcc, v4, v2
	v_cndmask_b32_e32 v10, v3, v26, vcc
	v_cvt_f32_f16_sdwa v3, v5 dst_sel:DWORD dst_unused:UNUSED_PAD src0_sel:WORD_1
	v_cndmask_b32_e32 v4, v4, v2, vcc
	s_waitcnt vmcnt(0)
	v_cvt_f32_f16_e32 v8, v12
	v_cvt_f32_f16_sdwa v9, v12 dst_sel:DWORD dst_unused:UNUSED_PAD src0_sel:WORD_1
	v_cmp_lt_f32_e32 vcc, v4, v3
	v_cndmask_b32_e32 v5, v10, v27, vcc
	v_cndmask_b32_e32 v10, v4, v3, vcc
	v_cvt_f32_f16_e32 v4, v6
	v_cmp_lt_f32_e32 vcc, v10, v4
	v_cndmask_b32_e32 v11, v5, v28, vcc
	v_cvt_f32_f16_sdwa v5, v6 dst_sel:DWORD dst_unused:UNUSED_PAD src0_sel:WORD_1
	v_cvt_f32_f16_e32 v6, v7
	v_cndmask_b32_e32 v10, v10, v4, vcc
	v_cvt_f32_f16_sdwa v7, v7 dst_sel:DWORD dst_unused:UNUSED_PAD src0_sel:WORD_1
	v_cmp_lt_f32_e32 vcc, v10, v5
	v_cndmask_b32_e32 v10, v10, v5, vcc
	v_cndmask_b32_e32 v11, v11, v29, vcc
	v_cmp_lt_f32_e32 vcc, v10, v6
	v_cndmask_b32_e32 v10, v10, v6, vcc
	v_cndmask_b32_e32 v11, v11, v30, vcc
	;; [unrolled: 3-line block ×4, first 2 shown]
	v_cmp_lt_f32_e32 vcc, v10, v9
	v_cndmask_b32_e32 v12, v10, v9, vcc
	v_cvt_f32_f16_e32 v10, v13
	v_cndmask_b32_e32 v11, v11, v33, vcc
	v_cmp_lt_f32_e32 vcc, v12, v10
	v_cndmask_b32_e32 v16, v11, v34, vcc
	v_cvt_f32_f16_sdwa v11, v13 dst_sel:DWORD dst_unused:UNUSED_PAD src0_sel:WORD_1
	v_cndmask_b32_e32 v12, v12, v10, vcc
	v_cmp_lt_f32_e32 vcc, v12, v11
	v_cndmask_b32_e32 v13, v16, v35, vcc
	v_cndmask_b32_e32 v16, v12, v11, vcc
	v_cvt_f32_f16_e32 v12, v14
	v_cmp_lt_f32_e32 vcc, v16, v12
	v_cndmask_b32_e32 v17, v13, v36, vcc
	v_cvt_f32_f16_sdwa v13, v14 dst_sel:DWORD dst_unused:UNUSED_PAD src0_sel:WORD_1
	v_cvt_f32_f16_e32 v14, v15
	v_cndmask_b32_e32 v16, v16, v12, vcc
	v_cvt_f32_f16_sdwa v15, v15 dst_sel:DWORD dst_unused:UNUSED_PAD src0_sel:WORD_1
	v_cmp_lt_f32_e32 vcc, v16, v13
	v_cndmask_b32_e32 v16, v16, v13, vcc
	v_cndmask_b32_e32 v17, v17, v37, vcc
	v_cmp_lt_f32_e32 vcc, v16, v14
	v_cndmask_b32_e32 v16, v16, v14, vcc
	v_cndmask_b32_e32 v17, v17, v38, vcc
	;; [unrolled: 3-line block ×3, first 2 shown]
	s_nop 0
	v_mov_b32_dpp v18, v17 quad_perm:[1,0,3,2] row_mask:0xf bank_mask:0xf
	v_mov_b32_dpp v19, v16 quad_perm:[1,0,3,2] row_mask:0xf bank_mask:0xf
	v_cmp_lt_i32_e32 vcc, v18, v17
	v_cmp_eq_f32_e64 s[2:3], v16, v19
	v_cmp_lt_f32_e64 s[0:1], v16, v19
	s_and_b64 s[2:3], s[2:3], vcc
	s_or_b64 vcc, s[0:1], s[2:3]
	v_cndmask_b32_e32 v16, v16, v19, vcc
	v_cndmask_b32_e32 v17, v17, v18, vcc
	s_cmp_gt_i32 s36, 0
	v_cmp_eq_u32_e32 vcc, 0, v23
	s_cselect_b64 s[46:47], -1, 0
	s_cmp_lt_i32 s36, 1
	v_mov_b32_dpp v18, v17 quad_perm:[2,3,0,1] row_mask:0xf bank_mask:0xf
	v_mov_b32_dpp v19, v16 quad_perm:[2,3,0,1] row_mask:0xf bank_mask:0xf
	s_cbranch_scc1 .LBB166_16
; %bb.5:
	s_load_dwordx4 s[40:43], s[4:5], 0x20
	v_cmp_eq_f32_e64 s[2:3], v16, v19
	v_cmp_lt_i32_e64 s[6:7], v18, v17
	v_cmp_lt_f32_e64 s[0:1], v16, v19
	s_and_b64 s[2:3], s[2:3], s[6:7]
	s_or_b64 s[0:1], s[0:1], s[2:3]
	v_cndmask_b32_e64 v44, v17, v18, s[0:1]
	v_cndmask_b32_e64 v41, v16, v19, s[0:1]
	v_mul_lo_u32 v20, v22, s39
	v_mul_lo_u32 v18, v22, s8
	v_mul_lo_u32 v16, v22, s36
	v_mov_b32_e32 v40, 0
	s_and_saveexec_b64 s[4:5], vcc
	s_cbranch_execz .LBB166_7
; %bb.6:
	v_sub_f32_e32 v17, v41, v41
	v_mul_f32_e32 v19, 0x3fb8aa3b, v17
	s_mov_b32 s0, 0x3fb8aa3b
	v_rndne_f32_e32 v21, v19
	v_sub_f32_e32 v40, v19, v21
	v_fma_f32 v19, v17, s0, -v19
	v_fmac_f32_e32 v19, 0x32a5705f, v17
	v_add_f32_e32 v19, v40, v19
	v_exp_f32_e32 v19, v19
	v_cvt_i32_f32_e32 v21, v21
	v_cmp_le_i32_e64 s[0:1], s37, v44
	v_cmp_gt_i32_e64 s[2:3], s38, v44
	s_and_b64 s[2:3], s[0:1], s[2:3]
	s_mov_b32 s0, 0xc2ce8ed0
	v_ldexp_f32 v19, v19, v21
	v_cmp_ngt_f32_e64 s[0:1], s0, v17
	v_cndmask_b32_e64 v19, 0, v19, s[0:1]
	s_mov_b32 s0, 0x42b17218
	v_mov_b32_e32 v21, 0x7f800000
	v_cmp_nlt_f32_e64 s[0:1], s0, v17
	v_cndmask_b32_e64 v40, v21, v19, s[0:1]
	v_ashrrev_i32_e32 v21, 31, v20
	v_lshlrev_b64 v[46:47], 2, v[20:21]
	v_mov_b32_e32 v17, s35
	v_add_co_u32_e64 v46, s[0:1], s34, v46
	v_addc_co_u32_e64 v47, s[0:1], v17, v47, s[0:1]
	v_ashrrev_i32_e32 v19, 31, v18
	global_store_dword v[46:47], v40, off
	v_subrev_u32_e32 v17, s37, v44
	s_and_b64 s[0:1], s[44:45], s[2:3]
	v_lshlrev_b64 v[46:47], 2, v[18:19]
	v_cndmask_b32_e64 v17, 64, v17, s[0:1]
	s_waitcnt lgkmcnt(0)
	v_mov_b32_e32 v19, s41
	v_add_co_u32_e64 v46, s[0:1], s40, v46
	v_addc_co_u32_e64 v47, s[0:1], v19, v47, s[0:1]
	global_store_dword v[46:47], v17, off
	v_ashrrev_i32_e32 v17, 31, v16
	v_lshlrev_b64 v[46:47], 2, v[16:17]
	v_mov_b32_e32 v17, s43
	v_add_co_u32_e64 v46, s[0:1], s42, v46
	v_addc_co_u32_e64 v47, s[0:1], v17, v47, s[0:1]
	global_store_dword v[46:47], v22, off
.LBB166_7:
	s_or_b64 exec, exec, s[4:5]
	v_ashrrev_i32_e32 v19, 31, v44
	v_lshrrev_b32_e32 v17, 28, v19
	v_add_u32_e32 v17, v44, v17
	v_ashrrev_i32_e32 v17, 4, v17
	v_lshrrev_b32_e32 v21, 30, v17
	v_add_u32_e32 v21, v17, v21
	v_and_b32_e32 v21, -4, v21
	v_sub_u32_e32 v21, v17, v21
	v_cmp_eq_u32_e64 s[0:1], v23, v21
	s_and_saveexec_b64 s[48:49], s[0:1]
	s_cbranch_execz .LBB166_9
; %bb.8:
	v_lshrrev_b32_e32 v19, 26, v19
	v_add_u32_e32 v19, v44, v19
	v_lshlrev_b32_e32 v17, 4, v17
	v_sub_u32_e32 v17, v44, v17
	v_ashrrev_i32_e32 v19, 6, v19
	v_lshl_add_u32 v17, v19, 4, v17
	v_mov_b32_e32 v19, 0xff800000
	v_cmp_ne_u32_e64 s[0:1], 14, v17
	v_cmp_ne_u32_e64 s[2:3], 13, v17
	;; [unrolled: 1-line block ×16, first 2 shown]
	v_cndmask_b32_e64 v15, v19, v15, s[30:31]
	v_cndmask_b32_e64 v14, v19, v14, s[0:1]
	;; [unrolled: 1-line block ×16, first 2 shown]
.LBB166_9:
	s_or_b64 exec, exec, s[48:49]
	s_cmp_eq_u32 s36, 1
	s_cbranch_scc1 .LBB166_16
; %bb.10:
	s_add_i32 s50, s50, s33
	s_add_i32 s51, s36, -1
	v_add3_u32 v42, s50, v43, v42
	v_add_u32_e32 v16, 1, v16
	v_add_u32_e32 v18, 1, v18
	;; [unrolled: 1-line block ×3, first 2 shown]
	s_mov_b32 s50, 0x3fb8aa3b
	s_mov_b32 s52, 0xc2ce8ed0
	;; [unrolled: 1-line block ×3, first 2 shown]
	v_mov_b32_e32 v43, 0x7f800000
	v_mov_b32_e32 v44, 0xff800000
	s_branch .LBB166_12
.LBB166_11:                             ;   in Loop: Header=BB166_12 Depth=1
	s_or_b64 exec, exec, s[48:49]
	s_add_i32 s51, s51, -1
	v_add_u32_e32 v42, s33, v42
	v_add_u32_e32 v16, 1, v16
	;; [unrolled: 1-line block ×3, first 2 shown]
	s_cmp_eq_u32 s51, 0
	v_add_u32_e32 v20, 1, v20
	s_cbranch_scc1 .LBB166_16
.LBB166_12:                             ; =>This Inner Loop Header: Depth=1
	v_cmp_gt_f32_e64 s[0:1], v1, v0
	v_cndmask_b32_e64 v19, v0, v1, s[0:1]
	v_cndmask_b32_e64 v17, v24, v25, s[0:1]
	v_cmp_gt_f32_e64 s[0:1], v2, v19
	v_cndmask_b32_e64 v19, v19, v2, s[0:1]
	v_cndmask_b32_e64 v17, v17, v26, s[0:1]
	;; [unrolled: 3-line block ×15, first 2 shown]
	s_nop 0
	v_mov_b32_dpp v45, v21 quad_perm:[1,0,3,2] row_mask:0xf bank_mask:0xf
	v_mov_b32_dpp v19, v17 quad_perm:[1,0,3,2] row_mask:0xf bank_mask:0xf
	v_cmp_eq_f32_e64 s[2:3], v17, v19
	v_cmp_lt_i32_e64 s[4:5], v45, v21
	v_cmp_lt_f32_e64 s[0:1], v17, v19
	s_and_b64 s[2:3], s[2:3], s[4:5]
	s_or_b64 s[0:1], s[0:1], s[2:3]
	v_cndmask_b32_e64 v17, v17, v19, s[0:1]
	v_cndmask_b32_e64 v21, v21, v45, s[0:1]
	s_nop 0
	v_mov_b32_dpp v19, v17 quad_perm:[2,3,0,1] row_mask:0xf bank_mask:0xf
	v_mov_b32_dpp v45, v21 quad_perm:[2,3,0,1] row_mask:0xf bank_mask:0xf
	v_cmp_eq_f32_e64 s[2:3], v17, v19
	v_cmp_lt_i32_e64 s[4:5], v45, v21
	v_cmp_lt_f32_e64 s[0:1], v17, v19
	s_and_b64 s[2:3], s[2:3], s[4:5]
	s_or_b64 s[0:1], s[0:1], s[2:3]
	v_cndmask_b32_e64 v45, v21, v45, s[0:1]
	s_and_saveexec_b64 s[4:5], vcc
	s_cbranch_execz .LBB166_14
; %bb.13:                               ;   in Loop: Header=BB166_12 Depth=1
	v_cndmask_b32_e64 v17, v17, v19, s[0:1]
	v_sub_f32_e32 v17, v17, v41
	v_mul_f32_e32 v19, 0x3fb8aa3b, v17
	v_fma_f32 v21, v17, s50, -v19
	v_rndne_f32_e32 v46, v19
	v_fmac_f32_e32 v21, 0x32a5705f, v17
	v_sub_f32_e32 v19, v19, v46
	v_add_f32_e32 v19, v19, v21
	v_exp_f32_e32 v19, v19
	v_cvt_i32_f32_e32 v21, v46
	v_cmp_le_i32_e64 s[0:1], s37, v45
	v_cmp_gt_i32_e64 s[2:3], s38, v45
	s_and_b64 s[2:3], s[0:1], s[2:3]
	v_ldexp_f32 v19, v19, v21
	v_cmp_ngt_f32_e64 s[0:1], s52, v17
	v_ashrrev_i32_e32 v21, 31, v20
	v_cndmask_b32_e64 v19, 0, v19, s[0:1]
	v_cmp_nlt_f32_e64 s[0:1], s53, v17
	v_lshlrev_b64 v[46:47], 2, v[20:21]
	v_cndmask_b32_e64 v48, v43, v19, s[0:1]
	v_mov_b32_e32 v17, s35
	v_add_co_u32_e64 v46, s[0:1], s34, v46
	v_addc_co_u32_e64 v47, s[0:1], v17, v47, s[0:1]
	v_ashrrev_i32_e32 v19, 31, v18
	global_store_dword v[46:47], v48, off
	v_subrev_u32_e32 v17, s37, v45
	s_and_b64 s[0:1], s[44:45], s[2:3]
	v_lshlrev_b64 v[46:47], 2, v[18:19]
	v_cndmask_b32_e64 v17, 64, v17, s[0:1]
	s_waitcnt lgkmcnt(0)
	v_mov_b32_e32 v19, s41
	v_add_co_u32_e64 v46, s[0:1], s40, v46
	v_addc_co_u32_e64 v47, s[0:1], v19, v47, s[0:1]
	global_store_dword v[46:47], v17, off
	v_ashrrev_i32_e32 v17, 31, v16
	v_lshlrev_b64 v[46:47], 2, v[16:17]
	v_mov_b32_e32 v17, s43
	v_add_co_u32_e64 v46, s[0:1], s42, v46
	v_addc_co_u32_e64 v47, s[0:1], v17, v47, s[0:1]
	v_add_f32_e32 v40, v40, v48
	global_store_dword v[46:47], v42, off
.LBB166_14:                             ;   in Loop: Header=BB166_12 Depth=1
	s_or_b64 exec, exec, s[4:5]
	v_ashrrev_i32_e32 v19, 31, v45
	v_lshrrev_b32_e32 v17, 28, v19
	v_add_u32_e32 v17, v45, v17
	v_ashrrev_i32_e32 v17, 4, v17
	v_lshrrev_b32_e32 v21, 30, v17
	v_add_u32_e32 v21, v17, v21
	v_and_b32_e32 v21, -4, v21
	v_sub_u32_e32 v21, v17, v21
	v_cmp_eq_u32_e64 s[0:1], v23, v21
	s_and_saveexec_b64 s[48:49], s[0:1]
	s_cbranch_execz .LBB166_11
; %bb.15:                               ;   in Loop: Header=BB166_12 Depth=1
	v_lshrrev_b32_e32 v19, 26, v19
	v_add_u32_e32 v19, v45, v19
	v_lshlrev_b32_e32 v17, 4, v17
	v_sub_u32_e32 v17, v45, v17
	v_ashrrev_i32_e32 v19, 6, v19
	v_lshl_add_u32 v17, v19, 4, v17
	v_cmp_ne_u32_e64 s[0:1], 14, v17
	v_cmp_ne_u32_e64 s[2:3], 13, v17
	;; [unrolled: 1-line block ×16, first 2 shown]
	v_cndmask_b32_e64 v15, v44, v15, s[30:31]
	v_cndmask_b32_e64 v14, v44, v14, s[0:1]
	;; [unrolled: 1-line block ×16, first 2 shown]
	s_branch .LBB166_11
.LBB166_16:
	v_cmp_eq_u32_e32 vcc, 0, v23
	v_cmp_neq_f32_e64 s[0:1], 0, v40
	s_and_b64 s[0:1], vcc, s[0:1]
	s_and_b64 exec, exec, s[0:1]
	s_cbranch_execz .LBB166_27
; %bb.17:
	s_andn2_b64 vcc, exec, s[46:47]
	s_cbranch_vccnz .LBB166_27
; %bb.18:
	v_div_scale_f32 v0, s[0:1], v40, v40, 1.0
	v_rcp_f32_e32 v1, v0
	v_div_scale_f32 v2, vcc, 1.0, v40, 1.0
	s_cmp_gt_u32 s36, 3
	v_fma_f32 v3, -v0, v1, 1.0
	v_fmac_f32_e32 v1, v3, v1
	v_mul_f32_e32 v3, v2, v1
	v_fma_f32 v4, -v0, v3, v2
	v_fmac_f32_e32 v3, v4, v1
	v_fma_f32 v0, -v0, v3, v2
	v_div_fmas_f32 v0, v0, v1, v3
	v_mul_lo_u32 v2, v22, s39
	v_div_fixup_f32 v0, v0, v40, 1.0
	v_ashrrev_i32_e32 v3, 31, v2
	s_cbranch_scc0 .LBB166_22
; %bb.19:
	v_lshlrev_b64 v[4:5], 2, v[2:3]
	v_mov_b32_e32 v6, s35
	v_add_co_u32_e32 v4, vcc, s34, v4
	v_addc_co_u32_e32 v5, vcc, v5, v6, vcc
	s_and_b32 s4, s36, 0x7ffffffc
	v_add_co_u32_e32 v4, vcc, 8, v4
	v_mov_b32_e32 v1, v0
	v_addc_co_u32_e32 v5, vcc, 0, v5, vcc
	s_mov_b32 s0, s4
.LBB166_20:                             ; =>This Inner Loop Header: Depth=1
	global_load_dwordx4 v[6:9], v[4:5], off offset:-8
	s_add_i32 s0, s0, -4
	s_cmp_lg_u32 s0, 0
	s_waitcnt vmcnt(0)
	v_pk_mul_f32 v[6:7], v[0:1], v[6:7]
	v_pk_mul_f32 v[8:9], v[0:1], v[8:9]
	global_store_dwordx4 v[4:5], v[6:9], off offset:-8
	v_add_co_u32_e32 v4, vcc, 16, v4
	v_addc_co_u32_e32 v5, vcc, 0, v5, vcc
	s_cbranch_scc1 .LBB166_20
; %bb.21:
	s_cmp_lg_u32 s4, s36
	s_cselect_b64 s[0:1], -1, 0
	s_branch .LBB166_24
.LBB166_22:
	s_mov_b64 s[0:1], 0
                                        ; implicit-def: $sgpr4
	s_cbranch_execz .LBB166_24
; %bb.23:
	s_mov_b64 s[0:1], -1
	s_mov_b32 s4, 0
.LBB166_24:
	s_andn2_b64 vcc, exec, s[0:1]
	s_cbranch_vccnz .LBB166_27
; %bb.25:
	v_add_co_u32_e32 v2, vcc, s4, v2
	v_addc_co_u32_e32 v3, vcc, 0, v3, vcc
	v_lshlrev_b64 v[2:3], 2, v[2:3]
	v_mov_b32_e32 v1, s35
	v_add_co_u32_e32 v2, vcc, s34, v2
	s_sub_i32 s0, s36, s4
	v_addc_co_u32_e32 v3, vcc, v1, v3, vcc
.LBB166_26:                             ; =>This Inner Loop Header: Depth=1
	global_load_dword v1, v[2:3], off
	s_add_i32 s0, s0, -1
	s_cmp_lg_u32 s0, 0
	s_waitcnt vmcnt(0)
	v_mul_f32_e32 v1, v0, v1
	global_store_dword v[2:3], v1, off
	v_add_co_u32_e32 v2, vcc, 4, v2
	v_addc_co_u32_e32 v3, vcc, 0, v3, vcc
	s_cbranch_scc1 .LBB166_26
.LBB166_27:
	s_endpgm
	.section	.rodata,"a",@progbits
	.p2align	6, 0x0
	.amdhsa_kernel _ZN4vllm3moe17topkGatingSoftmaxIDF16_Li16ELi64ELi8ELi32ELb1ELi0ELNS0_23SharedExpertScoringFuncE0EEEvPKT_PKbPfiPiS9_iiiiii
		.amdhsa_group_segment_fixed_size 0
		.amdhsa_private_segment_fixed_size 0
		.amdhsa_kernarg_size 72
		.amdhsa_user_sgpr_count 6
		.amdhsa_user_sgpr_private_segment_buffer 1
		.amdhsa_user_sgpr_dispatch_ptr 0
		.amdhsa_user_sgpr_queue_ptr 0
		.amdhsa_user_sgpr_kernarg_segment_ptr 1
		.amdhsa_user_sgpr_dispatch_id 0
		.amdhsa_user_sgpr_flat_scratch_init 0
		.amdhsa_user_sgpr_kernarg_preload_length 0
		.amdhsa_user_sgpr_kernarg_preload_offset 0
		.amdhsa_user_sgpr_private_segment_size 0
		.amdhsa_uses_dynamic_stack 0
		.amdhsa_system_sgpr_private_segment_wavefront_offset 0
		.amdhsa_system_sgpr_workgroup_id_x 1
		.amdhsa_system_sgpr_workgroup_id_y 0
		.amdhsa_system_sgpr_workgroup_id_z 0
		.amdhsa_system_sgpr_workgroup_info 0
		.amdhsa_system_vgpr_workitem_id 1
		.amdhsa_next_free_vgpr 49
		.amdhsa_next_free_sgpr 54
		.amdhsa_accum_offset 52
		.amdhsa_reserve_vcc 1
		.amdhsa_reserve_flat_scratch 0
		.amdhsa_float_round_mode_32 0
		.amdhsa_float_round_mode_16_64 0
		.amdhsa_float_denorm_mode_32 3
		.amdhsa_float_denorm_mode_16_64 3
		.amdhsa_dx10_clamp 1
		.amdhsa_ieee_mode 1
		.amdhsa_fp16_overflow 0
		.amdhsa_tg_split 0
		.amdhsa_exception_fp_ieee_invalid_op 0
		.amdhsa_exception_fp_denorm_src 0
		.amdhsa_exception_fp_ieee_div_zero 0
		.amdhsa_exception_fp_ieee_overflow 0
		.amdhsa_exception_fp_ieee_underflow 0
		.amdhsa_exception_fp_ieee_inexact 0
		.amdhsa_exception_int_div_zero 0
	.end_amdhsa_kernel
	.section	.text._ZN4vllm3moe17topkGatingSoftmaxIDF16_Li16ELi64ELi8ELi32ELb1ELi0ELNS0_23SharedExpertScoringFuncE0EEEvPKT_PKbPfiPiS9_iiiiii,"axG",@progbits,_ZN4vllm3moe17topkGatingSoftmaxIDF16_Li16ELi64ELi8ELi32ELb1ELi0ELNS0_23SharedExpertScoringFuncE0EEEvPKT_PKbPfiPiS9_iiiiii,comdat
.Lfunc_end166:
	.size	_ZN4vllm3moe17topkGatingSoftmaxIDF16_Li16ELi64ELi8ELi32ELb1ELi0ELNS0_23SharedExpertScoringFuncE0EEEvPKT_PKbPfiPiS9_iiiiii, .Lfunc_end166-_ZN4vllm3moe17topkGatingSoftmaxIDF16_Li16ELi64ELi8ELi32ELb1ELi0ELNS0_23SharedExpertScoringFuncE0EEEvPKT_PKbPfiPiS9_iiiiii
                                        ; -- End function
	.section	.AMDGPU.csdata,"",@progbits
; Kernel info:
; codeLenInByte = 2940
; NumSgprs: 58
; NumVgprs: 49
; NumAgprs: 0
; TotalNumVgprs: 49
; ScratchSize: 0
; MemoryBound: 0
; FloatMode: 240
; IeeeMode: 1
; LDSByteSize: 0 bytes/workgroup (compile time only)
; SGPRBlocks: 7
; VGPRBlocks: 6
; NumSGPRsForWavesPerEU: 58
; NumVGPRsForWavesPerEU: 49
; AccumOffset: 52
; Occupancy: 8
; WaveLimiterHint : 0
; COMPUTE_PGM_RSRC2:SCRATCH_EN: 0
; COMPUTE_PGM_RSRC2:USER_SGPR: 6
; COMPUTE_PGM_RSRC2:TRAP_HANDLER: 0
; COMPUTE_PGM_RSRC2:TGID_X_EN: 1
; COMPUTE_PGM_RSRC2:TGID_Y_EN: 0
; COMPUTE_PGM_RSRC2:TGID_Z_EN: 0
; COMPUTE_PGM_RSRC2:TIDIG_COMP_CNT: 1
; COMPUTE_PGM_RSRC3_GFX90A:ACCUM_OFFSET: 12
; COMPUTE_PGM_RSRC3_GFX90A:TG_SPLIT: 0
	.section	.text._ZN4vllm3moe17topkGatingSoftmaxIDF16_Li16ELi64ELi8ELi32ELb0ELi0ELNS0_23SharedExpertScoringFuncE0EEEvPKT_PKbPfiPiS9_iiiiii,"axG",@progbits,_ZN4vllm3moe17topkGatingSoftmaxIDF16_Li16ELi64ELi8ELi32ELb0ELi0ELNS0_23SharedExpertScoringFuncE0EEEvPKT_PKbPfiPiS9_iiiiii,comdat
	.protected	_ZN4vllm3moe17topkGatingSoftmaxIDF16_Li16ELi64ELi8ELi32ELb0ELi0ELNS0_23SharedExpertScoringFuncE0EEEvPKT_PKbPfiPiS9_iiiiii ; -- Begin function _ZN4vllm3moe17topkGatingSoftmaxIDF16_Li16ELi64ELi8ELi32ELb0ELi0ELNS0_23SharedExpertScoringFuncE0EEEvPKT_PKbPfiPiS9_iiiiii
	.globl	_ZN4vllm3moe17topkGatingSoftmaxIDF16_Li16ELi64ELi8ELi32ELb0ELi0ELNS0_23SharedExpertScoringFuncE0EEEvPKT_PKbPfiPiS9_iiiiii
	.p2align	8
	.type	_ZN4vllm3moe17topkGatingSoftmaxIDF16_Li16ELi64ELi8ELi32ELb0ELi0ELNS0_23SharedExpertScoringFuncE0EEEvPKT_PKbPfiPiS9_iiiiii,@function
_ZN4vllm3moe17topkGatingSoftmaxIDF16_Li16ELi64ELi8ELi32ELb0ELi0ELNS0_23SharedExpertScoringFuncE0EEEvPKT_PKbPfiPiS9_iiiiii: ; @_ZN4vllm3moe17topkGatingSoftmaxIDF16_Li16ELi64ELi8ELi32ELb0ELi0ELNS0_23SharedExpertScoringFuncE0EEEvPKT_PKbPfiPiS9_iiiiii
; %bb.0:
	s_load_dword s33, s[4:5], 0x18
	v_bfe_u32 v1, v0, 10, 10
	v_and_b32_e32 v0, 0x3ff, v0
	s_lshl_b32 s50, s6, 7
	v_lshlrev_b32_e32 v42, 4, v1
	v_lshrrev_b32_e32 v43, 2, v0
	v_add3_u32 v22, s50, v42, v43
	s_waitcnt lgkmcnt(0)
	v_cmp_gt_i32_e32 vcc, s33, v22
	s_and_saveexec_b64 s[0:1], vcc
	s_cbranch_execz .LBB167_29
; %bb.1:
	s_load_dwordx4 s[0:3], s[4:5], 0x0
	s_load_dwordx2 s[34:35], s[4:5], 0x10
	s_waitcnt lgkmcnt(0)
	s_cmp_eq_u64 s[2:3], 0
	s_cbranch_scc1 .LBB167_3
; %bb.2:
	v_ashrrev_i32_e32 v1, 31, v22
	v_mov_b32_e32 v3, s3
	v_add_co_u32_e32 v2, vcc, s2, v22
	v_addc_co_u32_e32 v3, vcc, v3, v1, vcc
	global_load_ubyte v1, v[2:3], off
	s_waitcnt vmcnt(0)
	v_and_b32_e32 v1, 1, v1
	v_cmp_eq_u32_e32 vcc, 1, v1
	s_xor_b64 s[2:3], vcc, -1
	s_orn2_b64 s[46:47], s[2:3], exec
	s_branch .LBB167_4
.LBB167_3:
	s_mov_b64 s[46:47], -1
.LBB167_4:
	s_load_dwordx2 s[6:7], s[4:5], 0x40
	s_load_dwordx4 s[36:39], s[4:5], 0x30
	v_mov_b32_e32 v1, s1
	v_and_b32_e32 v23, 3, v0
	v_lshlrev_b32_e32 v0, 5, v23
	s_waitcnt lgkmcnt(0)
	v_mul_lo_u32 v2, v22, s7
	v_ashrrev_i32_e32 v3, 31, v2
	v_lshlrev_b64 v[2:3], 1, v[2:3]
	v_add_co_u32_e32 v2, vcc, s0, v2
	v_addc_co_u32_e32 v1, vcc, v1, v3, vcc
	v_add_co_u32_e32 v8, vcc, v2, v0
	v_addc_co_u32_e32 v9, vcc, 0, v1, vcc
	global_load_dwordx4 v[4:7], v[8:9], off
	global_load_dwordx4 v[12:15], v[8:9], off offset:16
	v_lshlrev_b32_e32 v26, 4, v23
	v_or_b32_e32 v27, 1, v26
	v_or_b32_e32 v28, 2, v26
	;; [unrolled: 1-line block ×15, first 2 shown]
	v_mov_b32_e32 v25, 0
	s_waitcnt vmcnt(1)
	v_cvt_f32_f16_e32 v0, v4
	v_cvt_f32_f16_sdwa v1, v4 dst_sel:DWORD dst_unused:UNUSED_PAD src0_sel:WORD_1
	v_cvt_f32_f16_e32 v2, v5
	v_cmp_lt_f16_sdwa vcc, v4, v4 src0_sel:DWORD src1_sel:WORD_1
	v_cndmask_b32_e32 v3, v26, v27, vcc
	v_cndmask_b32_e32 v4, v0, v1, vcc
	v_cmp_lt_f32_e32 vcc, v4, v2
	v_cndmask_b32_e32 v10, v3, v28, vcc
	v_cvt_f32_f16_sdwa v3, v5 dst_sel:DWORD dst_unused:UNUSED_PAD src0_sel:WORD_1
	v_cndmask_b32_e32 v4, v4, v2, vcc
	s_waitcnt vmcnt(0)
	v_cvt_f32_f16_e32 v8, v12
	v_cvt_f32_f16_sdwa v9, v12 dst_sel:DWORD dst_unused:UNUSED_PAD src0_sel:WORD_1
	v_cmp_lt_f32_e32 vcc, v4, v3
	v_cndmask_b32_e32 v5, v10, v29, vcc
	v_cndmask_b32_e32 v10, v4, v3, vcc
	v_cvt_f32_f16_e32 v4, v6
	v_cmp_lt_f32_e32 vcc, v10, v4
	v_cndmask_b32_e32 v11, v5, v30, vcc
	v_cvt_f32_f16_sdwa v5, v6 dst_sel:DWORD dst_unused:UNUSED_PAD src0_sel:WORD_1
	v_cvt_f32_f16_e32 v6, v7
	v_cndmask_b32_e32 v10, v10, v4, vcc
	v_cvt_f32_f16_sdwa v7, v7 dst_sel:DWORD dst_unused:UNUSED_PAD src0_sel:WORD_1
	v_cmp_lt_f32_e32 vcc, v10, v5
	v_cndmask_b32_e32 v10, v10, v5, vcc
	v_cndmask_b32_e32 v11, v11, v31, vcc
	v_cmp_lt_f32_e32 vcc, v10, v6
	v_cndmask_b32_e32 v10, v10, v6, vcc
	v_cndmask_b32_e32 v11, v11, v32, vcc
	;; [unrolled: 3-line block ×4, first 2 shown]
	v_cmp_lt_f32_e32 vcc, v10, v9
	v_cndmask_b32_e32 v12, v10, v9, vcc
	v_cvt_f32_f16_e32 v10, v13
	v_cndmask_b32_e32 v11, v11, v35, vcc
	v_cmp_lt_f32_e32 vcc, v12, v10
	v_cndmask_b32_e32 v16, v11, v36, vcc
	v_cvt_f32_f16_sdwa v11, v13 dst_sel:DWORD dst_unused:UNUSED_PAD src0_sel:WORD_1
	v_cndmask_b32_e32 v12, v12, v10, vcc
	v_cmp_lt_f32_e32 vcc, v12, v11
	v_cndmask_b32_e32 v13, v16, v37, vcc
	v_cndmask_b32_e32 v16, v12, v11, vcc
	v_cvt_f32_f16_e32 v12, v14
	v_cmp_lt_f32_e32 vcc, v16, v12
	v_cndmask_b32_e32 v17, v13, v38, vcc
	v_cvt_f32_f16_sdwa v13, v14 dst_sel:DWORD dst_unused:UNUSED_PAD src0_sel:WORD_1
	v_cvt_f32_f16_e32 v14, v15
	v_cndmask_b32_e32 v16, v16, v12, vcc
	v_cvt_f32_f16_sdwa v15, v15 dst_sel:DWORD dst_unused:UNUSED_PAD src0_sel:WORD_1
	v_cmp_lt_f32_e32 vcc, v16, v13
	v_cndmask_b32_e32 v16, v16, v13, vcc
	v_cndmask_b32_e32 v17, v17, v39, vcc
	v_cmp_lt_f32_e32 vcc, v16, v14
	v_cndmask_b32_e32 v16, v16, v14, vcc
	v_cndmask_b32_e32 v17, v17, v40, vcc
	;; [unrolled: 3-line block ×3, first 2 shown]
	s_nop 0
	v_mov_b32_dpp v18, v17 quad_perm:[1,0,3,2] row_mask:0xf bank_mask:0xf
	v_mov_b32_dpp v19, v16 quad_perm:[1,0,3,2] row_mask:0xf bank_mask:0xf
	v_cmp_lt_i32_e32 vcc, v18, v17
	v_cmp_eq_f32_e64 s[2:3], v16, v19
	v_cmp_lt_f32_e64 s[0:1], v16, v19
	s_and_b64 s[2:3], s[2:3], vcc
	s_or_b64 vcc, s[0:1], s[2:3]
	v_cndmask_b32_e32 v19, v16, v19, vcc
	v_cndmask_b32_e32 v16, v17, v18, vcc
	s_nop 0
	v_mov_b32_dpp v18, v19 quad_perm:[2,3,0,1] row_mask:0xf bank_mask:0xf
	v_mov_b32_dpp v17, v16 quad_perm:[2,3,0,1] row_mask:0xf bank_mask:0xf
	v_cmp_eq_f32_e64 s[0:1], v19, v18
	v_cmp_lt_i32_e64 s[2:3], v17, v16
	v_cmp_lt_f32_e32 vcc, v19, v18
	s_and_b64 s[0:1], s[0:1], s[2:3]
	s_or_b64 s[0:1], vcc, s[0:1]
	s_cmp_gt_i32 s36, 0
	v_cndmask_b32_e64 v24, v19, v18, s[0:1]
	s_cselect_b64 s[44:45], -1, 0
	s_cmp_lt_i32 s36, 1
	v_cmp_eq_u32_e32 vcc, 0, v23
	s_cbranch_scc1 .LBB167_16
; %bb.5:
	s_load_dwordx4 s[40:43], s[4:5], 0x20
	v_cndmask_b32_e64 v44, v16, v17, s[0:1]
	v_mul_lo_u32 v20, v22, s39
	v_mul_lo_u32 v18, v22, s6
	;; [unrolled: 1-line block ×3, first 2 shown]
	v_mov_b32_e32 v25, 0
	s_and_saveexec_b64 s[4:5], vcc
	s_cbranch_execz .LBB167_7
; %bb.6:
	v_sub_f32_e32 v17, v24, v24
	v_mul_f32_e32 v19, 0x3fb8aa3b, v17
	s_mov_b32 s0, 0x3fb8aa3b
	v_rndne_f32_e32 v21, v19
	v_sub_f32_e32 v25, v19, v21
	v_fma_f32 v19, v17, s0, -v19
	v_fmac_f32_e32 v19, 0x32a5705f, v17
	v_add_f32_e32 v19, v25, v19
	v_exp_f32_e32 v19, v19
	v_cvt_i32_f32_e32 v21, v21
	v_cmp_le_i32_e64 s[0:1], s37, v44
	v_cmp_gt_i32_e64 s[2:3], s38, v44
	s_and_b64 s[2:3], s[0:1], s[2:3]
	s_mov_b32 s0, 0xc2ce8ed0
	v_ldexp_f32 v19, v19, v21
	v_cmp_ngt_f32_e64 s[0:1], s0, v17
	v_cndmask_b32_e64 v19, 0, v19, s[0:1]
	s_mov_b32 s0, 0x42b17218
	v_mov_b32_e32 v21, 0x7f800000
	v_cmp_nlt_f32_e64 s[0:1], s0, v17
	v_cndmask_b32_e64 v25, v21, v19, s[0:1]
	v_ashrrev_i32_e32 v21, 31, v20
	v_lshlrev_b64 v[46:47], 2, v[20:21]
	v_mov_b32_e32 v17, s35
	v_add_co_u32_e64 v46, s[0:1], s34, v46
	v_addc_co_u32_e64 v47, s[0:1], v17, v47, s[0:1]
	v_ashrrev_i32_e32 v19, 31, v18
	global_store_dword v[46:47], v25, off
	v_subrev_u32_e32 v17, s37, v44
	s_and_b64 s[0:1], s[46:47], s[2:3]
	v_lshlrev_b64 v[46:47], 2, v[18:19]
	v_cndmask_b32_e64 v17, 64, v17, s[0:1]
	s_waitcnt lgkmcnt(0)
	v_mov_b32_e32 v19, s41
	v_add_co_u32_e64 v46, s[0:1], s40, v46
	v_addc_co_u32_e64 v47, s[0:1], v19, v47, s[0:1]
	global_store_dword v[46:47], v17, off
	v_ashrrev_i32_e32 v17, 31, v16
	v_lshlrev_b64 v[46:47], 2, v[16:17]
	v_mov_b32_e32 v17, s43
	v_add_co_u32_e64 v46, s[0:1], s42, v46
	v_addc_co_u32_e64 v47, s[0:1], v17, v47, s[0:1]
	global_store_dword v[46:47], v22, off
.LBB167_7:
	s_or_b64 exec, exec, s[4:5]
	v_ashrrev_i32_e32 v19, 31, v44
	v_lshrrev_b32_e32 v17, 28, v19
	v_add_u32_e32 v17, v44, v17
	v_ashrrev_i32_e32 v17, 4, v17
	v_lshrrev_b32_e32 v21, 30, v17
	v_add_u32_e32 v21, v17, v21
	v_and_b32_e32 v21, -4, v21
	v_sub_u32_e32 v21, v17, v21
	v_cmp_eq_u32_e64 s[0:1], v23, v21
	s_and_saveexec_b64 s[48:49], s[0:1]
	s_cbranch_execz .LBB167_9
; %bb.8:
	v_lshrrev_b32_e32 v19, 26, v19
	v_add_u32_e32 v19, v44, v19
	v_lshlrev_b32_e32 v17, 4, v17
	v_sub_u32_e32 v17, v44, v17
	v_ashrrev_i32_e32 v19, 6, v19
	v_lshl_add_u32 v17, v19, 4, v17
	v_mov_b32_e32 v19, 0xff800000
	v_cmp_ne_u32_e64 s[0:1], 14, v17
	v_cmp_ne_u32_e64 s[2:3], 13, v17
	;; [unrolled: 1-line block ×16, first 2 shown]
	v_cndmask_b32_e64 v15, v19, v15, s[30:31]
	v_cndmask_b32_e64 v14, v19, v14, s[0:1]
	;; [unrolled: 1-line block ×16, first 2 shown]
.LBB167_9:
	s_or_b64 exec, exec, s[48:49]
	s_cmp_eq_u32 s36, 1
	s_cbranch_scc1 .LBB167_16
; %bb.10:
	s_add_i32 s50, s50, s33
	s_add_i32 s51, s36, -1
	v_add3_u32 v42, s50, v43, v42
	v_add_u32_e32 v16, 1, v16
	v_add_u32_e32 v18, 1, v18
	;; [unrolled: 1-line block ×3, first 2 shown]
	s_mov_b32 s50, 0x3fb8aa3b
	s_mov_b32 s52, 0xc2ce8ed0
	;; [unrolled: 1-line block ×3, first 2 shown]
	v_mov_b32_e32 v43, 0x7f800000
	v_mov_b32_e32 v44, 0xff800000
	s_branch .LBB167_12
.LBB167_11:                             ;   in Loop: Header=BB167_12 Depth=1
	s_or_b64 exec, exec, s[48:49]
	s_add_i32 s51, s51, -1
	v_add_u32_e32 v42, s33, v42
	v_add_u32_e32 v16, 1, v16
	v_add_u32_e32 v18, 1, v18
	s_cmp_eq_u32 s51, 0
	v_add_u32_e32 v20, 1, v20
	s_cbranch_scc1 .LBB167_16
.LBB167_12:                             ; =>This Inner Loop Header: Depth=1
	v_cmp_gt_f32_e64 s[0:1], v1, v0
	v_cndmask_b32_e64 v19, v0, v1, s[0:1]
	v_cndmask_b32_e64 v17, v26, v27, s[0:1]
	v_cmp_gt_f32_e64 s[0:1], v2, v19
	v_cndmask_b32_e64 v19, v19, v2, s[0:1]
	v_cndmask_b32_e64 v17, v17, v28, s[0:1]
	;; [unrolled: 3-line block ×15, first 2 shown]
	s_nop 0
	v_mov_b32_dpp v45, v21 quad_perm:[1,0,3,2] row_mask:0xf bank_mask:0xf
	v_mov_b32_dpp v19, v17 quad_perm:[1,0,3,2] row_mask:0xf bank_mask:0xf
	v_cmp_eq_f32_e64 s[2:3], v17, v19
	v_cmp_lt_i32_e64 s[4:5], v45, v21
	v_cmp_lt_f32_e64 s[0:1], v17, v19
	s_and_b64 s[2:3], s[2:3], s[4:5]
	s_or_b64 s[0:1], s[0:1], s[2:3]
	v_cndmask_b32_e64 v17, v17, v19, s[0:1]
	v_cndmask_b32_e64 v21, v21, v45, s[0:1]
	s_nop 0
	v_mov_b32_dpp v19, v17 quad_perm:[2,3,0,1] row_mask:0xf bank_mask:0xf
	v_mov_b32_dpp v45, v21 quad_perm:[2,3,0,1] row_mask:0xf bank_mask:0xf
	v_cmp_eq_f32_e64 s[2:3], v17, v19
	v_cmp_lt_i32_e64 s[4:5], v45, v21
	v_cmp_lt_f32_e64 s[0:1], v17, v19
	s_and_b64 s[2:3], s[2:3], s[4:5]
	s_or_b64 s[0:1], s[0:1], s[2:3]
	v_cndmask_b32_e64 v45, v21, v45, s[0:1]
	s_and_saveexec_b64 s[4:5], vcc
	s_cbranch_execz .LBB167_14
; %bb.13:                               ;   in Loop: Header=BB167_12 Depth=1
	v_cndmask_b32_e64 v17, v17, v19, s[0:1]
	v_sub_f32_e32 v17, v17, v24
	v_mul_f32_e32 v19, 0x3fb8aa3b, v17
	v_fma_f32 v21, v17, s50, -v19
	v_rndne_f32_e32 v46, v19
	v_fmac_f32_e32 v21, 0x32a5705f, v17
	v_sub_f32_e32 v19, v19, v46
	v_add_f32_e32 v19, v19, v21
	v_exp_f32_e32 v19, v19
	v_cvt_i32_f32_e32 v21, v46
	v_cmp_le_i32_e64 s[0:1], s37, v45
	v_cmp_gt_i32_e64 s[2:3], s38, v45
	s_and_b64 s[2:3], s[0:1], s[2:3]
	v_ldexp_f32 v19, v19, v21
	v_cmp_ngt_f32_e64 s[0:1], s52, v17
	v_ashrrev_i32_e32 v21, 31, v20
	v_cndmask_b32_e64 v19, 0, v19, s[0:1]
	v_cmp_nlt_f32_e64 s[0:1], s53, v17
	v_lshlrev_b64 v[46:47], 2, v[20:21]
	v_cndmask_b32_e64 v48, v43, v19, s[0:1]
	v_mov_b32_e32 v17, s35
	v_add_co_u32_e64 v46, s[0:1], s34, v46
	v_addc_co_u32_e64 v47, s[0:1], v17, v47, s[0:1]
	v_ashrrev_i32_e32 v19, 31, v18
	global_store_dword v[46:47], v48, off
	v_subrev_u32_e32 v17, s37, v45
	s_and_b64 s[0:1], s[46:47], s[2:3]
	v_lshlrev_b64 v[46:47], 2, v[18:19]
	v_cndmask_b32_e64 v17, 64, v17, s[0:1]
	s_waitcnt lgkmcnt(0)
	v_mov_b32_e32 v19, s41
	v_add_co_u32_e64 v46, s[0:1], s40, v46
	v_addc_co_u32_e64 v47, s[0:1], v19, v47, s[0:1]
	global_store_dword v[46:47], v17, off
	v_ashrrev_i32_e32 v17, 31, v16
	v_lshlrev_b64 v[46:47], 2, v[16:17]
	v_mov_b32_e32 v17, s43
	v_add_co_u32_e64 v46, s[0:1], s42, v46
	v_addc_co_u32_e64 v47, s[0:1], v17, v47, s[0:1]
	v_add_f32_e32 v25, v25, v48
	global_store_dword v[46:47], v42, off
.LBB167_14:                             ;   in Loop: Header=BB167_12 Depth=1
	s_or_b64 exec, exec, s[4:5]
	v_ashrrev_i32_e32 v19, 31, v45
	v_lshrrev_b32_e32 v17, 28, v19
	v_add_u32_e32 v17, v45, v17
	v_ashrrev_i32_e32 v17, 4, v17
	v_lshrrev_b32_e32 v21, 30, v17
	v_add_u32_e32 v21, v17, v21
	v_and_b32_e32 v21, -4, v21
	v_sub_u32_e32 v21, v17, v21
	v_cmp_eq_u32_e64 s[0:1], v23, v21
	s_and_saveexec_b64 s[48:49], s[0:1]
	s_cbranch_execz .LBB167_11
; %bb.15:                               ;   in Loop: Header=BB167_12 Depth=1
	v_lshrrev_b32_e32 v19, 26, v19
	v_add_u32_e32 v19, v45, v19
	v_lshlrev_b32_e32 v17, 4, v17
	v_sub_u32_e32 v17, v45, v17
	v_ashrrev_i32_e32 v19, 6, v19
	v_lshl_add_u32 v17, v19, 4, v17
	v_cmp_ne_u32_e64 s[0:1], 14, v17
	v_cmp_ne_u32_e64 s[2:3], 13, v17
	;; [unrolled: 1-line block ×16, first 2 shown]
	v_cndmask_b32_e64 v15, v44, v15, s[30:31]
	v_cndmask_b32_e64 v14, v44, v14, s[0:1]
	;; [unrolled: 1-line block ×16, first 2 shown]
	s_branch .LBB167_11
.LBB167_16:
	v_sub_f32_e32 v0, v0, v24
	s_mov_b32 s2, 0x3fb8aa3b
	v_mul_f32_e32 v16, 0x3fb8aa3b, v0
	v_fma_f32 v17, v0, s2, -v16
	v_rndne_f32_e32 v18, v16
	v_fmac_f32_e32 v17, 0x32a5705f, v0
	v_sub_f32_e32 v16, v16, v18
	v_add_f32_e32 v16, v16, v17
	v_exp_f32_e32 v16, v16
	v_cvt_i32_f32_e32 v17, v18
	v_sub_f32_e32 v1, v1, v24
	s_mov_b32 s4, 0xc2ce8ed0
	s_mov_b32 s3, 0x42b17218
	v_ldexp_f32 v16, v16, v17
	v_mul_f32_e32 v17, 0x3fb8aa3b, v1
	v_fma_f32 v18, v1, s2, -v17
	v_rndne_f32_e32 v19, v17
	v_fmac_f32_e32 v18, 0x32a5705f, v1
	v_sub_f32_e32 v17, v17, v19
	v_add_f32_e32 v17, v17, v18
	v_exp_f32_e32 v17, v17
	v_cvt_i32_f32_e32 v18, v19
	v_cmp_ngt_f32_e32 vcc, s4, v1
	v_cmp_ngt_f32_e64 s[0:1], s4, v0
	v_sub_f32_e32 v2, v2, v24
	v_ldexp_f32 v17, v17, v18
	v_cndmask_b32_e32 v17, 0, v17, vcc
	v_mov_b32_e32 v18, 0x7f800000
	v_cmp_nlt_f32_e32 vcc, s3, v1
	v_cndmask_b32_e64 v1, 0, v16, s[0:1]
	v_cmp_nlt_f32_e64 s[0:1], s3, v0
	v_cndmask_b32_e64 v0, v18, v1, s[0:1]
	v_cndmask_b32_e32 v1, v18, v17, vcc
	v_add_f32_e32 v0, v0, v1
	v_mul_f32_e32 v1, 0x3fb8aa3b, v2
	v_fma_f32 v16, v2, s2, -v1
	v_rndne_f32_e32 v17, v1
	v_fmac_f32_e32 v16, 0x32a5705f, v2
	v_sub_f32_e32 v1, v1, v17
	v_add_f32_e32 v1, v1, v16
	v_exp_f32_e32 v1, v1
	v_cvt_i32_f32_e32 v16, v17
	v_cmp_ngt_f32_e32 vcc, s4, v2
	v_sub_f32_e32 v3, v3, v24
	v_sub_f32_e32 v4, v4, v24
	v_ldexp_f32 v1, v1, v16
	v_cndmask_b32_e32 v1, 0, v1, vcc
	v_cmp_nlt_f32_e32 vcc, s3, v2
	v_cndmask_b32_e32 v1, v18, v1, vcc
	v_add_f32_e32 v0, v0, v1
	v_mul_f32_e32 v1, 0x3fb8aa3b, v3
	v_fma_f32 v2, v3, s2, -v1
	v_rndne_f32_e32 v16, v1
	v_fmac_f32_e32 v2, 0x32a5705f, v3
	v_sub_f32_e32 v1, v1, v16
	v_add_f32_e32 v1, v1, v2
	v_exp_f32_e32 v1, v1
	v_cvt_i32_f32_e32 v2, v16
	v_cmp_ngt_f32_e32 vcc, s4, v3
	v_sub_f32_e32 v5, v5, v24
	v_sub_f32_e32 v6, v6, v24
	v_ldexp_f32 v1, v1, v2
	v_cndmask_b32_e32 v1, 0, v1, vcc
	v_cmp_nlt_f32_e32 vcc, s3, v3
	v_cndmask_b32_e32 v1, v18, v1, vcc
	v_add_f32_e32 v0, v0, v1
	v_mul_f32_e32 v1, 0x3fb8aa3b, v4
	v_fma_f32 v2, v4, s2, -v1
	v_rndne_f32_e32 v3, v1
	v_fmac_f32_e32 v2, 0x32a5705f, v4
	v_sub_f32_e32 v1, v1, v3
	v_add_f32_e32 v1, v1, v2
	v_exp_f32_e32 v1, v1
	v_cvt_i32_f32_e32 v2, v3
	v_cmp_ngt_f32_e32 vcc, s4, v4
	v_sub_f32_e32 v7, v7, v24
	v_sub_f32_e32 v8, v8, v24
	v_ldexp_f32 v1, v1, v2
	v_cndmask_b32_e32 v1, 0, v1, vcc
	v_cmp_nlt_f32_e32 vcc, s3, v4
	v_cndmask_b32_e32 v1, v18, v1, vcc
	v_add_f32_e32 v0, v0, v1
	v_mul_f32_e32 v1, 0x3fb8aa3b, v5
	v_fma_f32 v2, v5, s2, -v1
	v_rndne_f32_e32 v3, v1
	v_fmac_f32_e32 v2, 0x32a5705f, v5
	v_sub_f32_e32 v1, v1, v3
	v_add_f32_e32 v1, v1, v2
	v_exp_f32_e32 v1, v1
	v_cvt_i32_f32_e32 v2, v3
	v_cmp_ngt_f32_e32 vcc, s4, v5
	v_sub_f32_e32 v9, v9, v24
	v_sub_f32_e32 v10, v10, v24
	v_ldexp_f32 v1, v1, v2
	v_cndmask_b32_e32 v1, 0, v1, vcc
	v_cmp_nlt_f32_e32 vcc, s3, v5
	v_cndmask_b32_e32 v1, v18, v1, vcc
	v_add_f32_e32 v0, v0, v1
	v_mul_f32_e32 v1, 0x3fb8aa3b, v6
	v_fma_f32 v2, v6, s2, -v1
	v_rndne_f32_e32 v3, v1
	v_fmac_f32_e32 v2, 0x32a5705f, v6
	v_sub_f32_e32 v1, v1, v3
	v_add_f32_e32 v1, v1, v2
	v_exp_f32_e32 v1, v1
	v_cvt_i32_f32_e32 v2, v3
	v_cmp_ngt_f32_e32 vcc, s4, v6
	v_sub_f32_e32 v11, v11, v24
	v_sub_f32_e32 v12, v12, v24
	v_ldexp_f32 v1, v1, v2
	v_cndmask_b32_e32 v1, 0, v1, vcc
	v_cmp_nlt_f32_e32 vcc, s3, v6
	v_cndmask_b32_e32 v1, v18, v1, vcc
	v_add_f32_e32 v0, v0, v1
	v_mul_f32_e32 v1, 0x3fb8aa3b, v7
	v_fma_f32 v2, v7, s2, -v1
	v_rndne_f32_e32 v3, v1
	v_fmac_f32_e32 v2, 0x32a5705f, v7
	v_sub_f32_e32 v1, v1, v3
	v_add_f32_e32 v1, v1, v2
	v_exp_f32_e32 v1, v1
	v_cvt_i32_f32_e32 v2, v3
	v_cmp_ngt_f32_e32 vcc, s4, v7
	v_ldexp_f32 v1, v1, v2
	v_mul_f32_e32 v2, 0x3fb8aa3b, v8
	v_fma_f32 v3, v8, s2, -v2
	v_rndne_f32_e32 v4, v2
	v_fmac_f32_e32 v3, 0x32a5705f, v8
	v_sub_f32_e32 v2, v2, v4
	v_add_f32_e32 v2, v2, v3
	v_exp_f32_e32 v2, v2
	v_cvt_i32_f32_e32 v3, v4
	v_cndmask_b32_e32 v1, 0, v1, vcc
	v_cmp_nlt_f32_e32 vcc, s3, v7
	v_cndmask_b32_e32 v1, v18, v1, vcc
	v_add_f32_e32 v0, v0, v1
	v_ldexp_f32 v1, v2, v3
	v_mul_f32_e32 v2, 0x3fb8aa3b, v9
	v_fma_f32 v3, v9, s2, -v2
	v_rndne_f32_e32 v4, v2
	v_fmac_f32_e32 v3, 0x32a5705f, v9
	v_sub_f32_e32 v2, v2, v4
	v_add_f32_e32 v2, v2, v3
	v_exp_f32_e32 v2, v2
	v_cvt_i32_f32_e32 v3, v4
	v_cmp_ngt_f32_e32 vcc, s4, v8
	v_cndmask_b32_e32 v1, 0, v1, vcc
	v_cmp_nlt_f32_e32 vcc, s3, v8
	v_cndmask_b32_e32 v1, v18, v1, vcc
	v_add_f32_e32 v0, v0, v1
	v_ldexp_f32 v1, v2, v3
	v_mul_f32_e32 v2, 0x3fb8aa3b, v10
	v_fma_f32 v3, v10, s2, -v2
	v_rndne_f32_e32 v4, v2
	v_fmac_f32_e32 v3, 0x32a5705f, v10
	v_sub_f32_e32 v2, v2, v4
	v_add_f32_e32 v2, v2, v3
	v_exp_f32_e32 v2, v2
	v_cvt_i32_f32_e32 v3, v4
	v_cmp_ngt_f32_e32 vcc, s4, v9
	;; [unrolled: 14-line block ×4, first 2 shown]
	v_cndmask_b32_e32 v1, 0, v1, vcc
	v_cmp_nlt_f32_e32 vcc, s3, v11
	v_cndmask_b32_e32 v1, v18, v1, vcc
	v_add_f32_e32 v0, v0, v1
	v_ldexp_f32 v1, v2, v3
	v_sub_f32_e32 v2, v13, v24
	v_mul_f32_e32 v3, 0x3fb8aa3b, v2
	v_fma_f32 v4, v2, s2, -v3
	v_rndne_f32_e32 v5, v3
	v_fmac_f32_e32 v4, 0x32a5705f, v2
	v_sub_f32_e32 v3, v3, v5
	v_add_f32_e32 v3, v3, v4
	v_exp_f32_e32 v3, v3
	v_cvt_i32_f32_e32 v4, v5
	v_cmp_ngt_f32_e32 vcc, s4, v12
	v_cndmask_b32_e32 v1, 0, v1, vcc
	v_cmp_nlt_f32_e32 vcc, s3, v12
	v_cndmask_b32_e32 v1, v18, v1, vcc
	v_add_f32_e32 v0, v0, v1
	v_ldexp_f32 v1, v3, v4
	v_sub_f32_e32 v3, v14, v24
	v_mul_f32_e32 v4, 0x3fb8aa3b, v3
	v_fma_f32 v5, v3, s2, -v4
	v_rndne_f32_e32 v6, v4
	v_fmac_f32_e32 v5, 0x32a5705f, v3
	v_sub_f32_e32 v4, v4, v6
	v_add_f32_e32 v4, v4, v5
	v_exp_f32_e32 v4, v4
	v_cvt_i32_f32_e32 v5, v6
	v_cmp_ngt_f32_e32 vcc, s4, v2
	v_cndmask_b32_e32 v1, 0, v1, vcc
	v_cmp_nlt_f32_e32 vcc, s3, v2
	v_cndmask_b32_e32 v1, v18, v1, vcc
	v_sub_f32_e32 v2, v15, v24
	v_add_f32_e32 v0, v0, v1
	v_ldexp_f32 v1, v4, v5
	v_mul_f32_e32 v4, 0x3fb8aa3b, v2
	v_fma_f32 v5, v2, s2, -v4
	v_rndne_f32_e32 v6, v4
	v_fmac_f32_e32 v5, 0x32a5705f, v2
	v_sub_f32_e32 v4, v4, v6
	v_add_f32_e32 v4, v4, v5
	v_exp_f32_e32 v4, v4
	v_cvt_i32_f32_e32 v5, v6
	v_cmp_ngt_f32_e32 vcc, s4, v3
	v_cndmask_b32_e32 v1, 0, v1, vcc
	v_cmp_nlt_f32_e32 vcc, s3, v3
	v_cndmask_b32_e32 v1, v18, v1, vcc
	v_add_f32_e32 v0, v0, v1
	v_ldexp_f32 v1, v4, v5
	v_cmp_ngt_f32_e32 vcc, s4, v2
	v_cndmask_b32_e32 v1, 0, v1, vcc
	v_cmp_nlt_f32_e32 vcc, s3, v2
	v_cndmask_b32_e32 v1, v18, v1, vcc
	v_add_f32_e32 v0, v0, v1
	v_cmp_eq_u32_e32 vcc, 0, v23
	s_nop 0
	v_mov_b32_dpp v1, v0 quad_perm:[1,0,3,2] row_mask:0xf bank_mask:0xf
	v_add_f32_e32 v0, v0, v1
	s_nop 1
	v_mov_b32_dpp v1, v0 quad_perm:[2,3,0,1] row_mask:0xf bank_mask:0xf
	s_and_b64 exec, exec, vcc
	s_cbranch_execz .LBB167_29
; %bb.17:
	v_add_f32_e32 v0, v0, v1
	v_add_f32_e32 v0, v25, v0
	v_cmp_neq_f32_e32 vcc, 0, v0
	s_and_b64 exec, exec, vcc
	s_cbranch_execz .LBB167_29
; %bb.18:
	s_andn2_b64 vcc, exec, s[44:45]
	s_cbranch_vccnz .LBB167_29
; %bb.19:
	v_div_scale_f32 v1, s[0:1], v0, v0, 1.0
	v_rcp_f32_e32 v2, v1
	v_div_scale_f32 v3, vcc, 1.0, v0, 1.0
	s_cmp_gt_u32 s36, 3
	v_fma_f32 v4, -v1, v2, 1.0
	v_fmac_f32_e32 v2, v4, v2
	v_mul_f32_e32 v4, v3, v2
	v_fma_f32 v5, -v1, v4, v3
	v_fmac_f32_e32 v4, v5, v2
	v_fma_f32 v1, -v1, v4, v3
	v_div_fmas_f32 v1, v1, v2, v4
	v_mul_lo_u32 v2, v22, s39
	v_div_fixup_f32 v0, v1, v0, 1.0
	v_ashrrev_i32_e32 v3, 31, v2
	s_cbranch_scc0 .LBB167_23
; %bb.20:
	v_lshlrev_b64 v[4:5], 2, v[2:3]
	v_mov_b32_e32 v6, s35
	v_add_co_u32_e32 v4, vcc, s34, v4
	v_addc_co_u32_e32 v5, vcc, v5, v6, vcc
	s_and_b32 s4, s36, 0x7ffffffc
	v_add_co_u32_e32 v4, vcc, 8, v4
	v_mov_b32_e32 v1, v0
	v_addc_co_u32_e32 v5, vcc, 0, v5, vcc
	s_mov_b32 s0, s4
.LBB167_21:                             ; =>This Inner Loop Header: Depth=1
	global_load_dwordx4 v[6:9], v[4:5], off offset:-8
	s_add_i32 s0, s0, -4
	s_cmp_lg_u32 s0, 0
	s_waitcnt vmcnt(0)
	v_pk_mul_f32 v[6:7], v[0:1], v[6:7]
	v_pk_mul_f32 v[8:9], v[0:1], v[8:9]
	global_store_dwordx4 v[4:5], v[6:9], off offset:-8
	v_add_co_u32_e32 v4, vcc, 16, v4
	v_addc_co_u32_e32 v5, vcc, 0, v5, vcc
	s_cbranch_scc1 .LBB167_21
; %bb.22:
	s_cmp_lg_u32 s4, s36
	s_mov_b64 s[2:3], 0
	s_cselect_b64 s[0:1], -1, 0
	s_branch .LBB167_24
.LBB167_23:
	s_mov_b64 s[2:3], -1
	s_mov_b64 s[0:1], 0
                                        ; implicit-def: $sgpr4
.LBB167_24:
	s_and_b64 vcc, exec, s[2:3]
	s_cbranch_vccz .LBB167_26
; %bb.25:
	s_mov_b64 s[0:1], -1
	s_mov_b32 s4, 0
.LBB167_26:
	s_andn2_b64 vcc, exec, s[0:1]
	s_cbranch_vccnz .LBB167_29
; %bb.27:
	v_add_co_u32_e32 v2, vcc, s4, v2
	v_addc_co_u32_e32 v3, vcc, 0, v3, vcc
	v_lshlrev_b64 v[2:3], 2, v[2:3]
	v_mov_b32_e32 v1, s35
	v_add_co_u32_e32 v2, vcc, s34, v2
	s_sub_i32 s0, s36, s4
	v_addc_co_u32_e32 v3, vcc, v1, v3, vcc
.LBB167_28:                             ; =>This Inner Loop Header: Depth=1
	global_load_dword v1, v[2:3], off
	s_add_i32 s0, s0, -1
	s_cmp_lg_u32 s0, 0
	s_waitcnt vmcnt(0)
	v_mul_f32_e32 v1, v0, v1
	global_store_dword v[2:3], v1, off
	v_add_co_u32_e32 v2, vcc, 4, v2
	v_addc_co_u32_e32 v3, vcc, 0, v3, vcc
	s_cbranch_scc1 .LBB167_28
.LBB167_29:
	s_endpgm
	.section	.rodata,"a",@progbits
	.p2align	6, 0x0
	.amdhsa_kernel _ZN4vllm3moe17topkGatingSoftmaxIDF16_Li16ELi64ELi8ELi32ELb0ELi0ELNS0_23SharedExpertScoringFuncE0EEEvPKT_PKbPfiPiS9_iiiiii
		.amdhsa_group_segment_fixed_size 0
		.amdhsa_private_segment_fixed_size 0
		.amdhsa_kernarg_size 72
		.amdhsa_user_sgpr_count 6
		.amdhsa_user_sgpr_private_segment_buffer 1
		.amdhsa_user_sgpr_dispatch_ptr 0
		.amdhsa_user_sgpr_queue_ptr 0
		.amdhsa_user_sgpr_kernarg_segment_ptr 1
		.amdhsa_user_sgpr_dispatch_id 0
		.amdhsa_user_sgpr_flat_scratch_init 0
		.amdhsa_user_sgpr_kernarg_preload_length 0
		.amdhsa_user_sgpr_kernarg_preload_offset 0
		.amdhsa_user_sgpr_private_segment_size 0
		.amdhsa_uses_dynamic_stack 0
		.amdhsa_system_sgpr_private_segment_wavefront_offset 0
		.amdhsa_system_sgpr_workgroup_id_x 1
		.amdhsa_system_sgpr_workgroup_id_y 0
		.amdhsa_system_sgpr_workgroup_id_z 0
		.amdhsa_system_sgpr_workgroup_info 0
		.amdhsa_system_vgpr_workitem_id 1
		.amdhsa_next_free_vgpr 49
		.amdhsa_next_free_sgpr 54
		.amdhsa_accum_offset 52
		.amdhsa_reserve_vcc 1
		.amdhsa_reserve_flat_scratch 0
		.amdhsa_float_round_mode_32 0
		.amdhsa_float_round_mode_16_64 0
		.amdhsa_float_denorm_mode_32 3
		.amdhsa_float_denorm_mode_16_64 3
		.amdhsa_dx10_clamp 1
		.amdhsa_ieee_mode 1
		.amdhsa_fp16_overflow 0
		.amdhsa_tg_split 0
		.amdhsa_exception_fp_ieee_invalid_op 0
		.amdhsa_exception_fp_denorm_src 0
		.amdhsa_exception_fp_ieee_div_zero 0
		.amdhsa_exception_fp_ieee_overflow 0
		.amdhsa_exception_fp_ieee_underflow 0
		.amdhsa_exception_fp_ieee_inexact 0
		.amdhsa_exception_int_div_zero 0
	.end_amdhsa_kernel
	.section	.text._ZN4vllm3moe17topkGatingSoftmaxIDF16_Li16ELi64ELi8ELi32ELb0ELi0ELNS0_23SharedExpertScoringFuncE0EEEvPKT_PKbPfiPiS9_iiiiii,"axG",@progbits,_ZN4vllm3moe17topkGatingSoftmaxIDF16_Li16ELi64ELi8ELi32ELb0ELi0ELNS0_23SharedExpertScoringFuncE0EEEvPKT_PKbPfiPiS9_iiiiii,comdat
.Lfunc_end167:
	.size	_ZN4vllm3moe17topkGatingSoftmaxIDF16_Li16ELi64ELi8ELi32ELb0ELi0ELNS0_23SharedExpertScoringFuncE0EEEvPKT_PKbPfiPiS9_iiiiii, .Lfunc_end167-_ZN4vllm3moe17topkGatingSoftmaxIDF16_Li16ELi64ELi8ELi32ELb0ELi0ELNS0_23SharedExpertScoringFuncE0EEEvPKT_PKbPfiPiS9_iiiiii
                                        ; -- End function
	.section	.AMDGPU.csdata,"",@progbits
; Kernel info:
; codeLenInByte = 4248
; NumSgprs: 58
; NumVgprs: 49
; NumAgprs: 0
; TotalNumVgprs: 49
; ScratchSize: 0
; MemoryBound: 0
; FloatMode: 240
; IeeeMode: 1
; LDSByteSize: 0 bytes/workgroup (compile time only)
; SGPRBlocks: 7
; VGPRBlocks: 6
; NumSGPRsForWavesPerEU: 58
; NumVGPRsForWavesPerEU: 49
; AccumOffset: 52
; Occupancy: 8
; WaveLimiterHint : 0
; COMPUTE_PGM_RSRC2:SCRATCH_EN: 0
; COMPUTE_PGM_RSRC2:USER_SGPR: 6
; COMPUTE_PGM_RSRC2:TRAP_HANDLER: 0
; COMPUTE_PGM_RSRC2:TGID_X_EN: 1
; COMPUTE_PGM_RSRC2:TGID_Y_EN: 0
; COMPUTE_PGM_RSRC2:TGID_Z_EN: 0
; COMPUTE_PGM_RSRC2:TIDIG_COMP_CNT: 1
; COMPUTE_PGM_RSRC3_GFX90A:ACCUM_OFFSET: 12
; COMPUTE_PGM_RSRC3_GFX90A:TG_SPLIT: 0
	.section	.text._ZN4vllm3moe17topkGatingSoftmaxIDF16_Li16ELi64ELi8ELi32ELb1ELi1ELNS0_23SharedExpertScoringFuncE1EEEvPKT_PKbPfiPiS9_iiiiii,"axG",@progbits,_ZN4vllm3moe17topkGatingSoftmaxIDF16_Li16ELi64ELi8ELi32ELb1ELi1ELNS0_23SharedExpertScoringFuncE1EEEvPKT_PKbPfiPiS9_iiiiii,comdat
	.protected	_ZN4vllm3moe17topkGatingSoftmaxIDF16_Li16ELi64ELi8ELi32ELb1ELi1ELNS0_23SharedExpertScoringFuncE1EEEvPKT_PKbPfiPiS9_iiiiii ; -- Begin function _ZN4vllm3moe17topkGatingSoftmaxIDF16_Li16ELi64ELi8ELi32ELb1ELi1ELNS0_23SharedExpertScoringFuncE1EEEvPKT_PKbPfiPiS9_iiiiii
	.globl	_ZN4vllm3moe17topkGatingSoftmaxIDF16_Li16ELi64ELi8ELi32ELb1ELi1ELNS0_23SharedExpertScoringFuncE1EEEvPKT_PKbPfiPiS9_iiiiii
	.p2align	8
	.type	_ZN4vllm3moe17topkGatingSoftmaxIDF16_Li16ELi64ELi8ELi32ELb1ELi1ELNS0_23SharedExpertScoringFuncE1EEEvPKT_PKbPfiPiS9_iiiiii,@function
_ZN4vllm3moe17topkGatingSoftmaxIDF16_Li16ELi64ELi8ELi32ELb1ELi1ELNS0_23SharedExpertScoringFuncE1EEEvPKT_PKbPfiPiS9_iiiiii: ; @_ZN4vllm3moe17topkGatingSoftmaxIDF16_Li16ELi64ELi8ELi32ELb1ELi1ELNS0_23SharedExpertScoringFuncE1EEEvPKT_PKbPfiPiS9_iiiiii
; %bb.0:
	s_load_dword s33, s[4:5], 0x18
	v_bfe_u32 v1, v0, 10, 10
	v_and_b32_e32 v2, 0x3ff, v0
	s_lshl_b32 s50, s6, 7
	v_lshlrev_b32_e32 v41, 4, v1
	v_lshrrev_b32_e32 v42, 2, v2
	v_add3_u32 v22, s50, v41, v42
	s_waitcnt lgkmcnt(0)
	v_cmp_gt_i32_e32 vcc, s33, v22
	s_and_saveexec_b64 s[0:1], vcc
	s_cbranch_execz .LBB168_29
; %bb.1:
	s_load_dwordx4 s[0:3], s[4:5], 0x0
	s_load_dwordx2 s[34:35], s[4:5], 0x10
	s_waitcnt lgkmcnt(0)
	s_cmp_eq_u64 s[2:3], 0
	s_cbranch_scc1 .LBB168_3
; %bb.2:
	v_ashrrev_i32_e32 v1, 31, v22
	v_mov_b32_e32 v3, s3
	v_add_co_u32_e32 v0, vcc, s2, v22
	v_addc_co_u32_e32 v1, vcc, v3, v1, vcc
	global_load_ubyte v0, v[0:1], off
	s_waitcnt vmcnt(0)
	v_and_b32_e32 v0, 1, v0
	v_cmp_eq_u32_e32 vcc, 1, v0
	s_xor_b64 s[2:3], vcc, -1
	s_orn2_b64 s[44:45], s[2:3], exec
	s_branch .LBB168_4
.LBB168_3:
	s_mov_b64 s[44:45], -1
.LBB168_4:
	s_load_dwordx2 s[8:9], s[4:5], 0x40
	s_load_dwordx4 s[36:39], s[4:5], 0x30
	v_mov_b32_e32 v3, s1
	v_and_b32_e32 v23, 3, v2
	v_lshlrev_b32_e32 v2, 5, v23
	s_waitcnt lgkmcnt(0)
	v_mul_lo_u32 v0, v22, s9
	v_ashrrev_i32_e32 v1, 31, v0
	v_lshlrev_b64 v[0:1], 1, v[0:1]
	v_add_co_u32_e32 v0, vcc, s0, v0
	v_addc_co_u32_e32 v1, vcc, v3, v1, vcc
	v_add_co_u32_e32 v2, vcc, v0, v2
	v_addc_co_u32_e32 v3, vcc, 0, v1, vcc
	global_load_dwordx4 v[12:15], v[2:3], off offset:16
	global_load_dwordx4 v[4:7], v[2:3], off
	v_lshlrev_b32_e32 v25, 4, v23
	v_mov_b32_e32 v24, 0
	v_cmp_eq_u32_e64 s[0:1], 0, v23
	s_and_saveexec_b64 s[2:3], s[0:1]
	s_cbranch_execz .LBB168_6
; %bb.5:
	global_load_ushort v0, v[0:1], off offset:128
	s_mov_b32 s6, 0x3fb8aa3b
	s_mov_b32 s7, 0x32a5705f
	;; [unrolled: 1-line block ×4, first 2 shown]
	v_mov_b32_e32 v3, 0x7f800000
	v_mul_lo_u32 v1, v22, s39
	s_waitcnt vmcnt(0)
	v_cvt_f32_f16_e64 v2, -v0
	v_mul_f32_e32 v8, 0x3fb8aa3b, v2
	v_rndne_f32_e32 v9, v8
	v_fma_mix_f32 v10, -v0, s6, -v8 op_sel_hi:[1,0,0]
	v_sub_f32_e32 v8, v8, v9
	v_fma_mix_f32 v0, -v0, s7, v10 op_sel_hi:[1,0,0]
	v_add_f32_e32 v0, v8, v0
	v_cvt_i32_f32_e32 v9, v9
	v_exp_f32_e32 v8, v0
	v_cmp_ngt_f32_e32 vcc, s9, v2
	v_add_u32_e32 v0, s36, v1
	v_ashrrev_i32_e32 v1, 31, v0
	v_ldexp_f32 v8, v8, v9
	v_cndmask_b32_e32 v8, 0, v8, vcc
	v_cmp_nlt_f32_e32 vcc, s10, v2
	v_cndmask_b32_e32 v2, v3, v8, vcc
	v_add_f32_e32 v2, 1.0, v2
	v_div_scale_f32 v3, s[6:7], v2, v2, 1.0
	v_rcp_f32_e32 v8, v3
	v_div_scale_f32 v9, vcc, 1.0, v2, 1.0
	v_lshlrev_b64 v[0:1], 2, v[0:1]
	v_fma_f32 v11, -v3, v8, 1.0
	v_fmac_f32_e32 v8, v11, v8
	v_mul_f32_e32 v11, v9, v8
	v_fma_f32 v16, -v3, v11, v9
	v_fmac_f32_e32 v11, v16, v8
	v_fma_f32 v3, -v3, v11, v9
	v_mov_b32_e32 v10, s35
	v_div_fmas_f32 v3, v3, v8, v11
	v_add_co_u32_e32 v0, vcc, s34, v0
	v_div_fixup_f32 v2, v3, v2, 1.0
	v_addc_co_u32_e32 v1, vcc, v10, v1, vcc
	global_store_dword v[0:1], v2, off
.LBB168_6:
	s_or_b64 exec, exec, s[2:3]
	s_waitcnt vmcnt(0)
	v_cvt_f32_f16_e32 v0, v4
	v_cvt_f32_f16_sdwa v1, v4 dst_sel:DWORD dst_unused:UNUSED_PAD src0_sel:WORD_1
	v_cvt_f32_f16_e32 v2, v5
	v_cmp_lt_f16_sdwa vcc, v4, v4 src0_sel:DWORD src1_sel:WORD_1
	v_or_b32_e32 v26, 1, v25
	v_cndmask_b32_e32 v4, v0, v1, vcc
	v_cndmask_b32_e32 v3, v25, v26, vcc
	v_or_b32_e32 v27, 2, v25
	v_cmp_lt_f32_e32 vcc, v4, v2
	v_cndmask_b32_e32 v8, v3, v27, vcc
	v_cvt_f32_f16_sdwa v3, v5 dst_sel:DWORD dst_unused:UNUSED_PAD src0_sel:WORD_1
	v_cndmask_b32_e32 v4, v4, v2, vcc
	v_or_b32_e32 v28, 3, v25
	v_or_b32_e32 v29, 4, v25
	v_cmp_lt_f32_e32 vcc, v4, v3
	v_cndmask_b32_e32 v5, v8, v28, vcc
	v_cndmask_b32_e32 v8, v4, v3, vcc
	v_cvt_f32_f16_e32 v4, v6
	v_or_b32_e32 v30, 5, v25
	v_or_b32_e32 v31, 6, v25
	;; [unrolled: 1-line block ×3, first 2 shown]
	v_cmp_lt_f32_e32 vcc, v8, v4
	v_cndmask_b32_e32 v9, v5, v29, vcc
	v_cvt_f32_f16_sdwa v5, v6 dst_sel:DWORD dst_unused:UNUSED_PAD src0_sel:WORD_1
	v_cvt_f32_f16_e32 v6, v7
	v_cndmask_b32_e32 v8, v8, v4, vcc
	v_cvt_f32_f16_sdwa v7, v7 dst_sel:DWORD dst_unused:UNUSED_PAD src0_sel:WORD_1
	v_cmp_lt_f32_e32 vcc, v8, v5
	v_cndmask_b32_e32 v8, v8, v5, vcc
	v_cndmask_b32_e32 v9, v9, v30, vcc
	v_cmp_lt_f32_e32 vcc, v8, v6
	v_cndmask_b32_e32 v8, v8, v6, vcc
	v_cndmask_b32_e32 v9, v9, v31, vcc
	v_cmp_lt_f32_e32 vcc, v8, v7
	v_cndmask_b32_e32 v10, v8, v7, vcc
	v_cvt_f32_f16_e32 v8, v12
	v_cndmask_b32_e32 v9, v9, v32, vcc
	v_or_b32_e32 v33, 8, v25
	v_or_b32_e32 v34, 9, v25
	v_cmp_lt_f32_e32 vcc, v10, v8
	v_cndmask_b32_e32 v11, v9, v33, vcc
	v_cvt_f32_f16_sdwa v9, v12 dst_sel:DWORD dst_unused:UNUSED_PAD src0_sel:WORD_1
	v_cndmask_b32_e32 v10, v10, v8, vcc
	v_or_b32_e32 v35, 10, v25
	v_or_b32_e32 v36, 11, v25
	v_cmp_lt_f32_e32 vcc, v10, v9
	v_cndmask_b32_e32 v12, v10, v9, vcc
	v_cvt_f32_f16_e32 v10, v13
	v_cndmask_b32_e32 v11, v11, v34, vcc
	v_or_b32_e32 v37, 12, v25
	v_or_b32_e32 v38, 13, v25
	v_cmp_lt_f32_e32 vcc, v12, v10
	v_cndmask_b32_e32 v16, v11, v35, vcc
	v_cvt_f32_f16_sdwa v11, v13 dst_sel:DWORD dst_unused:UNUSED_PAD src0_sel:WORD_1
	v_cndmask_b32_e32 v12, v12, v10, vcc
	v_or_b32_e32 v39, 14, v25
	v_or_b32_e32 v40, 15, v25
	v_cmp_lt_f32_e32 vcc, v12, v11
	v_cndmask_b32_e32 v13, v16, v36, vcc
	v_cndmask_b32_e32 v16, v12, v11, vcc
	v_cvt_f32_f16_e32 v12, v14
	v_cmp_lt_f32_e32 vcc, v16, v12
	v_cndmask_b32_e32 v17, v13, v37, vcc
	v_cvt_f32_f16_sdwa v13, v14 dst_sel:DWORD dst_unused:UNUSED_PAD src0_sel:WORD_1
	v_cvt_f32_f16_e32 v14, v15
	v_cndmask_b32_e32 v16, v16, v12, vcc
	v_cvt_f32_f16_sdwa v15, v15 dst_sel:DWORD dst_unused:UNUSED_PAD src0_sel:WORD_1
	v_cmp_lt_f32_e32 vcc, v16, v13
	v_cndmask_b32_e32 v16, v16, v13, vcc
	v_cndmask_b32_e32 v17, v17, v38, vcc
	v_cmp_lt_f32_e32 vcc, v16, v14
	v_cndmask_b32_e32 v16, v16, v14, vcc
	v_cndmask_b32_e32 v17, v17, v39, vcc
	;; [unrolled: 3-line block ×3, first 2 shown]
	s_nop 0
	v_mov_b32_dpp v19, v17 quad_perm:[1,0,3,2] row_mask:0xf bank_mask:0xf
	v_mov_b32_dpp v18, v16 quad_perm:[1,0,3,2] row_mask:0xf bank_mask:0xf
	v_cmp_eq_f32_e64 s[2:3], v16, v18
	v_cmp_lt_i32_e64 s[6:7], v19, v17
	v_cmp_lt_f32_e32 vcc, v16, v18
	s_and_b64 s[2:3], s[2:3], s[6:7]
	s_or_b64 vcc, vcc, s[2:3]
	s_cmp_gt_i32 s36, 0
	v_cndmask_b32_e32 v16, v16, v18, vcc
	v_cndmask_b32_e32 v17, v17, v19, vcc
	s_cselect_b64 s[46:47], -1, 0
	s_and_b64 vcc, exec, s[46:47]
	v_mov_b32_dpp v18, v17 quad_perm:[2,3,0,1] row_mask:0xf bank_mask:0xf
	v_mov_b32_dpp v19, v16 quad_perm:[2,3,0,1] row_mask:0xf bank_mask:0xf
	s_cbranch_vccz .LBB168_18
; %bb.7:
	s_load_dwordx4 s[40:43], s[4:5], 0x20
	v_cmp_eq_f32_e64 s[2:3], v16, v19
	v_cmp_lt_i32_e64 s[6:7], v18, v17
	v_cmp_lt_f32_e32 vcc, v16, v19
	s_and_b64 s[2:3], s[2:3], s[6:7]
	s_or_b64 vcc, vcc, s[2:3]
	v_cndmask_b32_e32 v44, v17, v18, vcc
	v_cndmask_b32_e32 v43, v16, v19, vcc
	v_mul_lo_u32 v20, v22, s39
	v_mul_lo_u32 v18, v22, s8
	;; [unrolled: 1-line block ×3, first 2 shown]
	v_mov_b32_e32 v24, 0
	s_and_saveexec_b64 s[4:5], s[0:1]
	s_cbranch_execz .LBB168_9
; %bb.8:
	v_sub_f32_e32 v17, v43, v43
	v_mul_f32_e32 v19, 0x3fb8aa3b, v17
	s_mov_b32 s2, 0x3fb8aa3b
	v_rndne_f32_e32 v21, v19
	v_sub_f32_e32 v24, v19, v21
	v_fma_f32 v19, v17, s2, -v19
	v_fmac_f32_e32 v19, 0x32a5705f, v17
	v_add_f32_e32 v19, v24, v19
	v_exp_f32_e32 v19, v19
	v_cvt_i32_f32_e32 v21, v21
	v_cmp_le_i32_e32 vcc, s37, v44
	v_cmp_gt_i32_e64 s[2:3], s38, v44
	s_mov_b32 s6, 0xc2ce8ed0
	s_and_b64 s[2:3], vcc, s[2:3]
	v_ldexp_f32 v19, v19, v21
	v_cmp_ngt_f32_e32 vcc, s6, v17
	s_mov_b32 s6, 0x42b17218
	v_cndmask_b32_e32 v19, 0, v19, vcc
	v_mov_b32_e32 v21, 0x7f800000
	v_cmp_nlt_f32_e32 vcc, s6, v17
	v_cndmask_b32_e32 v24, v21, v19, vcc
	v_ashrrev_i32_e32 v21, 31, v20
	v_lshlrev_b64 v[46:47], 2, v[20:21]
	v_mov_b32_e32 v17, s35
	v_add_co_u32_e32 v46, vcc, s34, v46
	v_addc_co_u32_e32 v47, vcc, v17, v47, vcc
	v_ashrrev_i32_e32 v19, 31, v18
	global_store_dword v[46:47], v24, off
	v_subrev_u32_e32 v17, s37, v44
	s_and_b64 vcc, s[44:45], s[2:3]
	v_lshlrev_b64 v[46:47], 2, v[18:19]
	v_cndmask_b32_e32 v17, 64, v17, vcc
	s_waitcnt lgkmcnt(0)
	v_mov_b32_e32 v19, s41
	v_add_co_u32_e32 v46, vcc, s40, v46
	v_addc_co_u32_e32 v47, vcc, v19, v47, vcc
	global_store_dword v[46:47], v17, off
	v_ashrrev_i32_e32 v17, 31, v16
	v_lshlrev_b64 v[46:47], 2, v[16:17]
	v_mov_b32_e32 v17, s43
	v_add_co_u32_e32 v46, vcc, s42, v46
	v_addc_co_u32_e32 v47, vcc, v17, v47, vcc
	global_store_dword v[46:47], v22, off
.LBB168_9:
	s_or_b64 exec, exec, s[4:5]
	v_ashrrev_i32_e32 v19, 31, v44
	v_lshrrev_b32_e32 v17, 28, v19
	v_add_u32_e32 v17, v44, v17
	v_ashrrev_i32_e32 v17, 4, v17
	v_lshrrev_b32_e32 v21, 30, v17
	v_add_u32_e32 v21, v17, v21
	v_and_b32_e32 v21, -4, v21
	v_sub_u32_e32 v21, v17, v21
	v_cmp_eq_u32_e32 vcc, v23, v21
	s_and_saveexec_b64 s[48:49], vcc
	s_cbranch_execz .LBB168_11
; %bb.10:
	v_lshrrev_b32_e32 v19, 26, v19
	v_add_u32_e32 v19, v44, v19
	v_lshlrev_b32_e32 v17, 4, v17
	v_sub_u32_e32 v17, v44, v17
	v_ashrrev_i32_e32 v19, 6, v19
	v_lshl_add_u32 v17, v19, 4, v17
	v_mov_b32_e32 v19, 0xff800000
	v_cmp_ne_u32_e32 vcc, 14, v17
	v_cmp_ne_u32_e64 s[2:3], 13, v17
	v_cmp_ne_u32_e64 s[4:5], 12, v17
	;; [unrolled: 1-line block ×15, first 2 shown]
	v_cndmask_b32_e64 v15, v19, v15, s[30:31]
	v_cndmask_b32_e32 v14, v19, v14, vcc
	v_cndmask_b32_e64 v13, v19, v13, s[2:3]
	v_cndmask_b32_e64 v12, v19, v12, s[4:5]
	;; [unrolled: 1-line block ×14, first 2 shown]
.LBB168_11:
	s_or_b64 exec, exec, s[48:49]
	s_cmp_eq_u32 s36, 1
	s_cbranch_scc1 .LBB168_18
; %bb.12:
	s_add_i32 s50, s50, s33
	s_add_i32 s51, s36, -1
	v_add3_u32 v41, s50, v42, v41
	v_add_u32_e32 v16, 1, v16
	v_add_u32_e32 v18, 1, v18
	;; [unrolled: 1-line block ×3, first 2 shown]
	s_mov_b32 s50, 0x3fb8aa3b
	s_mov_b32 s52, 0xc2ce8ed0
	;; [unrolled: 1-line block ×3, first 2 shown]
	v_mov_b32_e32 v42, 0x7f800000
	v_mov_b32_e32 v44, 0xff800000
	s_branch .LBB168_14
.LBB168_13:                             ;   in Loop: Header=BB168_14 Depth=1
	s_or_b64 exec, exec, s[48:49]
	s_add_i32 s51, s51, -1
	v_add_u32_e32 v41, s33, v41
	v_add_u32_e32 v16, 1, v16
	v_add_u32_e32 v18, 1, v18
	s_cmp_eq_u32 s51, 0
	v_add_u32_e32 v20, 1, v20
	s_cbranch_scc1 .LBB168_18
.LBB168_14:                             ; =>This Inner Loop Header: Depth=1
	v_cmp_gt_f32_e32 vcc, v1, v0
	v_cndmask_b32_e32 v19, v0, v1, vcc
	v_cndmask_b32_e32 v17, v25, v26, vcc
	v_cmp_gt_f32_e32 vcc, v2, v19
	v_cndmask_b32_e32 v19, v19, v2, vcc
	v_cndmask_b32_e32 v17, v17, v27, vcc
	v_cmp_gt_f32_e32 vcc, v3, v19
	v_cndmask_b32_e32 v19, v19, v3, vcc
	v_cndmask_b32_e32 v17, v17, v28, vcc
	v_cmp_gt_f32_e32 vcc, v4, v19
	v_cndmask_b32_e32 v19, v19, v4, vcc
	v_cndmask_b32_e32 v17, v17, v29, vcc
	v_cmp_gt_f32_e32 vcc, v5, v19
	v_cndmask_b32_e32 v19, v19, v5, vcc
	v_cndmask_b32_e32 v17, v17, v30, vcc
	v_cmp_gt_f32_e32 vcc, v6, v19
	v_cndmask_b32_e32 v19, v19, v6, vcc
	v_cndmask_b32_e32 v17, v17, v31, vcc
	v_cmp_gt_f32_e32 vcc, v7, v19
	v_cndmask_b32_e32 v19, v19, v7, vcc
	v_cndmask_b32_e32 v17, v17, v32, vcc
	v_cmp_gt_f32_e32 vcc, v8, v19
	v_cndmask_b32_e32 v19, v19, v8, vcc
	v_cndmask_b32_e32 v17, v17, v33, vcc
	v_cmp_gt_f32_e32 vcc, v9, v19
	v_cndmask_b32_e32 v19, v19, v9, vcc
	v_cndmask_b32_e32 v17, v17, v34, vcc
	v_cmp_gt_f32_e32 vcc, v10, v19
	v_cndmask_b32_e32 v19, v19, v10, vcc
	v_cndmask_b32_e32 v17, v17, v35, vcc
	v_cmp_gt_f32_e32 vcc, v11, v19
	v_cndmask_b32_e32 v19, v19, v11, vcc
	v_cndmask_b32_e32 v17, v17, v36, vcc
	v_cmp_gt_f32_e32 vcc, v12, v19
	v_cndmask_b32_e32 v19, v19, v12, vcc
	v_cndmask_b32_e32 v17, v17, v37, vcc
	v_cmp_gt_f32_e32 vcc, v13, v19
	v_cndmask_b32_e32 v19, v19, v13, vcc
	v_cndmask_b32_e32 v17, v17, v38, vcc
	v_cmp_gt_f32_e32 vcc, v14, v19
	v_cndmask_b32_e32 v19, v19, v14, vcc
	v_cndmask_b32_e32 v17, v17, v39, vcc
	v_cmp_gt_f32_e32 vcc, v15, v19
	v_cndmask_b32_e32 v21, v17, v40, vcc
	v_cndmask_b32_e32 v17, v19, v15, vcc
	s_nop 0
	v_mov_b32_dpp v45, v21 quad_perm:[1,0,3,2] row_mask:0xf bank_mask:0xf
	v_mov_b32_dpp v19, v17 quad_perm:[1,0,3,2] row_mask:0xf bank_mask:0xf
	v_cmp_eq_f32_e64 s[2:3], v17, v19
	v_cmp_lt_i32_e64 s[4:5], v45, v21
	v_cmp_lt_f32_e32 vcc, v17, v19
	s_and_b64 s[2:3], s[2:3], s[4:5]
	s_or_b64 vcc, vcc, s[2:3]
	v_cndmask_b32_e32 v17, v17, v19, vcc
	v_cndmask_b32_e32 v21, v21, v45, vcc
	s_nop 0
	v_mov_b32_dpp v19, v17 quad_perm:[2,3,0,1] row_mask:0xf bank_mask:0xf
	v_mov_b32_dpp v45, v21 quad_perm:[2,3,0,1] row_mask:0xf bank_mask:0xf
	v_cmp_eq_f32_e64 s[2:3], v17, v19
	v_cmp_lt_i32_e64 s[4:5], v45, v21
	v_cmp_lt_f32_e32 vcc, v17, v19
	s_and_b64 s[2:3], s[2:3], s[4:5]
	s_or_b64 vcc, vcc, s[2:3]
	v_cndmask_b32_e32 v45, v21, v45, vcc
	s_and_saveexec_b64 s[4:5], s[0:1]
	s_cbranch_execz .LBB168_16
; %bb.15:                               ;   in Loop: Header=BB168_14 Depth=1
	v_cndmask_b32_e32 v17, v17, v19, vcc
	v_sub_f32_e32 v17, v17, v43
	v_mul_f32_e32 v19, 0x3fb8aa3b, v17
	v_fma_f32 v21, v17, s50, -v19
	v_rndne_f32_e32 v46, v19
	v_fmac_f32_e32 v21, 0x32a5705f, v17
	v_sub_f32_e32 v19, v19, v46
	v_add_f32_e32 v19, v19, v21
	v_exp_f32_e32 v19, v19
	v_cvt_i32_f32_e32 v21, v46
	v_cmp_le_i32_e32 vcc, s37, v45
	v_cmp_gt_i32_e64 s[2:3], s38, v45
	s_and_b64 s[2:3], vcc, s[2:3]
	v_ldexp_f32 v19, v19, v21
	v_cmp_ngt_f32_e32 vcc, s52, v17
	v_ashrrev_i32_e32 v21, 31, v20
	v_cndmask_b32_e32 v19, 0, v19, vcc
	v_cmp_nlt_f32_e32 vcc, s53, v17
	v_lshlrev_b64 v[46:47], 2, v[20:21]
	v_cndmask_b32_e32 v48, v42, v19, vcc
	v_mov_b32_e32 v17, s35
	v_add_co_u32_e32 v46, vcc, s34, v46
	v_addc_co_u32_e32 v47, vcc, v17, v47, vcc
	v_ashrrev_i32_e32 v19, 31, v18
	global_store_dword v[46:47], v48, off
	v_subrev_u32_e32 v17, s37, v45
	s_and_b64 vcc, s[44:45], s[2:3]
	v_lshlrev_b64 v[46:47], 2, v[18:19]
	v_cndmask_b32_e32 v17, 64, v17, vcc
	s_waitcnt lgkmcnt(0)
	v_mov_b32_e32 v19, s41
	v_add_co_u32_e32 v46, vcc, s40, v46
	v_addc_co_u32_e32 v47, vcc, v19, v47, vcc
	global_store_dword v[46:47], v17, off
	v_ashrrev_i32_e32 v17, 31, v16
	v_lshlrev_b64 v[46:47], 2, v[16:17]
	v_mov_b32_e32 v17, s43
	v_add_co_u32_e32 v46, vcc, s42, v46
	v_addc_co_u32_e32 v47, vcc, v17, v47, vcc
	v_add_f32_e32 v24, v24, v48
	global_store_dword v[46:47], v41, off
.LBB168_16:                             ;   in Loop: Header=BB168_14 Depth=1
	s_or_b64 exec, exec, s[4:5]
	v_ashrrev_i32_e32 v19, 31, v45
	v_lshrrev_b32_e32 v17, 28, v19
	v_add_u32_e32 v17, v45, v17
	v_ashrrev_i32_e32 v17, 4, v17
	v_lshrrev_b32_e32 v21, 30, v17
	v_add_u32_e32 v21, v17, v21
	v_and_b32_e32 v21, -4, v21
	v_sub_u32_e32 v21, v17, v21
	v_cmp_eq_u32_e32 vcc, v23, v21
	s_and_saveexec_b64 s[48:49], vcc
	s_cbranch_execz .LBB168_13
; %bb.17:                               ;   in Loop: Header=BB168_14 Depth=1
	v_lshrrev_b32_e32 v19, 26, v19
	v_add_u32_e32 v19, v45, v19
	v_lshlrev_b32_e32 v17, 4, v17
	v_sub_u32_e32 v17, v45, v17
	v_ashrrev_i32_e32 v19, 6, v19
	v_lshl_add_u32 v17, v19, 4, v17
	v_cmp_ne_u32_e32 vcc, 14, v17
	v_cmp_ne_u32_e64 s[2:3], 13, v17
	v_cmp_ne_u32_e64 s[4:5], 12, v17
	;; [unrolled: 1-line block ×15, first 2 shown]
	v_cndmask_b32_e64 v15, v44, v15, s[30:31]
	v_cndmask_b32_e32 v14, v44, v14, vcc
	v_cndmask_b32_e64 v13, v44, v13, s[2:3]
	v_cndmask_b32_e64 v12, v44, v12, s[4:5]
	;; [unrolled: 1-line block ×14, first 2 shown]
	s_branch .LBB168_13
.LBB168_18:
	v_cmp_neq_f32_e32 vcc, 0, v24
	s_and_b64 s[0:1], s[0:1], vcc
	s_and_b64 exec, exec, s[0:1]
	s_cbranch_execz .LBB168_29
; %bb.19:
	s_andn2_b64 vcc, exec, s[46:47]
	s_cbranch_vccnz .LBB168_29
; %bb.20:
	v_div_scale_f32 v0, s[0:1], v24, v24, 1.0
	v_rcp_f32_e32 v1, v0
	v_div_scale_f32 v2, vcc, 1.0, v24, 1.0
	s_cmp_gt_u32 s36, 3
	v_fma_f32 v3, -v0, v1, 1.0
	v_fmac_f32_e32 v1, v3, v1
	v_mul_f32_e32 v3, v2, v1
	v_fma_f32 v4, -v0, v3, v2
	v_fmac_f32_e32 v3, v4, v1
	v_fma_f32 v0, -v0, v3, v2
	v_div_fmas_f32 v0, v0, v1, v3
	v_mul_lo_u32 v2, v22, s39
	v_div_fixup_f32 v0, v0, v24, 1.0
	v_ashrrev_i32_e32 v3, 31, v2
	s_cbranch_scc0 .LBB168_24
; %bb.21:
	v_lshlrev_b64 v[4:5], 2, v[2:3]
	v_mov_b32_e32 v6, s35
	v_add_co_u32_e32 v4, vcc, s34, v4
	v_addc_co_u32_e32 v5, vcc, v5, v6, vcc
	s_and_b32 s4, s36, 0x7ffffffc
	v_add_co_u32_e32 v4, vcc, 8, v4
	v_mov_b32_e32 v1, v0
	v_addc_co_u32_e32 v5, vcc, 0, v5, vcc
	s_mov_b32 s0, s4
.LBB168_22:                             ; =>This Inner Loop Header: Depth=1
	global_load_dwordx4 v[6:9], v[4:5], off offset:-8
	s_add_i32 s0, s0, -4
	s_cmp_lg_u32 s0, 0
	s_waitcnt vmcnt(0)
	v_pk_mul_f32 v[6:7], v[0:1], v[6:7]
	v_pk_mul_f32 v[8:9], v[0:1], v[8:9]
	global_store_dwordx4 v[4:5], v[6:9], off offset:-8
	v_add_co_u32_e32 v4, vcc, 16, v4
	v_addc_co_u32_e32 v5, vcc, 0, v5, vcc
	s_cbranch_scc1 .LBB168_22
; %bb.23:
	s_cmp_lg_u32 s4, s36
	s_cselect_b64 s[0:1], -1, 0
	s_branch .LBB168_26
.LBB168_24:
	s_mov_b64 s[0:1], 0
                                        ; implicit-def: $sgpr4
	s_cbranch_execz .LBB168_26
; %bb.25:
	s_mov_b64 s[0:1], -1
	s_mov_b32 s4, 0
.LBB168_26:
	s_andn2_b64 vcc, exec, s[0:1]
	s_cbranch_vccnz .LBB168_29
; %bb.27:
	v_add_co_u32_e32 v2, vcc, s4, v2
	v_addc_co_u32_e32 v3, vcc, 0, v3, vcc
	v_lshlrev_b64 v[2:3], 2, v[2:3]
	v_mov_b32_e32 v1, s35
	v_add_co_u32_e32 v2, vcc, s34, v2
	s_sub_i32 s0, s36, s4
	v_addc_co_u32_e32 v3, vcc, v1, v3, vcc
.LBB168_28:                             ; =>This Inner Loop Header: Depth=1
	global_load_dword v1, v[2:3], off
	s_add_i32 s0, s0, -1
	s_cmp_lg_u32 s0, 0
	s_waitcnt vmcnt(0)
	v_mul_f32_e32 v1, v0, v1
	global_store_dword v[2:3], v1, off
	v_add_co_u32_e32 v2, vcc, 4, v2
	v_addc_co_u32_e32 v3, vcc, 0, v3, vcc
	s_cbranch_scc1 .LBB168_28
.LBB168_29:
	s_endpgm
	.section	.rodata,"a",@progbits
	.p2align	6, 0x0
	.amdhsa_kernel _ZN4vllm3moe17topkGatingSoftmaxIDF16_Li16ELi64ELi8ELi32ELb1ELi1ELNS0_23SharedExpertScoringFuncE1EEEvPKT_PKbPfiPiS9_iiiiii
		.amdhsa_group_segment_fixed_size 0
		.amdhsa_private_segment_fixed_size 0
		.amdhsa_kernarg_size 72
		.amdhsa_user_sgpr_count 6
		.amdhsa_user_sgpr_private_segment_buffer 1
		.amdhsa_user_sgpr_dispatch_ptr 0
		.amdhsa_user_sgpr_queue_ptr 0
		.amdhsa_user_sgpr_kernarg_segment_ptr 1
		.amdhsa_user_sgpr_dispatch_id 0
		.amdhsa_user_sgpr_flat_scratch_init 0
		.amdhsa_user_sgpr_kernarg_preload_length 0
		.amdhsa_user_sgpr_kernarg_preload_offset 0
		.amdhsa_user_sgpr_private_segment_size 0
		.amdhsa_uses_dynamic_stack 0
		.amdhsa_system_sgpr_private_segment_wavefront_offset 0
		.amdhsa_system_sgpr_workgroup_id_x 1
		.amdhsa_system_sgpr_workgroup_id_y 0
		.amdhsa_system_sgpr_workgroup_id_z 0
		.amdhsa_system_sgpr_workgroup_info 0
		.amdhsa_system_vgpr_workitem_id 1
		.amdhsa_next_free_vgpr 49
		.amdhsa_next_free_sgpr 54
		.amdhsa_accum_offset 52
		.amdhsa_reserve_vcc 1
		.amdhsa_reserve_flat_scratch 0
		.amdhsa_float_round_mode_32 0
		.amdhsa_float_round_mode_16_64 0
		.amdhsa_float_denorm_mode_32 3
		.amdhsa_float_denorm_mode_16_64 3
		.amdhsa_dx10_clamp 1
		.amdhsa_ieee_mode 1
		.amdhsa_fp16_overflow 0
		.amdhsa_tg_split 0
		.amdhsa_exception_fp_ieee_invalid_op 0
		.amdhsa_exception_fp_denorm_src 0
		.amdhsa_exception_fp_ieee_div_zero 0
		.amdhsa_exception_fp_ieee_overflow 0
		.amdhsa_exception_fp_ieee_underflow 0
		.amdhsa_exception_fp_ieee_inexact 0
		.amdhsa_exception_int_div_zero 0
	.end_amdhsa_kernel
	.section	.text._ZN4vllm3moe17topkGatingSoftmaxIDF16_Li16ELi64ELi8ELi32ELb1ELi1ELNS0_23SharedExpertScoringFuncE1EEEvPKT_PKbPfiPiS9_iiiiii,"axG",@progbits,_ZN4vllm3moe17topkGatingSoftmaxIDF16_Li16ELi64ELi8ELi32ELb1ELi1ELNS0_23SharedExpertScoringFuncE1EEEvPKT_PKbPfiPiS9_iiiiii,comdat
.Lfunc_end168:
	.size	_ZN4vllm3moe17topkGatingSoftmaxIDF16_Li16ELi64ELi8ELi32ELb1ELi1ELNS0_23SharedExpertScoringFuncE1EEEvPKT_PKbPfiPiS9_iiiiii, .Lfunc_end168-_ZN4vllm3moe17topkGatingSoftmaxIDF16_Li16ELi64ELi8ELi32ELb1ELi1ELNS0_23SharedExpertScoringFuncE1EEEvPKT_PKbPfiPiS9_iiiiii
                                        ; -- End function
	.section	.AMDGPU.csdata,"",@progbits
; Kernel info:
; codeLenInByte = 2856
; NumSgprs: 58
; NumVgprs: 49
; NumAgprs: 0
; TotalNumVgprs: 49
; ScratchSize: 0
; MemoryBound: 0
; FloatMode: 240
; IeeeMode: 1
; LDSByteSize: 0 bytes/workgroup (compile time only)
; SGPRBlocks: 7
; VGPRBlocks: 6
; NumSGPRsForWavesPerEU: 58
; NumVGPRsForWavesPerEU: 49
; AccumOffset: 52
; Occupancy: 8
; WaveLimiterHint : 0
; COMPUTE_PGM_RSRC2:SCRATCH_EN: 0
; COMPUTE_PGM_RSRC2:USER_SGPR: 6
; COMPUTE_PGM_RSRC2:TRAP_HANDLER: 0
; COMPUTE_PGM_RSRC2:TGID_X_EN: 1
; COMPUTE_PGM_RSRC2:TGID_Y_EN: 0
; COMPUTE_PGM_RSRC2:TGID_Z_EN: 0
; COMPUTE_PGM_RSRC2:TIDIG_COMP_CNT: 1
; COMPUTE_PGM_RSRC3_GFX90A:ACCUM_OFFSET: 12
; COMPUTE_PGM_RSRC3_GFX90A:TG_SPLIT: 0
	.section	.text._ZN4vllm3moe17topkGatingSoftmaxIDF16_Li16ELi64ELi8ELi32ELb0ELi1ELNS0_23SharedExpertScoringFuncE1EEEvPKT_PKbPfiPiS9_iiiiii,"axG",@progbits,_ZN4vllm3moe17topkGatingSoftmaxIDF16_Li16ELi64ELi8ELi32ELb0ELi1ELNS0_23SharedExpertScoringFuncE1EEEvPKT_PKbPfiPiS9_iiiiii,comdat
	.protected	_ZN4vllm3moe17topkGatingSoftmaxIDF16_Li16ELi64ELi8ELi32ELb0ELi1ELNS0_23SharedExpertScoringFuncE1EEEvPKT_PKbPfiPiS9_iiiiii ; -- Begin function _ZN4vllm3moe17topkGatingSoftmaxIDF16_Li16ELi64ELi8ELi32ELb0ELi1ELNS0_23SharedExpertScoringFuncE1EEEvPKT_PKbPfiPiS9_iiiiii
	.globl	_ZN4vllm3moe17topkGatingSoftmaxIDF16_Li16ELi64ELi8ELi32ELb0ELi1ELNS0_23SharedExpertScoringFuncE1EEEvPKT_PKbPfiPiS9_iiiiii
	.p2align	8
	.type	_ZN4vllm3moe17topkGatingSoftmaxIDF16_Li16ELi64ELi8ELi32ELb0ELi1ELNS0_23SharedExpertScoringFuncE1EEEvPKT_PKbPfiPiS9_iiiiii,@function
_ZN4vllm3moe17topkGatingSoftmaxIDF16_Li16ELi64ELi8ELi32ELb0ELi1ELNS0_23SharedExpertScoringFuncE1EEEvPKT_PKbPfiPiS9_iiiiii: ; @_ZN4vllm3moe17topkGatingSoftmaxIDF16_Li16ELi64ELi8ELi32ELb0ELi1ELNS0_23SharedExpertScoringFuncE1EEEvPKT_PKbPfiPiS9_iiiiii
; %bb.0:
	s_load_dword s33, s[4:5], 0x18
	v_bfe_u32 v1, v0, 10, 10
	v_and_b32_e32 v2, 0x3ff, v0
	s_lshl_b32 s50, s6, 7
	v_lshlrev_b32_e32 v40, 4, v1
	v_lshrrev_b32_e32 v42, 2, v2
	v_add3_u32 v22, s50, v40, v42
	s_waitcnt lgkmcnt(0)
	v_cmp_gt_i32_e32 vcc, s33, v22
	s_and_saveexec_b64 s[0:1], vcc
	s_cbranch_execz .LBB169_31
; %bb.1:
	s_load_dwordx4 s[0:3], s[4:5], 0x0
	s_load_dwordx2 s[34:35], s[4:5], 0x10
	s_waitcnt lgkmcnt(0)
	s_cmp_eq_u64 s[2:3], 0
	s_cbranch_scc1 .LBB169_3
; %bb.2:
	v_ashrrev_i32_e32 v1, 31, v22
	v_mov_b32_e32 v3, s3
	v_add_co_u32_e32 v0, vcc, s2, v22
	v_addc_co_u32_e32 v1, vcc, v3, v1, vcc
	global_load_ubyte v0, v[0:1], off
	s_waitcnt vmcnt(0)
	v_and_b32_e32 v0, 1, v0
	v_cmp_eq_u32_e32 vcc, 1, v0
	s_xor_b64 s[2:3], vcc, -1
	s_orn2_b64 s[46:47], s[2:3], exec
	s_branch .LBB169_4
.LBB169_3:
	s_mov_b64 s[46:47], -1
.LBB169_4:
	s_load_dwordx2 s[8:9], s[4:5], 0x40
	s_load_dwordx4 s[36:39], s[4:5], 0x30
	v_mov_b32_e32 v3, s1
	v_and_b32_e32 v25, 3, v2
	v_lshlrev_b32_e32 v2, 5, v25
	s_waitcnt lgkmcnt(0)
	v_mul_lo_u32 v0, v22, s9
	v_ashrrev_i32_e32 v1, 31, v0
	v_lshlrev_b64 v[0:1], 1, v[0:1]
	v_add_co_u32_e32 v0, vcc, s0, v0
	v_addc_co_u32_e32 v1, vcc, v3, v1, vcc
	v_add_co_u32_e32 v2, vcc, v0, v2
	v_addc_co_u32_e32 v3, vcc, 0, v1, vcc
	global_load_dwordx4 v[12:15], v[2:3], off offset:16
	global_load_dwordx4 v[4:7], v[2:3], off
	v_lshlrev_b32_e32 v26, 4, v25
	v_mov_b32_e32 v23, 0
	v_cmp_eq_u32_e64 s[0:1], 0, v25
	s_and_saveexec_b64 s[2:3], s[0:1]
	s_cbranch_execz .LBB169_6
; %bb.5:
	global_load_ushort v0, v[0:1], off offset:128
	s_mov_b32 s6, 0x3fb8aa3b
	s_mov_b32 s7, 0x32a5705f
	s_mov_b32 s9, 0xc2ce8ed0
	s_mov_b32 s10, 0x42b17218
	v_mov_b32_e32 v3, 0x7f800000
	v_mul_lo_u32 v1, v22, s39
	s_waitcnt vmcnt(0)
	v_cvt_f32_f16_e64 v2, -v0
	v_mul_f32_e32 v8, 0x3fb8aa3b, v2
	v_rndne_f32_e32 v9, v8
	v_fma_mix_f32 v10, -v0, s6, -v8 op_sel_hi:[1,0,0]
	v_sub_f32_e32 v8, v8, v9
	v_fma_mix_f32 v0, -v0, s7, v10 op_sel_hi:[1,0,0]
	v_add_f32_e32 v0, v8, v0
	v_cvt_i32_f32_e32 v9, v9
	v_exp_f32_e32 v8, v0
	v_cmp_ngt_f32_e32 vcc, s9, v2
	v_add_u32_e32 v0, s36, v1
	v_ashrrev_i32_e32 v1, 31, v0
	v_ldexp_f32 v8, v8, v9
	v_cndmask_b32_e32 v8, 0, v8, vcc
	v_cmp_nlt_f32_e32 vcc, s10, v2
	v_cndmask_b32_e32 v2, v3, v8, vcc
	v_add_f32_e32 v2, 1.0, v2
	v_div_scale_f32 v3, s[6:7], v2, v2, 1.0
	v_rcp_f32_e32 v8, v3
	v_div_scale_f32 v9, vcc, 1.0, v2, 1.0
	v_lshlrev_b64 v[0:1], 2, v[0:1]
	v_fma_f32 v11, -v3, v8, 1.0
	v_fmac_f32_e32 v8, v11, v8
	v_mul_f32_e32 v11, v9, v8
	v_fma_f32 v16, -v3, v11, v9
	v_fmac_f32_e32 v11, v16, v8
	v_fma_f32 v3, -v3, v11, v9
	v_mov_b32_e32 v10, s35
	v_div_fmas_f32 v3, v3, v8, v11
	v_add_co_u32_e32 v0, vcc, s34, v0
	v_div_fixup_f32 v2, v3, v2, 1.0
	v_addc_co_u32_e32 v1, vcc, v10, v1, vcc
	global_store_dword v[0:1], v2, off
.LBB169_6:
	s_or_b64 exec, exec, s[2:3]
	s_waitcnt vmcnt(0)
	v_cvt_f32_f16_e32 v0, v4
	v_cvt_f32_f16_sdwa v1, v4 dst_sel:DWORD dst_unused:UNUSED_PAD src0_sel:WORD_1
	v_cvt_f32_f16_e32 v2, v5
	v_cmp_lt_f16_sdwa vcc, v4, v4 src0_sel:DWORD src1_sel:WORD_1
	v_or_b32_e32 v27, 1, v26
	v_cndmask_b32_e32 v4, v0, v1, vcc
	v_cndmask_b32_e32 v3, v26, v27, vcc
	v_or_b32_e32 v28, 2, v26
	v_cmp_lt_f32_e32 vcc, v4, v2
	v_cndmask_b32_e32 v8, v3, v28, vcc
	v_cvt_f32_f16_sdwa v3, v5 dst_sel:DWORD dst_unused:UNUSED_PAD src0_sel:WORD_1
	v_cndmask_b32_e32 v4, v4, v2, vcc
	v_or_b32_e32 v29, 3, v26
	v_or_b32_e32 v30, 4, v26
	v_cmp_lt_f32_e32 vcc, v4, v3
	v_cndmask_b32_e32 v5, v8, v29, vcc
	v_cndmask_b32_e32 v8, v4, v3, vcc
	v_cvt_f32_f16_e32 v4, v6
	v_or_b32_e32 v31, 5, v26
	v_or_b32_e32 v32, 6, v26
	v_or_b32_e32 v33, 7, v26
	v_cmp_lt_f32_e32 vcc, v8, v4
	v_cndmask_b32_e32 v9, v5, v30, vcc
	v_cvt_f32_f16_sdwa v5, v6 dst_sel:DWORD dst_unused:UNUSED_PAD src0_sel:WORD_1
	v_cvt_f32_f16_e32 v6, v7
	v_cndmask_b32_e32 v8, v8, v4, vcc
	v_cvt_f32_f16_sdwa v7, v7 dst_sel:DWORD dst_unused:UNUSED_PAD src0_sel:WORD_1
	v_cmp_lt_f32_e32 vcc, v8, v5
	v_cndmask_b32_e32 v8, v8, v5, vcc
	v_cndmask_b32_e32 v9, v9, v31, vcc
	v_cmp_lt_f32_e32 vcc, v8, v6
	v_cndmask_b32_e32 v8, v8, v6, vcc
	v_cndmask_b32_e32 v9, v9, v32, vcc
	v_cmp_lt_f32_e32 vcc, v8, v7
	v_cndmask_b32_e32 v10, v8, v7, vcc
	v_cvt_f32_f16_e32 v8, v12
	v_cndmask_b32_e32 v9, v9, v33, vcc
	v_or_b32_e32 v34, 8, v26
	v_or_b32_e32 v35, 9, v26
	v_cmp_lt_f32_e32 vcc, v10, v8
	v_cndmask_b32_e32 v11, v9, v34, vcc
	v_cvt_f32_f16_sdwa v9, v12 dst_sel:DWORD dst_unused:UNUSED_PAD src0_sel:WORD_1
	v_cndmask_b32_e32 v10, v10, v8, vcc
	v_or_b32_e32 v36, 10, v26
	v_or_b32_e32 v37, 11, v26
	v_cmp_lt_f32_e32 vcc, v10, v9
	v_cndmask_b32_e32 v12, v10, v9, vcc
	v_cvt_f32_f16_e32 v10, v13
	v_cndmask_b32_e32 v11, v11, v35, vcc
	v_or_b32_e32 v38, 12, v26
	v_or_b32_e32 v39, 13, v26
	v_cmp_lt_f32_e32 vcc, v12, v10
	v_cndmask_b32_e32 v16, v11, v36, vcc
	v_cvt_f32_f16_sdwa v11, v13 dst_sel:DWORD dst_unused:UNUSED_PAD src0_sel:WORD_1
	v_cndmask_b32_e32 v12, v12, v10, vcc
	v_or_b32_e32 v41, 14, v26
	v_or_b32_e32 v43, 15, v26
	v_cmp_lt_f32_e32 vcc, v12, v11
	v_cndmask_b32_e32 v13, v16, v37, vcc
	v_cndmask_b32_e32 v16, v12, v11, vcc
	v_cvt_f32_f16_e32 v12, v14
	v_cmp_lt_f32_e32 vcc, v16, v12
	v_cndmask_b32_e32 v17, v13, v38, vcc
	v_cvt_f32_f16_sdwa v13, v14 dst_sel:DWORD dst_unused:UNUSED_PAD src0_sel:WORD_1
	v_cvt_f32_f16_e32 v14, v15
	v_cndmask_b32_e32 v16, v16, v12, vcc
	v_cvt_f32_f16_sdwa v15, v15 dst_sel:DWORD dst_unused:UNUSED_PAD src0_sel:WORD_1
	v_cmp_lt_f32_e32 vcc, v16, v13
	v_cndmask_b32_e32 v16, v16, v13, vcc
	v_cndmask_b32_e32 v17, v17, v39, vcc
	v_cmp_lt_f32_e32 vcc, v16, v14
	v_cndmask_b32_e32 v16, v16, v14, vcc
	v_cndmask_b32_e32 v17, v17, v41, vcc
	;; [unrolled: 3-line block ×3, first 2 shown]
	s_nop 0
	v_mov_b32_dpp v19, v17 quad_perm:[1,0,3,2] row_mask:0xf bank_mask:0xf
	v_mov_b32_dpp v18, v16 quad_perm:[1,0,3,2] row_mask:0xf bank_mask:0xf
	v_cmp_eq_f32_e64 s[2:3], v16, v18
	v_cmp_lt_i32_e64 s[6:7], v19, v17
	v_cmp_lt_f32_e32 vcc, v16, v18
	s_and_b64 s[2:3], s[2:3], s[6:7]
	s_or_b64 vcc, vcc, s[2:3]
	v_cndmask_b32_e32 v18, v16, v18, vcc
	v_cndmask_b32_e32 v16, v17, v19, vcc
	s_nop 0
	v_mov_b32_dpp v19, v18 quad_perm:[2,3,0,1] row_mask:0xf bank_mask:0xf
	v_mov_b32_dpp v17, v16 quad_perm:[2,3,0,1] row_mask:0xf bank_mask:0xf
	v_cmp_eq_f32_e64 s[2:3], v18, v19
	v_cmp_lt_i32_e64 s[6:7], v17, v16
	v_cmp_lt_f32_e32 vcc, v18, v19
	s_and_b64 s[2:3], s[2:3], s[6:7]
	s_or_b64 s[2:3], vcc, s[2:3]
	s_cmp_gt_i32 s36, 0
	s_cselect_b64 s[44:45], -1, 0
	v_cndmask_b32_e64 v24, v18, v19, s[2:3]
	s_and_b64 vcc, exec, s[44:45]
	s_cbranch_vccz .LBB169_18
; %bb.7:
	s_load_dwordx4 s[40:43], s[4:5], 0x20
	v_cndmask_b32_e64 v44, v16, v17, s[2:3]
	v_mul_lo_u32 v20, v22, s39
	v_mul_lo_u32 v18, v22, s8
	;; [unrolled: 1-line block ×3, first 2 shown]
	v_mov_b32_e32 v23, 0
	s_and_saveexec_b64 s[4:5], s[0:1]
	s_cbranch_execz .LBB169_9
; %bb.8:
	v_sub_f32_e32 v17, v24, v24
	v_mul_f32_e32 v19, 0x3fb8aa3b, v17
	s_mov_b32 s2, 0x3fb8aa3b
	v_rndne_f32_e32 v21, v19
	v_sub_f32_e32 v23, v19, v21
	v_fma_f32 v19, v17, s2, -v19
	v_fmac_f32_e32 v19, 0x32a5705f, v17
	v_add_f32_e32 v19, v23, v19
	v_exp_f32_e32 v19, v19
	v_cvt_i32_f32_e32 v21, v21
	v_cmp_le_i32_e32 vcc, s37, v44
	v_cmp_gt_i32_e64 s[2:3], s38, v44
	s_mov_b32 s6, 0xc2ce8ed0
	s_and_b64 s[2:3], vcc, s[2:3]
	v_ldexp_f32 v19, v19, v21
	v_cmp_ngt_f32_e32 vcc, s6, v17
	s_mov_b32 s6, 0x42b17218
	v_cndmask_b32_e32 v19, 0, v19, vcc
	v_mov_b32_e32 v21, 0x7f800000
	v_cmp_nlt_f32_e32 vcc, s6, v17
	v_cndmask_b32_e32 v23, v21, v19, vcc
	v_ashrrev_i32_e32 v21, 31, v20
	v_lshlrev_b64 v[46:47], 2, v[20:21]
	v_mov_b32_e32 v17, s35
	v_add_co_u32_e32 v46, vcc, s34, v46
	v_addc_co_u32_e32 v47, vcc, v17, v47, vcc
	v_ashrrev_i32_e32 v19, 31, v18
	global_store_dword v[46:47], v23, off
	v_subrev_u32_e32 v17, s37, v44
	s_and_b64 vcc, s[46:47], s[2:3]
	v_lshlrev_b64 v[46:47], 2, v[18:19]
	v_cndmask_b32_e32 v17, 64, v17, vcc
	s_waitcnt lgkmcnt(0)
	v_mov_b32_e32 v19, s41
	v_add_co_u32_e32 v46, vcc, s40, v46
	v_addc_co_u32_e32 v47, vcc, v19, v47, vcc
	global_store_dword v[46:47], v17, off
	v_ashrrev_i32_e32 v17, 31, v16
	v_lshlrev_b64 v[46:47], 2, v[16:17]
	v_mov_b32_e32 v17, s43
	v_add_co_u32_e32 v46, vcc, s42, v46
	v_addc_co_u32_e32 v47, vcc, v17, v47, vcc
	global_store_dword v[46:47], v22, off
.LBB169_9:
	s_or_b64 exec, exec, s[4:5]
	v_ashrrev_i32_e32 v19, 31, v44
	v_lshrrev_b32_e32 v17, 28, v19
	v_add_u32_e32 v17, v44, v17
	v_ashrrev_i32_e32 v17, 4, v17
	v_lshrrev_b32_e32 v21, 30, v17
	v_add_u32_e32 v21, v17, v21
	v_and_b32_e32 v21, -4, v21
	v_sub_u32_e32 v21, v17, v21
	v_cmp_eq_u32_e32 vcc, v25, v21
	s_and_saveexec_b64 s[48:49], vcc
	s_cbranch_execz .LBB169_11
; %bb.10:
	v_lshrrev_b32_e32 v19, 26, v19
	v_add_u32_e32 v19, v44, v19
	v_lshlrev_b32_e32 v17, 4, v17
	v_sub_u32_e32 v17, v44, v17
	v_ashrrev_i32_e32 v19, 6, v19
	v_lshl_add_u32 v17, v19, 4, v17
	v_mov_b32_e32 v19, 0xff800000
	v_cmp_ne_u32_e32 vcc, 14, v17
	v_cmp_ne_u32_e64 s[2:3], 13, v17
	v_cmp_ne_u32_e64 s[4:5], 12, v17
	;; [unrolled: 1-line block ×15, first 2 shown]
	v_cndmask_b32_e64 v15, v19, v15, s[30:31]
	v_cndmask_b32_e32 v14, v19, v14, vcc
	v_cndmask_b32_e64 v13, v19, v13, s[2:3]
	v_cndmask_b32_e64 v12, v19, v12, s[4:5]
	;; [unrolled: 1-line block ×14, first 2 shown]
.LBB169_11:
	s_or_b64 exec, exec, s[48:49]
	s_cmp_eq_u32 s36, 1
	s_cbranch_scc1 .LBB169_18
; %bb.12:
	s_add_i32 s50, s50, s33
	s_add_i32 s51, s36, -1
	v_add3_u32 v40, s50, v42, v40
	v_add_u32_e32 v16, 1, v16
	v_add_u32_e32 v18, 1, v18
	v_add_u32_e32 v20, 1, v20
	s_mov_b32 s50, 0x3fb8aa3b
	s_mov_b32 s52, 0xc2ce8ed0
	;; [unrolled: 1-line block ×3, first 2 shown]
	v_mov_b32_e32 v42, 0x7f800000
	v_mov_b32_e32 v44, 0xff800000
	s_branch .LBB169_14
.LBB169_13:                             ;   in Loop: Header=BB169_14 Depth=1
	s_or_b64 exec, exec, s[48:49]
	s_add_i32 s51, s51, -1
	v_add_u32_e32 v40, s33, v40
	v_add_u32_e32 v16, 1, v16
	;; [unrolled: 1-line block ×3, first 2 shown]
	s_cmp_eq_u32 s51, 0
	v_add_u32_e32 v20, 1, v20
	s_cbranch_scc1 .LBB169_18
.LBB169_14:                             ; =>This Inner Loop Header: Depth=1
	v_cmp_gt_f32_e32 vcc, v1, v0
	v_cndmask_b32_e32 v19, v0, v1, vcc
	v_cndmask_b32_e32 v17, v26, v27, vcc
	v_cmp_gt_f32_e32 vcc, v2, v19
	v_cndmask_b32_e32 v19, v19, v2, vcc
	v_cndmask_b32_e32 v17, v17, v28, vcc
	;; [unrolled: 3-line block ×15, first 2 shown]
	s_nop 0
	v_mov_b32_dpp v45, v21 quad_perm:[1,0,3,2] row_mask:0xf bank_mask:0xf
	v_mov_b32_dpp v19, v17 quad_perm:[1,0,3,2] row_mask:0xf bank_mask:0xf
	v_cmp_eq_f32_e64 s[2:3], v17, v19
	v_cmp_lt_i32_e64 s[4:5], v45, v21
	v_cmp_lt_f32_e32 vcc, v17, v19
	s_and_b64 s[2:3], s[2:3], s[4:5]
	s_or_b64 vcc, vcc, s[2:3]
	v_cndmask_b32_e32 v17, v17, v19, vcc
	v_cndmask_b32_e32 v21, v21, v45, vcc
	s_nop 0
	v_mov_b32_dpp v19, v17 quad_perm:[2,3,0,1] row_mask:0xf bank_mask:0xf
	v_mov_b32_dpp v45, v21 quad_perm:[2,3,0,1] row_mask:0xf bank_mask:0xf
	v_cmp_eq_f32_e64 s[2:3], v17, v19
	v_cmp_lt_i32_e64 s[4:5], v45, v21
	v_cmp_lt_f32_e32 vcc, v17, v19
	s_and_b64 s[2:3], s[2:3], s[4:5]
	s_or_b64 vcc, vcc, s[2:3]
	v_cndmask_b32_e32 v45, v21, v45, vcc
	s_and_saveexec_b64 s[4:5], s[0:1]
	s_cbranch_execz .LBB169_16
; %bb.15:                               ;   in Loop: Header=BB169_14 Depth=1
	v_cndmask_b32_e32 v17, v17, v19, vcc
	v_sub_f32_e32 v17, v17, v24
	v_mul_f32_e32 v19, 0x3fb8aa3b, v17
	v_fma_f32 v21, v17, s50, -v19
	v_rndne_f32_e32 v46, v19
	v_fmac_f32_e32 v21, 0x32a5705f, v17
	v_sub_f32_e32 v19, v19, v46
	v_add_f32_e32 v19, v19, v21
	v_exp_f32_e32 v19, v19
	v_cvt_i32_f32_e32 v21, v46
	v_cmp_le_i32_e32 vcc, s37, v45
	v_cmp_gt_i32_e64 s[2:3], s38, v45
	s_and_b64 s[2:3], vcc, s[2:3]
	v_ldexp_f32 v19, v19, v21
	v_cmp_ngt_f32_e32 vcc, s52, v17
	v_ashrrev_i32_e32 v21, 31, v20
	v_cndmask_b32_e32 v19, 0, v19, vcc
	v_cmp_nlt_f32_e32 vcc, s53, v17
	v_lshlrev_b64 v[46:47], 2, v[20:21]
	v_cndmask_b32_e32 v48, v42, v19, vcc
	v_mov_b32_e32 v17, s35
	v_add_co_u32_e32 v46, vcc, s34, v46
	v_addc_co_u32_e32 v47, vcc, v17, v47, vcc
	v_ashrrev_i32_e32 v19, 31, v18
	global_store_dword v[46:47], v48, off
	v_subrev_u32_e32 v17, s37, v45
	s_and_b64 vcc, s[46:47], s[2:3]
	v_lshlrev_b64 v[46:47], 2, v[18:19]
	v_cndmask_b32_e32 v17, 64, v17, vcc
	s_waitcnt lgkmcnt(0)
	v_mov_b32_e32 v19, s41
	v_add_co_u32_e32 v46, vcc, s40, v46
	v_addc_co_u32_e32 v47, vcc, v19, v47, vcc
	global_store_dword v[46:47], v17, off
	v_ashrrev_i32_e32 v17, 31, v16
	v_lshlrev_b64 v[46:47], 2, v[16:17]
	v_mov_b32_e32 v17, s43
	v_add_co_u32_e32 v46, vcc, s42, v46
	v_addc_co_u32_e32 v47, vcc, v17, v47, vcc
	v_add_f32_e32 v23, v23, v48
	global_store_dword v[46:47], v40, off
.LBB169_16:                             ;   in Loop: Header=BB169_14 Depth=1
	s_or_b64 exec, exec, s[4:5]
	v_ashrrev_i32_e32 v19, 31, v45
	v_lshrrev_b32_e32 v17, 28, v19
	v_add_u32_e32 v17, v45, v17
	v_ashrrev_i32_e32 v17, 4, v17
	v_lshrrev_b32_e32 v21, 30, v17
	v_add_u32_e32 v21, v17, v21
	v_and_b32_e32 v21, -4, v21
	v_sub_u32_e32 v21, v17, v21
	v_cmp_eq_u32_e32 vcc, v25, v21
	s_and_saveexec_b64 s[48:49], vcc
	s_cbranch_execz .LBB169_13
; %bb.17:                               ;   in Loop: Header=BB169_14 Depth=1
	v_lshrrev_b32_e32 v19, 26, v19
	v_add_u32_e32 v19, v45, v19
	v_lshlrev_b32_e32 v17, 4, v17
	v_sub_u32_e32 v17, v45, v17
	v_ashrrev_i32_e32 v19, 6, v19
	v_lshl_add_u32 v17, v19, 4, v17
	v_cmp_ne_u32_e32 vcc, 14, v17
	v_cmp_ne_u32_e64 s[2:3], 13, v17
	v_cmp_ne_u32_e64 s[4:5], 12, v17
	;; [unrolled: 1-line block ×15, first 2 shown]
	v_cndmask_b32_e64 v15, v44, v15, s[30:31]
	v_cndmask_b32_e32 v14, v44, v14, vcc
	v_cndmask_b32_e64 v13, v44, v13, s[2:3]
	v_cndmask_b32_e64 v12, v44, v12, s[4:5]
	;; [unrolled: 1-line block ×14, first 2 shown]
	s_branch .LBB169_13
.LBB169_18:
	v_sub_f32_e32 v0, v0, v24
	s_mov_b32 s4, 0x3fb8aa3b
	v_mul_f32_e32 v16, 0x3fb8aa3b, v0
	v_fma_f32 v17, v0, s4, -v16
	v_rndne_f32_e32 v18, v16
	v_fmac_f32_e32 v17, 0x32a5705f, v0
	v_sub_f32_e32 v16, v16, v18
	v_add_f32_e32 v16, v16, v17
	v_exp_f32_e32 v16, v16
	v_cvt_i32_f32_e32 v17, v18
	v_sub_f32_e32 v1, v1, v24
	s_mov_b32 s6, 0xc2ce8ed0
	s_mov_b32 s5, 0x42b17218
	v_ldexp_f32 v16, v16, v17
	v_mul_f32_e32 v17, 0x3fb8aa3b, v1
	v_fma_f32 v18, v1, s4, -v17
	v_rndne_f32_e32 v19, v17
	v_fmac_f32_e32 v18, 0x32a5705f, v1
	v_sub_f32_e32 v17, v17, v19
	v_add_f32_e32 v17, v17, v18
	v_exp_f32_e32 v17, v17
	v_cvt_i32_f32_e32 v18, v19
	v_cmp_ngt_f32_e32 vcc, s6, v1
	v_cmp_ngt_f32_e64 s[2:3], s6, v0
	v_sub_f32_e32 v2, v2, v24
	v_ldexp_f32 v17, v17, v18
	v_cndmask_b32_e32 v17, 0, v17, vcc
	v_mov_b32_e32 v18, 0x7f800000
	v_cmp_nlt_f32_e32 vcc, s5, v1
	v_cndmask_b32_e64 v1, 0, v16, s[2:3]
	v_cmp_nlt_f32_e64 s[2:3], s5, v0
	v_cndmask_b32_e64 v0, v18, v1, s[2:3]
	v_cndmask_b32_e32 v1, v18, v17, vcc
	v_add_f32_e32 v0, v0, v1
	v_mul_f32_e32 v1, 0x3fb8aa3b, v2
	v_fma_f32 v16, v2, s4, -v1
	v_rndne_f32_e32 v17, v1
	v_fmac_f32_e32 v16, 0x32a5705f, v2
	v_sub_f32_e32 v1, v1, v17
	v_add_f32_e32 v1, v1, v16
	v_exp_f32_e32 v1, v1
	v_cvt_i32_f32_e32 v16, v17
	v_cmp_ngt_f32_e32 vcc, s6, v2
	v_sub_f32_e32 v3, v3, v24
	v_sub_f32_e32 v4, v4, v24
	v_ldexp_f32 v1, v1, v16
	v_cndmask_b32_e32 v1, 0, v1, vcc
	v_cmp_nlt_f32_e32 vcc, s5, v2
	v_cndmask_b32_e32 v1, v18, v1, vcc
	v_add_f32_e32 v0, v0, v1
	v_mul_f32_e32 v1, 0x3fb8aa3b, v3
	v_fma_f32 v2, v3, s4, -v1
	v_rndne_f32_e32 v16, v1
	v_fmac_f32_e32 v2, 0x32a5705f, v3
	v_sub_f32_e32 v1, v1, v16
	v_add_f32_e32 v1, v1, v2
	v_exp_f32_e32 v1, v1
	v_cvt_i32_f32_e32 v2, v16
	v_cmp_ngt_f32_e32 vcc, s6, v3
	v_sub_f32_e32 v5, v5, v24
	v_sub_f32_e32 v6, v6, v24
	v_ldexp_f32 v1, v1, v2
	v_cndmask_b32_e32 v1, 0, v1, vcc
	v_cmp_nlt_f32_e32 vcc, s5, v3
	;; [unrolled: 16-line block ×4, first 2 shown]
	v_cndmask_b32_e32 v1, v18, v1, vcc
	v_add_f32_e32 v0, v0, v1
	v_mul_f32_e32 v1, 0x3fb8aa3b, v6
	v_fma_f32 v2, v6, s4, -v1
	v_rndne_f32_e32 v3, v1
	v_fmac_f32_e32 v2, 0x32a5705f, v6
	v_sub_f32_e32 v1, v1, v3
	v_add_f32_e32 v1, v1, v2
	v_exp_f32_e32 v1, v1
	v_cvt_i32_f32_e32 v2, v3
	v_cmp_ngt_f32_e32 vcc, s6, v6
	v_sub_f32_e32 v11, v11, v24
	v_sub_f32_e32 v12, v12, v24
	v_ldexp_f32 v1, v1, v2
	v_mul_f32_e32 v2, 0x3fb8aa3b, v7
	v_fma_f32 v3, v7, s4, -v2
	v_rndne_f32_e32 v4, v2
	v_fmac_f32_e32 v3, 0x32a5705f, v7
	v_sub_f32_e32 v2, v2, v4
	v_add_f32_e32 v2, v2, v3
	v_exp_f32_e32 v2, v2
	v_cvt_i32_f32_e32 v3, v4
	v_cndmask_b32_e32 v1, 0, v1, vcc
	v_cmp_nlt_f32_e32 vcc, s5, v6
	v_cndmask_b32_e32 v1, v18, v1, vcc
	v_add_f32_e32 v0, v0, v1
	v_ldexp_f32 v1, v2, v3
	v_mul_f32_e32 v2, 0x3fb8aa3b, v8
	v_fma_f32 v3, v8, s4, -v2
	v_rndne_f32_e32 v4, v2
	v_fmac_f32_e32 v3, 0x32a5705f, v8
	v_sub_f32_e32 v2, v2, v4
	v_add_f32_e32 v2, v2, v3
	v_exp_f32_e32 v2, v2
	v_cvt_i32_f32_e32 v3, v4
	v_cmp_ngt_f32_e32 vcc, s6, v7
	v_cndmask_b32_e32 v1, 0, v1, vcc
	v_cmp_nlt_f32_e32 vcc, s5, v7
	v_cndmask_b32_e32 v1, v18, v1, vcc
	v_add_f32_e32 v0, v0, v1
	v_ldexp_f32 v1, v2, v3
	v_mul_f32_e32 v2, 0x3fb8aa3b, v9
	v_fma_f32 v3, v9, s4, -v2
	v_rndne_f32_e32 v4, v2
	v_fmac_f32_e32 v3, 0x32a5705f, v9
	v_sub_f32_e32 v2, v2, v4
	v_add_f32_e32 v2, v2, v3
	v_exp_f32_e32 v2, v2
	v_cvt_i32_f32_e32 v3, v4
	v_cmp_ngt_f32_e32 vcc, s6, v8
	;; [unrolled: 14-line block ×5, first 2 shown]
	v_cndmask_b32_e32 v1, 0, v1, vcc
	v_cmp_nlt_f32_e32 vcc, s5, v11
	v_cndmask_b32_e32 v1, v18, v1, vcc
	v_add_f32_e32 v0, v0, v1
	v_ldexp_f32 v1, v2, v3
	v_sub_f32_e32 v2, v13, v24
	v_mul_f32_e32 v3, 0x3fb8aa3b, v2
	v_fma_f32 v4, v2, s4, -v3
	v_rndne_f32_e32 v5, v3
	v_fmac_f32_e32 v4, 0x32a5705f, v2
	v_sub_f32_e32 v3, v3, v5
	v_add_f32_e32 v3, v3, v4
	v_exp_f32_e32 v3, v3
	v_cvt_i32_f32_e32 v4, v5
	v_cmp_ngt_f32_e32 vcc, s6, v12
	v_cndmask_b32_e32 v1, 0, v1, vcc
	v_cmp_nlt_f32_e32 vcc, s5, v12
	v_cndmask_b32_e32 v1, v18, v1, vcc
	v_add_f32_e32 v0, v0, v1
	v_ldexp_f32 v1, v3, v4
	v_sub_f32_e32 v3, v14, v24
	v_mul_f32_e32 v4, 0x3fb8aa3b, v3
	v_fma_f32 v5, v3, s4, -v4
	v_rndne_f32_e32 v6, v4
	v_fmac_f32_e32 v5, 0x32a5705f, v3
	v_sub_f32_e32 v4, v4, v6
	v_add_f32_e32 v4, v4, v5
	v_exp_f32_e32 v4, v4
	v_cvt_i32_f32_e32 v5, v6
	v_cmp_ngt_f32_e32 vcc, s6, v2
	v_cndmask_b32_e32 v1, 0, v1, vcc
	v_cmp_nlt_f32_e32 vcc, s5, v2
	v_cndmask_b32_e32 v1, v18, v1, vcc
	v_sub_f32_e32 v2, v15, v24
	v_add_f32_e32 v0, v0, v1
	v_ldexp_f32 v1, v4, v5
	v_mul_f32_e32 v4, 0x3fb8aa3b, v2
	v_fma_f32 v5, v2, s4, -v4
	v_rndne_f32_e32 v6, v4
	v_fmac_f32_e32 v5, 0x32a5705f, v2
	v_sub_f32_e32 v4, v4, v6
	v_add_f32_e32 v4, v4, v5
	v_exp_f32_e32 v4, v4
	v_cvt_i32_f32_e32 v5, v6
	v_cmp_ngt_f32_e32 vcc, s6, v3
	v_cndmask_b32_e32 v1, 0, v1, vcc
	v_cmp_nlt_f32_e32 vcc, s5, v3
	v_cndmask_b32_e32 v1, v18, v1, vcc
	v_add_f32_e32 v0, v0, v1
	v_ldexp_f32 v1, v4, v5
	v_cmp_ngt_f32_e32 vcc, s6, v2
	v_cndmask_b32_e32 v1, 0, v1, vcc
	v_cmp_nlt_f32_e32 vcc, s5, v2
	v_cndmask_b32_e32 v1, v18, v1, vcc
	v_add_f32_e32 v0, v0, v1
	s_nop 1
	v_mov_b32_dpp v1, v0 quad_perm:[1,0,3,2] row_mask:0xf bank_mask:0xf
	v_add_f32_e32 v0, v0, v1
	s_nop 1
	v_mov_b32_dpp v1, v0 quad_perm:[2,3,0,1] row_mask:0xf bank_mask:0xf
	s_and_b64 exec, exec, s[0:1]
	s_cbranch_execz .LBB169_31
; %bb.19:
	v_add_f32_e32 v0, v0, v1
	v_add_f32_e32 v0, v23, v0
	v_cmp_neq_f32_e32 vcc, 0, v0
	s_and_b64 exec, exec, vcc
	s_cbranch_execz .LBB169_31
; %bb.20:
	s_andn2_b64 vcc, exec, s[44:45]
	s_cbranch_vccnz .LBB169_31
; %bb.21:
	v_div_scale_f32 v1, s[0:1], v0, v0, 1.0
	v_rcp_f32_e32 v2, v1
	v_div_scale_f32 v3, vcc, 1.0, v0, 1.0
	s_cmp_gt_u32 s36, 3
	v_fma_f32 v4, -v1, v2, 1.0
	v_fmac_f32_e32 v2, v4, v2
	v_mul_f32_e32 v4, v3, v2
	v_fma_f32 v5, -v1, v4, v3
	v_fmac_f32_e32 v4, v5, v2
	v_fma_f32 v1, -v1, v4, v3
	v_div_fmas_f32 v1, v1, v2, v4
	v_mul_lo_u32 v2, v22, s39
	v_div_fixup_f32 v0, v1, v0, 1.0
	v_ashrrev_i32_e32 v3, 31, v2
	s_cbranch_scc0 .LBB169_25
; %bb.22:
	v_lshlrev_b64 v[4:5], 2, v[2:3]
	v_mov_b32_e32 v6, s35
	v_add_co_u32_e32 v4, vcc, s34, v4
	v_addc_co_u32_e32 v5, vcc, v5, v6, vcc
	s_and_b32 s4, s36, 0x7ffffffc
	v_add_co_u32_e32 v4, vcc, 8, v4
	v_mov_b32_e32 v1, v0
	v_addc_co_u32_e32 v5, vcc, 0, v5, vcc
	s_mov_b32 s0, s4
.LBB169_23:                             ; =>This Inner Loop Header: Depth=1
	global_load_dwordx4 v[6:9], v[4:5], off offset:-8
	s_add_i32 s0, s0, -4
	s_cmp_lg_u32 s0, 0
	s_waitcnt vmcnt(0)
	v_pk_mul_f32 v[6:7], v[0:1], v[6:7]
	v_pk_mul_f32 v[8:9], v[0:1], v[8:9]
	global_store_dwordx4 v[4:5], v[6:9], off offset:-8
	v_add_co_u32_e32 v4, vcc, 16, v4
	v_addc_co_u32_e32 v5, vcc, 0, v5, vcc
	s_cbranch_scc1 .LBB169_23
; %bb.24:
	s_cmp_lg_u32 s4, s36
	s_mov_b64 s[2:3], 0
	s_cselect_b64 s[0:1], -1, 0
	s_branch .LBB169_26
.LBB169_25:
	s_mov_b64 s[2:3], -1
	s_mov_b64 s[0:1], 0
                                        ; implicit-def: $sgpr4
.LBB169_26:
	s_and_b64 vcc, exec, s[2:3]
	s_cbranch_vccz .LBB169_28
; %bb.27:
	s_mov_b64 s[0:1], -1
	s_mov_b32 s4, 0
.LBB169_28:
	s_andn2_b64 vcc, exec, s[0:1]
	s_cbranch_vccnz .LBB169_31
; %bb.29:
	v_add_co_u32_e32 v2, vcc, s4, v2
	v_addc_co_u32_e32 v3, vcc, 0, v3, vcc
	v_lshlrev_b64 v[2:3], 2, v[2:3]
	v_mov_b32_e32 v1, s35
	v_add_co_u32_e32 v2, vcc, s34, v2
	s_sub_i32 s0, s36, s4
	v_addc_co_u32_e32 v3, vcc, v1, v3, vcc
.LBB169_30:                             ; =>This Inner Loop Header: Depth=1
	global_load_dword v1, v[2:3], off
	s_add_i32 s0, s0, -1
	s_cmp_lg_u32 s0, 0
	s_waitcnt vmcnt(0)
	v_mul_f32_e32 v1, v0, v1
	global_store_dword v[2:3], v1, off
	v_add_co_u32_e32 v2, vcc, 4, v2
	v_addc_co_u32_e32 v3, vcc, 0, v3, vcc
	s_cbranch_scc1 .LBB169_30
.LBB169_31:
	s_endpgm
	.section	.rodata,"a",@progbits
	.p2align	6, 0x0
	.amdhsa_kernel _ZN4vllm3moe17topkGatingSoftmaxIDF16_Li16ELi64ELi8ELi32ELb0ELi1ELNS0_23SharedExpertScoringFuncE1EEEvPKT_PKbPfiPiS9_iiiiii
		.amdhsa_group_segment_fixed_size 0
		.amdhsa_private_segment_fixed_size 0
		.amdhsa_kernarg_size 72
		.amdhsa_user_sgpr_count 6
		.amdhsa_user_sgpr_private_segment_buffer 1
		.amdhsa_user_sgpr_dispatch_ptr 0
		.amdhsa_user_sgpr_queue_ptr 0
		.amdhsa_user_sgpr_kernarg_segment_ptr 1
		.amdhsa_user_sgpr_dispatch_id 0
		.amdhsa_user_sgpr_flat_scratch_init 0
		.amdhsa_user_sgpr_kernarg_preload_length 0
		.amdhsa_user_sgpr_kernarg_preload_offset 0
		.amdhsa_user_sgpr_private_segment_size 0
		.amdhsa_uses_dynamic_stack 0
		.amdhsa_system_sgpr_private_segment_wavefront_offset 0
		.amdhsa_system_sgpr_workgroup_id_x 1
		.amdhsa_system_sgpr_workgroup_id_y 0
		.amdhsa_system_sgpr_workgroup_id_z 0
		.amdhsa_system_sgpr_workgroup_info 0
		.amdhsa_system_vgpr_workitem_id 1
		.amdhsa_next_free_vgpr 49
		.amdhsa_next_free_sgpr 54
		.amdhsa_accum_offset 52
		.amdhsa_reserve_vcc 1
		.amdhsa_reserve_flat_scratch 0
		.amdhsa_float_round_mode_32 0
		.amdhsa_float_round_mode_16_64 0
		.amdhsa_float_denorm_mode_32 3
		.amdhsa_float_denorm_mode_16_64 3
		.amdhsa_dx10_clamp 1
		.amdhsa_ieee_mode 1
		.amdhsa_fp16_overflow 0
		.amdhsa_tg_split 0
		.amdhsa_exception_fp_ieee_invalid_op 0
		.amdhsa_exception_fp_denorm_src 0
		.amdhsa_exception_fp_ieee_div_zero 0
		.amdhsa_exception_fp_ieee_overflow 0
		.amdhsa_exception_fp_ieee_underflow 0
		.amdhsa_exception_fp_ieee_inexact 0
		.amdhsa_exception_int_div_zero 0
	.end_amdhsa_kernel
	.section	.text._ZN4vllm3moe17topkGatingSoftmaxIDF16_Li16ELi64ELi8ELi32ELb0ELi1ELNS0_23SharedExpertScoringFuncE1EEEvPKT_PKbPfiPiS9_iiiiii,"axG",@progbits,_ZN4vllm3moe17topkGatingSoftmaxIDF16_Li16ELi64ELi8ELi32ELb0ELi1ELNS0_23SharedExpertScoringFuncE1EEEvPKT_PKbPfiPiS9_iiiiii,comdat
.Lfunc_end169:
	.size	_ZN4vllm3moe17topkGatingSoftmaxIDF16_Li16ELi64ELi8ELi32ELb0ELi1ELNS0_23SharedExpertScoringFuncE1EEEvPKT_PKbPfiPiS9_iiiiii, .Lfunc_end169-_ZN4vllm3moe17topkGatingSoftmaxIDF16_Li16ELi64ELi8ELi32ELb0ELi1ELNS0_23SharedExpertScoringFuncE1EEEvPKT_PKbPfiPiS9_iiiiii
                                        ; -- End function
	.section	.AMDGPU.csdata,"",@progbits
; Kernel info:
; codeLenInByte = 4180
; NumSgprs: 58
; NumVgprs: 49
; NumAgprs: 0
; TotalNumVgprs: 49
; ScratchSize: 0
; MemoryBound: 0
; FloatMode: 240
; IeeeMode: 1
; LDSByteSize: 0 bytes/workgroup (compile time only)
; SGPRBlocks: 7
; VGPRBlocks: 6
; NumSGPRsForWavesPerEU: 58
; NumVGPRsForWavesPerEU: 49
; AccumOffset: 52
; Occupancy: 8
; WaveLimiterHint : 0
; COMPUTE_PGM_RSRC2:SCRATCH_EN: 0
; COMPUTE_PGM_RSRC2:USER_SGPR: 6
; COMPUTE_PGM_RSRC2:TRAP_HANDLER: 0
; COMPUTE_PGM_RSRC2:TGID_X_EN: 1
; COMPUTE_PGM_RSRC2:TGID_Y_EN: 0
; COMPUTE_PGM_RSRC2:TGID_Z_EN: 0
; COMPUTE_PGM_RSRC2:TIDIG_COMP_CNT: 1
; COMPUTE_PGM_RSRC3_GFX90A:ACCUM_OFFSET: 12
; COMPUTE_PGM_RSRC3_GFX90A:TG_SPLIT: 0
	.section	.text._ZN4vllm3moe17topkGatingSoftmaxIDF16_Li16ELi64ELi8ELi32ELb1ELi2ELNS0_23SharedExpertScoringFuncE1EEEvPKT_PKbPfiPiS9_iiiiii,"axG",@progbits,_ZN4vllm3moe17topkGatingSoftmaxIDF16_Li16ELi64ELi8ELi32ELb1ELi2ELNS0_23SharedExpertScoringFuncE1EEEvPKT_PKbPfiPiS9_iiiiii,comdat
	.protected	_ZN4vllm3moe17topkGatingSoftmaxIDF16_Li16ELi64ELi8ELi32ELb1ELi2ELNS0_23SharedExpertScoringFuncE1EEEvPKT_PKbPfiPiS9_iiiiii ; -- Begin function _ZN4vllm3moe17topkGatingSoftmaxIDF16_Li16ELi64ELi8ELi32ELb1ELi2ELNS0_23SharedExpertScoringFuncE1EEEvPKT_PKbPfiPiS9_iiiiii
	.globl	_ZN4vllm3moe17topkGatingSoftmaxIDF16_Li16ELi64ELi8ELi32ELb1ELi2ELNS0_23SharedExpertScoringFuncE1EEEvPKT_PKbPfiPiS9_iiiiii
	.p2align	8
	.type	_ZN4vllm3moe17topkGatingSoftmaxIDF16_Li16ELi64ELi8ELi32ELb1ELi2ELNS0_23SharedExpertScoringFuncE1EEEvPKT_PKbPfiPiS9_iiiiii,@function
_ZN4vllm3moe17topkGatingSoftmaxIDF16_Li16ELi64ELi8ELi32ELb1ELi2ELNS0_23SharedExpertScoringFuncE1EEEvPKT_PKbPfiPiS9_iiiiii: ; @_ZN4vllm3moe17topkGatingSoftmaxIDF16_Li16ELi64ELi8ELi32ELb1ELi2ELNS0_23SharedExpertScoringFuncE1EEEvPKT_PKbPfiPiS9_iiiiii
; %bb.0:
	s_load_dword s33, s[4:5], 0x18
	v_bfe_u32 v1, v0, 10, 10
	v_and_b32_e32 v0, 0x3ff, v0
	s_lshl_b32 s50, s6, 7
	v_lshlrev_b32_e32 v41, 4, v1
	v_lshrrev_b32_e32 v42, 2, v0
	v_add3_u32 v22, s50, v41, v42
	s_waitcnt lgkmcnt(0)
	v_cmp_gt_i32_e32 vcc, s33, v22
	s_and_saveexec_b64 s[0:1], vcc
	s_cbranch_execz .LBB170_29
; %bb.1:
	s_load_dwordx4 s[0:3], s[4:5], 0x0
	s_load_dwordx2 s[34:35], s[4:5], 0x10
	s_waitcnt lgkmcnt(0)
	s_cmp_eq_u64 s[2:3], 0
	s_cbranch_scc1 .LBB170_3
; %bb.2:
	v_ashrrev_i32_e32 v1, 31, v22
	v_mov_b32_e32 v3, s3
	v_add_co_u32_e32 v2, vcc, s2, v22
	v_addc_co_u32_e32 v3, vcc, v3, v1, vcc
	global_load_ubyte v1, v[2:3], off
	s_waitcnt vmcnt(0)
	v_and_b32_e32 v1, 1, v1
	v_cmp_eq_u32_e32 vcc, 1, v1
	s_xor_b64 s[2:3], vcc, -1
	s_orn2_b64 s[44:45], s[2:3], exec
	s_branch .LBB170_4
.LBB170_3:
	s_mov_b64 s[44:45], -1
.LBB170_4:
	s_load_dwordx2 s[8:9], s[4:5], 0x40
	s_load_dwordx4 s[36:39], s[4:5], 0x30
	v_mov_b32_e32 v4, s1
	v_and_b32_e32 v23, 3, v0
	v_lshlrev_b32_e32 v0, 5, v23
	s_waitcnt lgkmcnt(0)
	v_mul_lo_u32 v2, v22, s9
	v_ashrrev_i32_e32 v3, 31, v2
	v_lshlrev_b64 v[2:3], 1, v[2:3]
	v_add_co_u32_e32 v1, vcc, s0, v2
	v_addc_co_u32_e32 v2, vcc, v4, v3, vcc
	v_add_co_u32_e32 v8, vcc, v1, v0
	v_addc_co_u32_e32 v9, vcc, 0, v2, vcc
	global_load_dwordx4 v[12:15], v[8:9], off offset:16
	global_load_dwordx4 v[4:7], v[8:9], off
	v_lshlrev_b32_e32 v25, 4, v23
	v_mov_b32_e32 v24, 0
	v_cmp_gt_u32_e32 vcc, 2, v23
	s_and_saveexec_b64 s[0:1], vcc
	s_cbranch_execz .LBB170_6
; %bb.5:
	v_lshlrev_b32_e32 v0, 1, v23
	v_add_co_u32_e32 v0, vcc, v1, v0
	v_addc_co_u32_e32 v1, vcc, 0, v2, vcc
	global_load_ushort v0, v[0:1], off offset:128
	s_mov_b32 s2, 0x3fb8aa3b
	s_mov_b32 s3, 0x32a5705f
	s_mov_b32 s6, 0xc2ce8ed0
	s_mov_b32 s7, 0x42b17218
	v_mov_b32_e32 v3, 0x7f800000
	v_mul_lo_u32 v1, v22, s39
	s_waitcnt vmcnt(0)
	v_cvt_f32_f16_e64 v2, -v0
	v_mul_f32_e32 v8, 0x3fb8aa3b, v2
	v_fma_mix_f32 v9, -v0, s2, -v8 op_sel_hi:[1,0,0]
	v_rndne_f32_e32 v10, v8
	v_fma_mix_f32 v0, -v0, s3, v9 op_sel_hi:[1,0,0]
	v_sub_f32_e32 v8, v8, v10
	v_add_f32_e32 v0, v8, v0
	v_cvt_i32_f32_e32 v9, v10
	v_exp_f32_e32 v8, v0
	v_cmp_ngt_f32_e32 vcc, s6, v2
	v_add3_u32 v0, v1, s36, v23
	v_ashrrev_i32_e32 v1, 31, v0
	v_ldexp_f32 v8, v8, v9
	v_cndmask_b32_e32 v8, 0, v8, vcc
	v_cmp_nlt_f32_e32 vcc, s7, v2
	v_cndmask_b32_e32 v2, v3, v8, vcc
	v_add_f32_e32 v2, 1.0, v2
	v_div_scale_f32 v3, s[2:3], v2, v2, 1.0
	v_rcp_f32_e32 v8, v3
	v_div_scale_f32 v9, vcc, 1.0, v2, 1.0
	v_lshlrev_b64 v[0:1], 2, v[0:1]
	v_fma_f32 v11, -v3, v8, 1.0
	v_fmac_f32_e32 v8, v11, v8
	v_mul_f32_e32 v11, v9, v8
	v_fma_f32 v16, -v3, v11, v9
	v_fmac_f32_e32 v11, v16, v8
	v_fma_f32 v3, -v3, v11, v9
	v_mov_b32_e32 v10, s35
	v_div_fmas_f32 v3, v3, v8, v11
	v_add_co_u32_e32 v0, vcc, s34, v0
	v_div_fixup_f32 v2, v3, v2, 1.0
	v_addc_co_u32_e32 v1, vcc, v10, v1, vcc
	global_store_dword v[0:1], v2, off
.LBB170_6:
	s_or_b64 exec, exec, s[0:1]
	s_waitcnt vmcnt(0)
	v_cvt_f32_f16_e32 v0, v4
	v_cvt_f32_f16_sdwa v1, v4 dst_sel:DWORD dst_unused:UNUSED_PAD src0_sel:WORD_1
	v_cvt_f32_f16_e32 v2, v5
	v_cmp_lt_f16_sdwa vcc, v4, v4 src0_sel:DWORD src1_sel:WORD_1
	v_or_b32_e32 v26, 1, v25
	v_cndmask_b32_e32 v4, v0, v1, vcc
	v_cndmask_b32_e32 v3, v25, v26, vcc
	v_or_b32_e32 v27, 2, v25
	v_cmp_lt_f32_e32 vcc, v4, v2
	v_cndmask_b32_e32 v8, v3, v27, vcc
	v_cvt_f32_f16_sdwa v3, v5 dst_sel:DWORD dst_unused:UNUSED_PAD src0_sel:WORD_1
	v_cndmask_b32_e32 v4, v4, v2, vcc
	v_or_b32_e32 v28, 3, v25
	v_or_b32_e32 v29, 4, v25
	v_cmp_lt_f32_e32 vcc, v4, v3
	v_cndmask_b32_e32 v5, v8, v28, vcc
	v_cndmask_b32_e32 v8, v4, v3, vcc
	v_cvt_f32_f16_e32 v4, v6
	v_or_b32_e32 v30, 5, v25
	v_or_b32_e32 v31, 6, v25
	;; [unrolled: 1-line block ×3, first 2 shown]
	v_cmp_lt_f32_e32 vcc, v8, v4
	v_cndmask_b32_e32 v9, v5, v29, vcc
	v_cvt_f32_f16_sdwa v5, v6 dst_sel:DWORD dst_unused:UNUSED_PAD src0_sel:WORD_1
	v_cvt_f32_f16_e32 v6, v7
	v_cndmask_b32_e32 v8, v8, v4, vcc
	v_cvt_f32_f16_sdwa v7, v7 dst_sel:DWORD dst_unused:UNUSED_PAD src0_sel:WORD_1
	v_cmp_lt_f32_e32 vcc, v8, v5
	v_cndmask_b32_e32 v8, v8, v5, vcc
	v_cndmask_b32_e32 v9, v9, v30, vcc
	v_cmp_lt_f32_e32 vcc, v8, v6
	v_cndmask_b32_e32 v8, v8, v6, vcc
	v_cndmask_b32_e32 v9, v9, v31, vcc
	v_cmp_lt_f32_e32 vcc, v8, v7
	v_cndmask_b32_e32 v10, v8, v7, vcc
	v_cvt_f32_f16_e32 v8, v12
	v_cndmask_b32_e32 v9, v9, v32, vcc
	v_or_b32_e32 v33, 8, v25
	v_or_b32_e32 v34, 9, v25
	v_cmp_lt_f32_e32 vcc, v10, v8
	v_cndmask_b32_e32 v11, v9, v33, vcc
	v_cvt_f32_f16_sdwa v9, v12 dst_sel:DWORD dst_unused:UNUSED_PAD src0_sel:WORD_1
	v_cndmask_b32_e32 v10, v10, v8, vcc
	v_or_b32_e32 v35, 10, v25
	v_or_b32_e32 v36, 11, v25
	v_cmp_lt_f32_e32 vcc, v10, v9
	v_cndmask_b32_e32 v12, v10, v9, vcc
	v_cvt_f32_f16_e32 v10, v13
	v_cndmask_b32_e32 v11, v11, v34, vcc
	v_or_b32_e32 v37, 12, v25
	v_or_b32_e32 v38, 13, v25
	v_cmp_lt_f32_e32 vcc, v12, v10
	v_cndmask_b32_e32 v16, v11, v35, vcc
	v_cvt_f32_f16_sdwa v11, v13 dst_sel:DWORD dst_unused:UNUSED_PAD src0_sel:WORD_1
	v_cndmask_b32_e32 v12, v12, v10, vcc
	v_or_b32_e32 v39, 14, v25
	v_or_b32_e32 v40, 15, v25
	v_cmp_lt_f32_e32 vcc, v12, v11
	v_cndmask_b32_e32 v13, v16, v36, vcc
	v_cndmask_b32_e32 v16, v12, v11, vcc
	v_cvt_f32_f16_e32 v12, v14
	v_cmp_lt_f32_e32 vcc, v16, v12
	v_cndmask_b32_e32 v17, v13, v37, vcc
	v_cvt_f32_f16_sdwa v13, v14 dst_sel:DWORD dst_unused:UNUSED_PAD src0_sel:WORD_1
	v_cvt_f32_f16_e32 v14, v15
	v_cndmask_b32_e32 v16, v16, v12, vcc
	v_cvt_f32_f16_sdwa v15, v15 dst_sel:DWORD dst_unused:UNUSED_PAD src0_sel:WORD_1
	v_cmp_lt_f32_e32 vcc, v16, v13
	v_cndmask_b32_e32 v16, v16, v13, vcc
	v_cndmask_b32_e32 v17, v17, v38, vcc
	v_cmp_lt_f32_e32 vcc, v16, v14
	v_cndmask_b32_e32 v16, v16, v14, vcc
	v_cndmask_b32_e32 v17, v17, v39, vcc
	;; [unrolled: 3-line block ×3, first 2 shown]
	s_nop 0
	v_mov_b32_dpp v19, v17 quad_perm:[1,0,3,2] row_mask:0xf bank_mask:0xf
	v_mov_b32_dpp v18, v16 quad_perm:[1,0,3,2] row_mask:0xf bank_mask:0xf
	v_cmp_eq_f32_e64 s[0:1], v16, v18
	v_cmp_lt_i32_e64 s[2:3], v19, v17
	v_cmp_lt_f32_e32 vcc, v16, v18
	s_and_b64 s[0:1], s[0:1], s[2:3]
	s_or_b64 vcc, vcc, s[0:1]
	v_cndmask_b32_e32 v16, v16, v18, vcc
	v_cndmask_b32_e32 v17, v17, v19, vcc
	s_cmp_gt_i32 s36, 0
	s_cselect_b64 s[46:47], -1, 0
	s_cmp_lt_i32 s36, 1
	v_cmp_eq_u32_e32 vcc, 0, v23
	v_mov_b32_dpp v18, v17 quad_perm:[2,3,0,1] row_mask:0xf bank_mask:0xf
	v_mov_b32_dpp v19, v16 quad_perm:[2,3,0,1] row_mask:0xf bank_mask:0xf
	s_cbranch_scc1 .LBB170_18
; %bb.7:
	s_load_dwordx4 s[40:43], s[4:5], 0x20
	v_cmp_eq_f32_e64 s[2:3], v16, v19
	v_cmp_lt_i32_e64 s[6:7], v18, v17
	v_cmp_lt_f32_e64 s[0:1], v16, v19
	s_and_b64 s[2:3], s[2:3], s[6:7]
	s_or_b64 s[0:1], s[0:1], s[2:3]
	v_cndmask_b32_e64 v44, v17, v18, s[0:1]
	v_cndmask_b32_e64 v43, v16, v19, s[0:1]
	v_mul_lo_u32 v20, v22, s39
	v_mul_lo_u32 v18, v22, s8
	;; [unrolled: 1-line block ×3, first 2 shown]
	v_mov_b32_e32 v24, 0
	s_and_saveexec_b64 s[4:5], vcc
	s_cbranch_execz .LBB170_9
; %bb.8:
	v_sub_f32_e32 v17, v43, v43
	v_mul_f32_e32 v19, 0x3fb8aa3b, v17
	s_mov_b32 s0, 0x3fb8aa3b
	v_rndne_f32_e32 v21, v19
	v_sub_f32_e32 v24, v19, v21
	v_fma_f32 v19, v17, s0, -v19
	v_fmac_f32_e32 v19, 0x32a5705f, v17
	v_add_f32_e32 v19, v24, v19
	v_exp_f32_e32 v19, v19
	v_cvt_i32_f32_e32 v21, v21
	v_cmp_le_i32_e64 s[0:1], s37, v44
	v_cmp_gt_i32_e64 s[2:3], s38, v44
	s_and_b64 s[2:3], s[0:1], s[2:3]
	s_mov_b32 s0, 0xc2ce8ed0
	v_ldexp_f32 v19, v19, v21
	v_cmp_ngt_f32_e64 s[0:1], s0, v17
	v_cndmask_b32_e64 v19, 0, v19, s[0:1]
	s_mov_b32 s0, 0x42b17218
	v_mov_b32_e32 v21, 0x7f800000
	v_cmp_nlt_f32_e64 s[0:1], s0, v17
	v_cndmask_b32_e64 v24, v21, v19, s[0:1]
	v_ashrrev_i32_e32 v21, 31, v20
	v_lshlrev_b64 v[46:47], 2, v[20:21]
	v_mov_b32_e32 v17, s35
	v_add_co_u32_e64 v46, s[0:1], s34, v46
	v_addc_co_u32_e64 v47, s[0:1], v17, v47, s[0:1]
	v_ashrrev_i32_e32 v19, 31, v18
	global_store_dword v[46:47], v24, off
	v_subrev_u32_e32 v17, s37, v44
	s_and_b64 s[0:1], s[44:45], s[2:3]
	v_lshlrev_b64 v[46:47], 2, v[18:19]
	v_cndmask_b32_e64 v17, 64, v17, s[0:1]
	s_waitcnt lgkmcnt(0)
	v_mov_b32_e32 v19, s41
	v_add_co_u32_e64 v46, s[0:1], s40, v46
	v_addc_co_u32_e64 v47, s[0:1], v19, v47, s[0:1]
	global_store_dword v[46:47], v17, off
	v_ashrrev_i32_e32 v17, 31, v16
	v_lshlrev_b64 v[46:47], 2, v[16:17]
	v_mov_b32_e32 v17, s43
	v_add_co_u32_e64 v46, s[0:1], s42, v46
	v_addc_co_u32_e64 v47, s[0:1], v17, v47, s[0:1]
	global_store_dword v[46:47], v22, off
.LBB170_9:
	s_or_b64 exec, exec, s[4:5]
	v_ashrrev_i32_e32 v19, 31, v44
	v_lshrrev_b32_e32 v17, 28, v19
	v_add_u32_e32 v17, v44, v17
	v_ashrrev_i32_e32 v17, 4, v17
	v_lshrrev_b32_e32 v21, 30, v17
	v_add_u32_e32 v21, v17, v21
	v_and_b32_e32 v21, -4, v21
	v_sub_u32_e32 v21, v17, v21
	v_cmp_eq_u32_e64 s[0:1], v23, v21
	s_and_saveexec_b64 s[48:49], s[0:1]
	s_cbranch_execz .LBB170_11
; %bb.10:
	v_lshrrev_b32_e32 v19, 26, v19
	v_add_u32_e32 v19, v44, v19
	v_lshlrev_b32_e32 v17, 4, v17
	v_sub_u32_e32 v17, v44, v17
	v_ashrrev_i32_e32 v19, 6, v19
	v_lshl_add_u32 v17, v19, 4, v17
	v_mov_b32_e32 v19, 0xff800000
	v_cmp_ne_u32_e64 s[0:1], 14, v17
	v_cmp_ne_u32_e64 s[2:3], 13, v17
	;; [unrolled: 1-line block ×16, first 2 shown]
	v_cndmask_b32_e64 v15, v19, v15, s[30:31]
	v_cndmask_b32_e64 v14, v19, v14, s[0:1]
	;; [unrolled: 1-line block ×16, first 2 shown]
.LBB170_11:
	s_or_b64 exec, exec, s[48:49]
	s_cmp_eq_u32 s36, 1
	s_cbranch_scc1 .LBB170_18
; %bb.12:
	s_add_i32 s50, s50, s33
	s_add_i32 s51, s36, -1
	v_add3_u32 v41, s50, v42, v41
	v_add_u32_e32 v16, 1, v16
	v_add_u32_e32 v18, 1, v18
	v_add_u32_e32 v20, 1, v20
	s_mov_b32 s50, 0x3fb8aa3b
	s_mov_b32 s52, 0xc2ce8ed0
	;; [unrolled: 1-line block ×3, first 2 shown]
	v_mov_b32_e32 v42, 0x7f800000
	v_mov_b32_e32 v44, 0xff800000
	s_branch .LBB170_14
.LBB170_13:                             ;   in Loop: Header=BB170_14 Depth=1
	s_or_b64 exec, exec, s[48:49]
	s_add_i32 s51, s51, -1
	v_add_u32_e32 v41, s33, v41
	v_add_u32_e32 v16, 1, v16
	;; [unrolled: 1-line block ×3, first 2 shown]
	s_cmp_eq_u32 s51, 0
	v_add_u32_e32 v20, 1, v20
	s_cbranch_scc1 .LBB170_18
.LBB170_14:                             ; =>This Inner Loop Header: Depth=1
	v_cmp_gt_f32_e64 s[0:1], v1, v0
	v_cndmask_b32_e64 v19, v0, v1, s[0:1]
	v_cndmask_b32_e64 v17, v25, v26, s[0:1]
	v_cmp_gt_f32_e64 s[0:1], v2, v19
	v_cndmask_b32_e64 v19, v19, v2, s[0:1]
	v_cndmask_b32_e64 v17, v17, v27, s[0:1]
	;; [unrolled: 3-line block ×15, first 2 shown]
	s_nop 0
	v_mov_b32_dpp v45, v21 quad_perm:[1,0,3,2] row_mask:0xf bank_mask:0xf
	v_mov_b32_dpp v19, v17 quad_perm:[1,0,3,2] row_mask:0xf bank_mask:0xf
	v_cmp_eq_f32_e64 s[2:3], v17, v19
	v_cmp_lt_i32_e64 s[4:5], v45, v21
	v_cmp_lt_f32_e64 s[0:1], v17, v19
	s_and_b64 s[2:3], s[2:3], s[4:5]
	s_or_b64 s[0:1], s[0:1], s[2:3]
	v_cndmask_b32_e64 v17, v17, v19, s[0:1]
	v_cndmask_b32_e64 v21, v21, v45, s[0:1]
	s_nop 0
	v_mov_b32_dpp v19, v17 quad_perm:[2,3,0,1] row_mask:0xf bank_mask:0xf
	v_mov_b32_dpp v45, v21 quad_perm:[2,3,0,1] row_mask:0xf bank_mask:0xf
	v_cmp_eq_f32_e64 s[2:3], v17, v19
	v_cmp_lt_i32_e64 s[4:5], v45, v21
	v_cmp_lt_f32_e64 s[0:1], v17, v19
	s_and_b64 s[2:3], s[2:3], s[4:5]
	s_or_b64 s[0:1], s[0:1], s[2:3]
	v_cndmask_b32_e64 v45, v21, v45, s[0:1]
	s_and_saveexec_b64 s[4:5], vcc
	s_cbranch_execz .LBB170_16
; %bb.15:                               ;   in Loop: Header=BB170_14 Depth=1
	v_cndmask_b32_e64 v17, v17, v19, s[0:1]
	v_sub_f32_e32 v17, v17, v43
	v_mul_f32_e32 v19, 0x3fb8aa3b, v17
	v_fma_f32 v21, v17, s50, -v19
	v_rndne_f32_e32 v46, v19
	v_fmac_f32_e32 v21, 0x32a5705f, v17
	v_sub_f32_e32 v19, v19, v46
	v_add_f32_e32 v19, v19, v21
	v_exp_f32_e32 v19, v19
	v_cvt_i32_f32_e32 v21, v46
	v_cmp_le_i32_e64 s[0:1], s37, v45
	v_cmp_gt_i32_e64 s[2:3], s38, v45
	s_and_b64 s[2:3], s[0:1], s[2:3]
	v_ldexp_f32 v19, v19, v21
	v_cmp_ngt_f32_e64 s[0:1], s52, v17
	v_ashrrev_i32_e32 v21, 31, v20
	v_cndmask_b32_e64 v19, 0, v19, s[0:1]
	v_cmp_nlt_f32_e64 s[0:1], s53, v17
	v_lshlrev_b64 v[46:47], 2, v[20:21]
	v_cndmask_b32_e64 v48, v42, v19, s[0:1]
	v_mov_b32_e32 v17, s35
	v_add_co_u32_e64 v46, s[0:1], s34, v46
	v_addc_co_u32_e64 v47, s[0:1], v17, v47, s[0:1]
	v_ashrrev_i32_e32 v19, 31, v18
	global_store_dword v[46:47], v48, off
	v_subrev_u32_e32 v17, s37, v45
	s_and_b64 s[0:1], s[44:45], s[2:3]
	v_lshlrev_b64 v[46:47], 2, v[18:19]
	v_cndmask_b32_e64 v17, 64, v17, s[0:1]
	s_waitcnt lgkmcnt(0)
	v_mov_b32_e32 v19, s41
	v_add_co_u32_e64 v46, s[0:1], s40, v46
	v_addc_co_u32_e64 v47, s[0:1], v19, v47, s[0:1]
	global_store_dword v[46:47], v17, off
	v_ashrrev_i32_e32 v17, 31, v16
	v_lshlrev_b64 v[46:47], 2, v[16:17]
	v_mov_b32_e32 v17, s43
	v_add_co_u32_e64 v46, s[0:1], s42, v46
	v_addc_co_u32_e64 v47, s[0:1], v17, v47, s[0:1]
	v_add_f32_e32 v24, v24, v48
	global_store_dword v[46:47], v41, off
.LBB170_16:                             ;   in Loop: Header=BB170_14 Depth=1
	s_or_b64 exec, exec, s[4:5]
	v_ashrrev_i32_e32 v19, 31, v45
	v_lshrrev_b32_e32 v17, 28, v19
	v_add_u32_e32 v17, v45, v17
	v_ashrrev_i32_e32 v17, 4, v17
	v_lshrrev_b32_e32 v21, 30, v17
	v_add_u32_e32 v21, v17, v21
	v_and_b32_e32 v21, -4, v21
	v_sub_u32_e32 v21, v17, v21
	v_cmp_eq_u32_e64 s[0:1], v23, v21
	s_and_saveexec_b64 s[48:49], s[0:1]
	s_cbranch_execz .LBB170_13
; %bb.17:                               ;   in Loop: Header=BB170_14 Depth=1
	v_lshrrev_b32_e32 v19, 26, v19
	v_add_u32_e32 v19, v45, v19
	v_lshlrev_b32_e32 v17, 4, v17
	v_sub_u32_e32 v17, v45, v17
	v_ashrrev_i32_e32 v19, 6, v19
	v_lshl_add_u32 v17, v19, 4, v17
	v_cmp_ne_u32_e64 s[0:1], 14, v17
	v_cmp_ne_u32_e64 s[2:3], 13, v17
	;; [unrolled: 1-line block ×16, first 2 shown]
	v_cndmask_b32_e64 v15, v44, v15, s[30:31]
	v_cndmask_b32_e64 v14, v44, v14, s[0:1]
	;; [unrolled: 1-line block ×16, first 2 shown]
	s_branch .LBB170_13
.LBB170_18:
	v_cmp_eq_u32_e32 vcc, 0, v23
	v_cmp_neq_f32_e64 s[0:1], 0, v24
	s_and_b64 s[0:1], vcc, s[0:1]
	s_and_b64 exec, exec, s[0:1]
	s_cbranch_execz .LBB170_29
; %bb.19:
	s_andn2_b64 vcc, exec, s[46:47]
	s_cbranch_vccnz .LBB170_29
; %bb.20:
	v_div_scale_f32 v0, s[0:1], v24, v24, 1.0
	v_rcp_f32_e32 v1, v0
	v_div_scale_f32 v2, vcc, 1.0, v24, 1.0
	s_cmp_gt_u32 s36, 3
	v_fma_f32 v3, -v0, v1, 1.0
	v_fmac_f32_e32 v1, v3, v1
	v_mul_f32_e32 v3, v2, v1
	v_fma_f32 v4, -v0, v3, v2
	v_fmac_f32_e32 v3, v4, v1
	v_fma_f32 v0, -v0, v3, v2
	v_div_fmas_f32 v0, v0, v1, v3
	v_mul_lo_u32 v2, v22, s39
	v_div_fixup_f32 v0, v0, v24, 1.0
	v_ashrrev_i32_e32 v3, 31, v2
	s_cbranch_scc0 .LBB170_24
; %bb.21:
	v_lshlrev_b64 v[4:5], 2, v[2:3]
	v_mov_b32_e32 v6, s35
	v_add_co_u32_e32 v4, vcc, s34, v4
	v_addc_co_u32_e32 v5, vcc, v5, v6, vcc
	s_and_b32 s4, s36, 0x7ffffffc
	v_add_co_u32_e32 v4, vcc, 8, v4
	v_mov_b32_e32 v1, v0
	v_addc_co_u32_e32 v5, vcc, 0, v5, vcc
	s_mov_b32 s0, s4
.LBB170_22:                             ; =>This Inner Loop Header: Depth=1
	global_load_dwordx4 v[6:9], v[4:5], off offset:-8
	s_add_i32 s0, s0, -4
	s_cmp_lg_u32 s0, 0
	s_waitcnt vmcnt(0)
	v_pk_mul_f32 v[6:7], v[0:1], v[6:7]
	v_pk_mul_f32 v[8:9], v[0:1], v[8:9]
	global_store_dwordx4 v[4:5], v[6:9], off offset:-8
	v_add_co_u32_e32 v4, vcc, 16, v4
	v_addc_co_u32_e32 v5, vcc, 0, v5, vcc
	s_cbranch_scc1 .LBB170_22
; %bb.23:
	s_cmp_lg_u32 s4, s36
	s_cselect_b64 s[0:1], -1, 0
	s_branch .LBB170_26
.LBB170_24:
	s_mov_b64 s[0:1], 0
                                        ; implicit-def: $sgpr4
	s_cbranch_execz .LBB170_26
; %bb.25:
	s_mov_b64 s[0:1], -1
	s_mov_b32 s4, 0
.LBB170_26:
	s_andn2_b64 vcc, exec, s[0:1]
	s_cbranch_vccnz .LBB170_29
; %bb.27:
	v_add_co_u32_e32 v2, vcc, s4, v2
	v_addc_co_u32_e32 v3, vcc, 0, v3, vcc
	v_lshlrev_b64 v[2:3], 2, v[2:3]
	v_mov_b32_e32 v1, s35
	v_add_co_u32_e32 v2, vcc, s34, v2
	s_sub_i32 s0, s36, s4
	v_addc_co_u32_e32 v3, vcc, v1, v3, vcc
.LBB170_28:                             ; =>This Inner Loop Header: Depth=1
	global_load_dword v1, v[2:3], off
	s_add_i32 s0, s0, -1
	s_cmp_lg_u32 s0, 0
	s_waitcnt vmcnt(0)
	v_mul_f32_e32 v1, v0, v1
	global_store_dword v[2:3], v1, off
	v_add_co_u32_e32 v2, vcc, 4, v2
	v_addc_co_u32_e32 v3, vcc, 0, v3, vcc
	s_cbranch_scc1 .LBB170_28
.LBB170_29:
	s_endpgm
	.section	.rodata,"a",@progbits
	.p2align	6, 0x0
	.amdhsa_kernel _ZN4vllm3moe17topkGatingSoftmaxIDF16_Li16ELi64ELi8ELi32ELb1ELi2ELNS0_23SharedExpertScoringFuncE1EEEvPKT_PKbPfiPiS9_iiiiii
		.amdhsa_group_segment_fixed_size 0
		.amdhsa_private_segment_fixed_size 0
		.amdhsa_kernarg_size 72
		.amdhsa_user_sgpr_count 6
		.amdhsa_user_sgpr_private_segment_buffer 1
		.amdhsa_user_sgpr_dispatch_ptr 0
		.amdhsa_user_sgpr_queue_ptr 0
		.amdhsa_user_sgpr_kernarg_segment_ptr 1
		.amdhsa_user_sgpr_dispatch_id 0
		.amdhsa_user_sgpr_flat_scratch_init 0
		.amdhsa_user_sgpr_kernarg_preload_length 0
		.amdhsa_user_sgpr_kernarg_preload_offset 0
		.amdhsa_user_sgpr_private_segment_size 0
		.amdhsa_uses_dynamic_stack 0
		.amdhsa_system_sgpr_private_segment_wavefront_offset 0
		.amdhsa_system_sgpr_workgroup_id_x 1
		.amdhsa_system_sgpr_workgroup_id_y 0
		.amdhsa_system_sgpr_workgroup_id_z 0
		.amdhsa_system_sgpr_workgroup_info 0
		.amdhsa_system_vgpr_workitem_id 1
		.amdhsa_next_free_vgpr 49
		.amdhsa_next_free_sgpr 54
		.amdhsa_accum_offset 52
		.amdhsa_reserve_vcc 1
		.amdhsa_reserve_flat_scratch 0
		.amdhsa_float_round_mode_32 0
		.amdhsa_float_round_mode_16_64 0
		.amdhsa_float_denorm_mode_32 3
		.amdhsa_float_denorm_mode_16_64 3
		.amdhsa_dx10_clamp 1
		.amdhsa_ieee_mode 1
		.amdhsa_fp16_overflow 0
		.amdhsa_tg_split 0
		.amdhsa_exception_fp_ieee_invalid_op 0
		.amdhsa_exception_fp_denorm_src 0
		.amdhsa_exception_fp_ieee_div_zero 0
		.amdhsa_exception_fp_ieee_overflow 0
		.amdhsa_exception_fp_ieee_underflow 0
		.amdhsa_exception_fp_ieee_inexact 0
		.amdhsa_exception_int_div_zero 0
	.end_amdhsa_kernel
	.section	.text._ZN4vllm3moe17topkGatingSoftmaxIDF16_Li16ELi64ELi8ELi32ELb1ELi2ELNS0_23SharedExpertScoringFuncE1EEEvPKT_PKbPfiPiS9_iiiiii,"axG",@progbits,_ZN4vllm3moe17topkGatingSoftmaxIDF16_Li16ELi64ELi8ELi32ELb1ELi2ELNS0_23SharedExpertScoringFuncE1EEEvPKT_PKbPfiPiS9_iiiiii,comdat
.Lfunc_end170:
	.size	_ZN4vllm3moe17topkGatingSoftmaxIDF16_Li16ELi64ELi8ELi32ELb1ELi2ELNS0_23SharedExpertScoringFuncE1EEEvPKT_PKbPfiPiS9_iiiiii, .Lfunc_end170-_ZN4vllm3moe17topkGatingSoftmaxIDF16_Li16ELi64ELi8ELi32ELb1ELi2ELNS0_23SharedExpertScoringFuncE1EEEvPKT_PKbPfiPiS9_iiiiii
                                        ; -- End function
	.section	.AMDGPU.csdata,"",@progbits
; Kernel info:
; codeLenInByte = 3216
; NumSgprs: 58
; NumVgprs: 49
; NumAgprs: 0
; TotalNumVgprs: 49
; ScratchSize: 0
; MemoryBound: 0
; FloatMode: 240
; IeeeMode: 1
; LDSByteSize: 0 bytes/workgroup (compile time only)
; SGPRBlocks: 7
; VGPRBlocks: 6
; NumSGPRsForWavesPerEU: 58
; NumVGPRsForWavesPerEU: 49
; AccumOffset: 52
; Occupancy: 8
; WaveLimiterHint : 0
; COMPUTE_PGM_RSRC2:SCRATCH_EN: 0
; COMPUTE_PGM_RSRC2:USER_SGPR: 6
; COMPUTE_PGM_RSRC2:TRAP_HANDLER: 0
; COMPUTE_PGM_RSRC2:TGID_X_EN: 1
; COMPUTE_PGM_RSRC2:TGID_Y_EN: 0
; COMPUTE_PGM_RSRC2:TGID_Z_EN: 0
; COMPUTE_PGM_RSRC2:TIDIG_COMP_CNT: 1
; COMPUTE_PGM_RSRC3_GFX90A:ACCUM_OFFSET: 12
; COMPUTE_PGM_RSRC3_GFX90A:TG_SPLIT: 0
	.section	.text._ZN4vllm3moe17topkGatingSoftmaxIDF16_Li16ELi64ELi8ELi32ELb0ELi2ELNS0_23SharedExpertScoringFuncE1EEEvPKT_PKbPfiPiS9_iiiiii,"axG",@progbits,_ZN4vllm3moe17topkGatingSoftmaxIDF16_Li16ELi64ELi8ELi32ELb0ELi2ELNS0_23SharedExpertScoringFuncE1EEEvPKT_PKbPfiPiS9_iiiiii,comdat
	.protected	_ZN4vllm3moe17topkGatingSoftmaxIDF16_Li16ELi64ELi8ELi32ELb0ELi2ELNS0_23SharedExpertScoringFuncE1EEEvPKT_PKbPfiPiS9_iiiiii ; -- Begin function _ZN4vllm3moe17topkGatingSoftmaxIDF16_Li16ELi64ELi8ELi32ELb0ELi2ELNS0_23SharedExpertScoringFuncE1EEEvPKT_PKbPfiPiS9_iiiiii
	.globl	_ZN4vllm3moe17topkGatingSoftmaxIDF16_Li16ELi64ELi8ELi32ELb0ELi2ELNS0_23SharedExpertScoringFuncE1EEEvPKT_PKbPfiPiS9_iiiiii
	.p2align	8
	.type	_ZN4vllm3moe17topkGatingSoftmaxIDF16_Li16ELi64ELi8ELi32ELb0ELi2ELNS0_23SharedExpertScoringFuncE1EEEvPKT_PKbPfiPiS9_iiiiii,@function
_ZN4vllm3moe17topkGatingSoftmaxIDF16_Li16ELi64ELi8ELi32ELb0ELi2ELNS0_23SharedExpertScoringFuncE1EEEvPKT_PKbPfiPiS9_iiiiii: ; @_ZN4vllm3moe17topkGatingSoftmaxIDF16_Li16ELi64ELi8ELi32ELb0ELi2ELNS0_23SharedExpertScoringFuncE1EEEvPKT_PKbPfiPiS9_iiiiii
; %bb.0:
	s_load_dword s33, s[4:5], 0x18
	v_bfe_u32 v1, v0, 10, 10
	v_and_b32_e32 v0, 0x3ff, v0
	s_lshl_b32 s50, s6, 7
	v_lshlrev_b32_e32 v40, 4, v1
	v_lshrrev_b32_e32 v41, 2, v0
	v_add3_u32 v22, s50, v40, v41
	s_waitcnt lgkmcnt(0)
	v_cmp_gt_i32_e32 vcc, s33, v22
	s_and_saveexec_b64 s[0:1], vcc
	s_cbranch_execz .LBB171_31
; %bb.1:
	s_load_dwordx4 s[0:3], s[4:5], 0x0
	s_load_dwordx2 s[34:35], s[4:5], 0x10
	s_waitcnt lgkmcnt(0)
	s_cmp_eq_u64 s[2:3], 0
	s_cbranch_scc1 .LBB171_3
; %bb.2:
	v_ashrrev_i32_e32 v1, 31, v22
	v_mov_b32_e32 v3, s3
	v_add_co_u32_e32 v2, vcc, s2, v22
	v_addc_co_u32_e32 v3, vcc, v3, v1, vcc
	global_load_ubyte v1, v[2:3], off
	s_waitcnt vmcnt(0)
	v_and_b32_e32 v1, 1, v1
	v_cmp_eq_u32_e32 vcc, 1, v1
	s_xor_b64 s[2:3], vcc, -1
	s_orn2_b64 s[46:47], s[2:3], exec
	s_branch .LBB171_4
.LBB171_3:
	s_mov_b64 s[46:47], -1
.LBB171_4:
	s_load_dwordx2 s[6:7], s[4:5], 0x40
	s_load_dwordx4 s[36:39], s[4:5], 0x30
	v_mov_b32_e32 v4, s1
	v_and_b32_e32 v23, 3, v0
	v_lshlrev_b32_e32 v0, 5, v23
	s_waitcnt lgkmcnt(0)
	v_mul_lo_u32 v2, v22, s7
	v_ashrrev_i32_e32 v3, 31, v2
	v_lshlrev_b64 v[2:3], 1, v[2:3]
	v_add_co_u32_e32 v1, vcc, s0, v2
	v_addc_co_u32_e32 v2, vcc, v4, v3, vcc
	v_add_co_u32_e32 v8, vcc, v1, v0
	v_addc_co_u32_e32 v9, vcc, 0, v2, vcc
	global_load_dwordx4 v[12:15], v[8:9], off offset:16
	global_load_dwordx4 v[4:7], v[8:9], off
	v_lshlrev_b32_e32 v26, 4, v23
	v_mov_b32_e32 v24, 0
	v_cmp_gt_u32_e32 vcc, 2, v23
	s_and_saveexec_b64 s[0:1], vcc
	s_cbranch_execz .LBB171_6
; %bb.5:
	v_lshlrev_b32_e32 v0, 1, v23
	v_add_co_u32_e32 v0, vcc, v1, v0
	v_addc_co_u32_e32 v1, vcc, 0, v2, vcc
	global_load_ushort v0, v[0:1], off offset:128
	s_mov_b32 s2, 0x3fb8aa3b
	s_mov_b32 s3, 0x32a5705f
	;; [unrolled: 1-line block ×4, first 2 shown]
	v_mov_b32_e32 v3, 0x7f800000
	v_mul_lo_u32 v1, v22, s39
	s_waitcnt vmcnt(0)
	v_cvt_f32_f16_e64 v2, -v0
	v_mul_f32_e32 v8, 0x3fb8aa3b, v2
	v_fma_mix_f32 v9, -v0, s2, -v8 op_sel_hi:[1,0,0]
	v_rndne_f32_e32 v10, v8
	v_fma_mix_f32 v0, -v0, s3, v9 op_sel_hi:[1,0,0]
	v_sub_f32_e32 v8, v8, v10
	v_add_f32_e32 v0, v8, v0
	v_cvt_i32_f32_e32 v9, v10
	v_exp_f32_e32 v8, v0
	v_cmp_ngt_f32_e32 vcc, s7, v2
	v_add3_u32 v0, v1, s36, v23
	v_ashrrev_i32_e32 v1, 31, v0
	v_ldexp_f32 v8, v8, v9
	v_cndmask_b32_e32 v8, 0, v8, vcc
	v_cmp_nlt_f32_e32 vcc, s8, v2
	v_cndmask_b32_e32 v2, v3, v8, vcc
	v_add_f32_e32 v2, 1.0, v2
	v_div_scale_f32 v3, s[2:3], v2, v2, 1.0
	v_rcp_f32_e32 v8, v3
	v_div_scale_f32 v9, vcc, 1.0, v2, 1.0
	v_lshlrev_b64 v[0:1], 2, v[0:1]
	v_fma_f32 v11, -v3, v8, 1.0
	v_fmac_f32_e32 v8, v11, v8
	v_mul_f32_e32 v11, v9, v8
	v_fma_f32 v16, -v3, v11, v9
	v_fmac_f32_e32 v11, v16, v8
	v_fma_f32 v3, -v3, v11, v9
	v_mov_b32_e32 v10, s35
	v_div_fmas_f32 v3, v3, v8, v11
	v_add_co_u32_e32 v0, vcc, s34, v0
	v_div_fixup_f32 v2, v3, v2, 1.0
	v_addc_co_u32_e32 v1, vcc, v10, v1, vcc
	global_store_dword v[0:1], v2, off
.LBB171_6:
	s_or_b64 exec, exec, s[0:1]
	s_waitcnt vmcnt(0)
	v_cvt_f32_f16_e32 v0, v4
	v_cvt_f32_f16_sdwa v1, v4 dst_sel:DWORD dst_unused:UNUSED_PAD src0_sel:WORD_1
	v_cvt_f32_f16_e32 v2, v5
	v_cmp_lt_f16_sdwa vcc, v4, v4 src0_sel:DWORD src1_sel:WORD_1
	v_or_b32_e32 v27, 1, v26
	v_cndmask_b32_e32 v4, v0, v1, vcc
	v_cndmask_b32_e32 v3, v26, v27, vcc
	v_or_b32_e32 v28, 2, v26
	v_cmp_lt_f32_e32 vcc, v4, v2
	v_cndmask_b32_e32 v8, v3, v28, vcc
	v_cvt_f32_f16_sdwa v3, v5 dst_sel:DWORD dst_unused:UNUSED_PAD src0_sel:WORD_1
	v_cndmask_b32_e32 v4, v4, v2, vcc
	v_or_b32_e32 v29, 3, v26
	v_or_b32_e32 v30, 4, v26
	v_cmp_lt_f32_e32 vcc, v4, v3
	v_cndmask_b32_e32 v5, v8, v29, vcc
	v_cndmask_b32_e32 v8, v4, v3, vcc
	v_cvt_f32_f16_e32 v4, v6
	v_or_b32_e32 v31, 5, v26
	v_or_b32_e32 v32, 6, v26
	;; [unrolled: 1-line block ×3, first 2 shown]
	v_cmp_lt_f32_e32 vcc, v8, v4
	v_cndmask_b32_e32 v9, v5, v30, vcc
	v_cvt_f32_f16_sdwa v5, v6 dst_sel:DWORD dst_unused:UNUSED_PAD src0_sel:WORD_1
	v_cvt_f32_f16_e32 v6, v7
	v_cndmask_b32_e32 v8, v8, v4, vcc
	v_cvt_f32_f16_sdwa v7, v7 dst_sel:DWORD dst_unused:UNUSED_PAD src0_sel:WORD_1
	v_cmp_lt_f32_e32 vcc, v8, v5
	v_cndmask_b32_e32 v8, v8, v5, vcc
	v_cndmask_b32_e32 v9, v9, v31, vcc
	v_cmp_lt_f32_e32 vcc, v8, v6
	v_cndmask_b32_e32 v8, v8, v6, vcc
	v_cndmask_b32_e32 v9, v9, v32, vcc
	v_cmp_lt_f32_e32 vcc, v8, v7
	v_cndmask_b32_e32 v10, v8, v7, vcc
	v_cvt_f32_f16_e32 v8, v12
	v_cndmask_b32_e32 v9, v9, v33, vcc
	v_or_b32_e32 v34, 8, v26
	v_or_b32_e32 v35, 9, v26
	v_cmp_lt_f32_e32 vcc, v10, v8
	v_cndmask_b32_e32 v11, v9, v34, vcc
	v_cvt_f32_f16_sdwa v9, v12 dst_sel:DWORD dst_unused:UNUSED_PAD src0_sel:WORD_1
	v_cndmask_b32_e32 v10, v10, v8, vcc
	v_or_b32_e32 v36, 10, v26
	v_or_b32_e32 v37, 11, v26
	v_cmp_lt_f32_e32 vcc, v10, v9
	v_cndmask_b32_e32 v12, v10, v9, vcc
	v_cvt_f32_f16_e32 v10, v13
	v_cndmask_b32_e32 v11, v11, v35, vcc
	v_or_b32_e32 v38, 12, v26
	v_or_b32_e32 v39, 13, v26
	v_cmp_lt_f32_e32 vcc, v12, v10
	v_cndmask_b32_e32 v16, v11, v36, vcc
	v_cvt_f32_f16_sdwa v11, v13 dst_sel:DWORD dst_unused:UNUSED_PAD src0_sel:WORD_1
	v_cndmask_b32_e32 v12, v12, v10, vcc
	v_or_b32_e32 v42, 14, v26
	v_or_b32_e32 v43, 15, v26
	v_cmp_lt_f32_e32 vcc, v12, v11
	v_cndmask_b32_e32 v13, v16, v37, vcc
	v_cndmask_b32_e32 v16, v12, v11, vcc
	v_cvt_f32_f16_e32 v12, v14
	v_cmp_lt_f32_e32 vcc, v16, v12
	v_cndmask_b32_e32 v17, v13, v38, vcc
	v_cvt_f32_f16_sdwa v13, v14 dst_sel:DWORD dst_unused:UNUSED_PAD src0_sel:WORD_1
	v_cvt_f32_f16_e32 v14, v15
	v_cndmask_b32_e32 v16, v16, v12, vcc
	v_cvt_f32_f16_sdwa v15, v15 dst_sel:DWORD dst_unused:UNUSED_PAD src0_sel:WORD_1
	v_cmp_lt_f32_e32 vcc, v16, v13
	v_cndmask_b32_e32 v16, v16, v13, vcc
	v_cndmask_b32_e32 v17, v17, v39, vcc
	v_cmp_lt_f32_e32 vcc, v16, v14
	v_cndmask_b32_e32 v16, v16, v14, vcc
	v_cndmask_b32_e32 v17, v17, v42, vcc
	;; [unrolled: 3-line block ×3, first 2 shown]
	s_nop 0
	v_mov_b32_dpp v19, v17 quad_perm:[1,0,3,2] row_mask:0xf bank_mask:0xf
	v_mov_b32_dpp v18, v16 quad_perm:[1,0,3,2] row_mask:0xf bank_mask:0xf
	v_cmp_eq_f32_e64 s[0:1], v16, v18
	v_cmp_lt_i32_e64 s[2:3], v19, v17
	v_cmp_lt_f32_e32 vcc, v16, v18
	s_and_b64 s[0:1], s[0:1], s[2:3]
	s_or_b64 vcc, vcc, s[0:1]
	v_cndmask_b32_e32 v18, v16, v18, vcc
	v_cndmask_b32_e32 v16, v17, v19, vcc
	s_nop 0
	v_mov_b32_dpp v19, v18 quad_perm:[2,3,0,1] row_mask:0xf bank_mask:0xf
	v_mov_b32_dpp v17, v16 quad_perm:[2,3,0,1] row_mask:0xf bank_mask:0xf
	v_cmp_eq_f32_e64 s[0:1], v18, v19
	v_cmp_lt_i32_e64 s[2:3], v17, v16
	v_cmp_lt_f32_e32 vcc, v18, v19
	s_and_b64 s[0:1], s[0:1], s[2:3]
	s_or_b64 s[0:1], vcc, s[0:1]
	s_cmp_gt_i32 s36, 0
	v_cndmask_b32_e64 v25, v18, v19, s[0:1]
	s_cselect_b64 s[44:45], -1, 0
	s_cmp_lt_i32 s36, 1
	v_cmp_eq_u32_e32 vcc, 0, v23
	s_cbranch_scc1 .LBB171_18
; %bb.7:
	s_load_dwordx4 s[40:43], s[4:5], 0x20
	v_cndmask_b32_e64 v44, v16, v17, s[0:1]
	v_mul_lo_u32 v20, v22, s39
	v_mul_lo_u32 v18, v22, s6
	;; [unrolled: 1-line block ×3, first 2 shown]
	v_mov_b32_e32 v24, 0
	s_and_saveexec_b64 s[4:5], vcc
	s_cbranch_execz .LBB171_9
; %bb.8:
	v_sub_f32_e32 v17, v25, v25
	v_mul_f32_e32 v19, 0x3fb8aa3b, v17
	s_mov_b32 s0, 0x3fb8aa3b
	v_rndne_f32_e32 v21, v19
	v_sub_f32_e32 v24, v19, v21
	v_fma_f32 v19, v17, s0, -v19
	v_fmac_f32_e32 v19, 0x32a5705f, v17
	v_add_f32_e32 v19, v24, v19
	v_exp_f32_e32 v19, v19
	v_cvt_i32_f32_e32 v21, v21
	v_cmp_le_i32_e64 s[0:1], s37, v44
	v_cmp_gt_i32_e64 s[2:3], s38, v44
	s_and_b64 s[2:3], s[0:1], s[2:3]
	s_mov_b32 s0, 0xc2ce8ed0
	v_ldexp_f32 v19, v19, v21
	v_cmp_ngt_f32_e64 s[0:1], s0, v17
	v_cndmask_b32_e64 v19, 0, v19, s[0:1]
	s_mov_b32 s0, 0x42b17218
	v_mov_b32_e32 v21, 0x7f800000
	v_cmp_nlt_f32_e64 s[0:1], s0, v17
	v_cndmask_b32_e64 v24, v21, v19, s[0:1]
	v_ashrrev_i32_e32 v21, 31, v20
	v_lshlrev_b64 v[46:47], 2, v[20:21]
	v_mov_b32_e32 v17, s35
	v_add_co_u32_e64 v46, s[0:1], s34, v46
	v_addc_co_u32_e64 v47, s[0:1], v17, v47, s[0:1]
	v_ashrrev_i32_e32 v19, 31, v18
	global_store_dword v[46:47], v24, off
	v_subrev_u32_e32 v17, s37, v44
	s_and_b64 s[0:1], s[46:47], s[2:3]
	v_lshlrev_b64 v[46:47], 2, v[18:19]
	v_cndmask_b32_e64 v17, 64, v17, s[0:1]
	s_waitcnt lgkmcnt(0)
	v_mov_b32_e32 v19, s41
	v_add_co_u32_e64 v46, s[0:1], s40, v46
	v_addc_co_u32_e64 v47, s[0:1], v19, v47, s[0:1]
	global_store_dword v[46:47], v17, off
	v_ashrrev_i32_e32 v17, 31, v16
	v_lshlrev_b64 v[46:47], 2, v[16:17]
	v_mov_b32_e32 v17, s43
	v_add_co_u32_e64 v46, s[0:1], s42, v46
	v_addc_co_u32_e64 v47, s[0:1], v17, v47, s[0:1]
	global_store_dword v[46:47], v22, off
.LBB171_9:
	s_or_b64 exec, exec, s[4:5]
	v_ashrrev_i32_e32 v19, 31, v44
	v_lshrrev_b32_e32 v17, 28, v19
	v_add_u32_e32 v17, v44, v17
	v_ashrrev_i32_e32 v17, 4, v17
	v_lshrrev_b32_e32 v21, 30, v17
	v_add_u32_e32 v21, v17, v21
	v_and_b32_e32 v21, -4, v21
	v_sub_u32_e32 v21, v17, v21
	v_cmp_eq_u32_e64 s[0:1], v23, v21
	s_and_saveexec_b64 s[48:49], s[0:1]
	s_cbranch_execz .LBB171_11
; %bb.10:
	v_lshrrev_b32_e32 v19, 26, v19
	v_add_u32_e32 v19, v44, v19
	v_lshlrev_b32_e32 v17, 4, v17
	v_sub_u32_e32 v17, v44, v17
	v_ashrrev_i32_e32 v19, 6, v19
	v_lshl_add_u32 v17, v19, 4, v17
	v_mov_b32_e32 v19, 0xff800000
	v_cmp_ne_u32_e64 s[0:1], 14, v17
	v_cmp_ne_u32_e64 s[2:3], 13, v17
	;; [unrolled: 1-line block ×16, first 2 shown]
	v_cndmask_b32_e64 v15, v19, v15, s[30:31]
	v_cndmask_b32_e64 v14, v19, v14, s[0:1]
	;; [unrolled: 1-line block ×16, first 2 shown]
.LBB171_11:
	s_or_b64 exec, exec, s[48:49]
	s_cmp_eq_u32 s36, 1
	s_cbranch_scc1 .LBB171_18
; %bb.12:
	s_add_i32 s50, s50, s33
	s_add_i32 s51, s36, -1
	v_add3_u32 v40, s50, v41, v40
	v_add_u32_e32 v16, 1, v16
	v_add_u32_e32 v18, 1, v18
	v_add_u32_e32 v20, 1, v20
	s_mov_b32 s50, 0x3fb8aa3b
	s_mov_b32 s52, 0xc2ce8ed0
	s_mov_b32 s53, 0x42b17218
	v_mov_b32_e32 v41, 0x7f800000
	v_mov_b32_e32 v44, 0xff800000
	s_branch .LBB171_14
.LBB171_13:                             ;   in Loop: Header=BB171_14 Depth=1
	s_or_b64 exec, exec, s[48:49]
	s_add_i32 s51, s51, -1
	v_add_u32_e32 v40, s33, v40
	v_add_u32_e32 v16, 1, v16
	;; [unrolled: 1-line block ×3, first 2 shown]
	s_cmp_eq_u32 s51, 0
	v_add_u32_e32 v20, 1, v20
	s_cbranch_scc1 .LBB171_18
.LBB171_14:                             ; =>This Inner Loop Header: Depth=1
	v_cmp_gt_f32_e64 s[0:1], v1, v0
	v_cndmask_b32_e64 v19, v0, v1, s[0:1]
	v_cndmask_b32_e64 v17, v26, v27, s[0:1]
	v_cmp_gt_f32_e64 s[0:1], v2, v19
	v_cndmask_b32_e64 v19, v19, v2, s[0:1]
	v_cndmask_b32_e64 v17, v17, v28, s[0:1]
	;; [unrolled: 3-line block ×15, first 2 shown]
	s_nop 0
	v_mov_b32_dpp v45, v21 quad_perm:[1,0,3,2] row_mask:0xf bank_mask:0xf
	v_mov_b32_dpp v19, v17 quad_perm:[1,0,3,2] row_mask:0xf bank_mask:0xf
	v_cmp_eq_f32_e64 s[2:3], v17, v19
	v_cmp_lt_i32_e64 s[4:5], v45, v21
	v_cmp_lt_f32_e64 s[0:1], v17, v19
	s_and_b64 s[2:3], s[2:3], s[4:5]
	s_or_b64 s[0:1], s[0:1], s[2:3]
	v_cndmask_b32_e64 v17, v17, v19, s[0:1]
	v_cndmask_b32_e64 v21, v21, v45, s[0:1]
	s_nop 0
	v_mov_b32_dpp v19, v17 quad_perm:[2,3,0,1] row_mask:0xf bank_mask:0xf
	v_mov_b32_dpp v45, v21 quad_perm:[2,3,0,1] row_mask:0xf bank_mask:0xf
	v_cmp_eq_f32_e64 s[2:3], v17, v19
	v_cmp_lt_i32_e64 s[4:5], v45, v21
	v_cmp_lt_f32_e64 s[0:1], v17, v19
	s_and_b64 s[2:3], s[2:3], s[4:5]
	s_or_b64 s[0:1], s[0:1], s[2:3]
	v_cndmask_b32_e64 v45, v21, v45, s[0:1]
	s_and_saveexec_b64 s[4:5], vcc
	s_cbranch_execz .LBB171_16
; %bb.15:                               ;   in Loop: Header=BB171_14 Depth=1
	v_cndmask_b32_e64 v17, v17, v19, s[0:1]
	v_sub_f32_e32 v17, v17, v25
	v_mul_f32_e32 v19, 0x3fb8aa3b, v17
	v_fma_f32 v21, v17, s50, -v19
	v_rndne_f32_e32 v46, v19
	v_fmac_f32_e32 v21, 0x32a5705f, v17
	v_sub_f32_e32 v19, v19, v46
	v_add_f32_e32 v19, v19, v21
	v_exp_f32_e32 v19, v19
	v_cvt_i32_f32_e32 v21, v46
	v_cmp_le_i32_e64 s[0:1], s37, v45
	v_cmp_gt_i32_e64 s[2:3], s38, v45
	s_and_b64 s[2:3], s[0:1], s[2:3]
	v_ldexp_f32 v19, v19, v21
	v_cmp_ngt_f32_e64 s[0:1], s52, v17
	v_ashrrev_i32_e32 v21, 31, v20
	v_cndmask_b32_e64 v19, 0, v19, s[0:1]
	v_cmp_nlt_f32_e64 s[0:1], s53, v17
	v_lshlrev_b64 v[46:47], 2, v[20:21]
	v_cndmask_b32_e64 v48, v41, v19, s[0:1]
	v_mov_b32_e32 v17, s35
	v_add_co_u32_e64 v46, s[0:1], s34, v46
	v_addc_co_u32_e64 v47, s[0:1], v17, v47, s[0:1]
	v_ashrrev_i32_e32 v19, 31, v18
	global_store_dword v[46:47], v48, off
	v_subrev_u32_e32 v17, s37, v45
	s_and_b64 s[0:1], s[46:47], s[2:3]
	v_lshlrev_b64 v[46:47], 2, v[18:19]
	v_cndmask_b32_e64 v17, 64, v17, s[0:1]
	s_waitcnt lgkmcnt(0)
	v_mov_b32_e32 v19, s41
	v_add_co_u32_e64 v46, s[0:1], s40, v46
	v_addc_co_u32_e64 v47, s[0:1], v19, v47, s[0:1]
	global_store_dword v[46:47], v17, off
	v_ashrrev_i32_e32 v17, 31, v16
	v_lshlrev_b64 v[46:47], 2, v[16:17]
	v_mov_b32_e32 v17, s43
	v_add_co_u32_e64 v46, s[0:1], s42, v46
	v_addc_co_u32_e64 v47, s[0:1], v17, v47, s[0:1]
	v_add_f32_e32 v24, v24, v48
	global_store_dword v[46:47], v40, off
.LBB171_16:                             ;   in Loop: Header=BB171_14 Depth=1
	s_or_b64 exec, exec, s[4:5]
	v_ashrrev_i32_e32 v19, 31, v45
	v_lshrrev_b32_e32 v17, 28, v19
	v_add_u32_e32 v17, v45, v17
	v_ashrrev_i32_e32 v17, 4, v17
	v_lshrrev_b32_e32 v21, 30, v17
	v_add_u32_e32 v21, v17, v21
	v_and_b32_e32 v21, -4, v21
	v_sub_u32_e32 v21, v17, v21
	v_cmp_eq_u32_e64 s[0:1], v23, v21
	s_and_saveexec_b64 s[48:49], s[0:1]
	s_cbranch_execz .LBB171_13
; %bb.17:                               ;   in Loop: Header=BB171_14 Depth=1
	v_lshrrev_b32_e32 v19, 26, v19
	v_add_u32_e32 v19, v45, v19
	v_lshlrev_b32_e32 v17, 4, v17
	v_sub_u32_e32 v17, v45, v17
	v_ashrrev_i32_e32 v19, 6, v19
	v_lshl_add_u32 v17, v19, 4, v17
	v_cmp_ne_u32_e64 s[0:1], 14, v17
	v_cmp_ne_u32_e64 s[2:3], 13, v17
	;; [unrolled: 1-line block ×16, first 2 shown]
	v_cndmask_b32_e64 v15, v44, v15, s[30:31]
	v_cndmask_b32_e64 v14, v44, v14, s[0:1]
	;; [unrolled: 1-line block ×16, first 2 shown]
	s_branch .LBB171_13
.LBB171_18:
	v_sub_f32_e32 v0, v0, v25
	s_mov_b32 s2, 0x3fb8aa3b
	v_mul_f32_e32 v16, 0x3fb8aa3b, v0
	v_fma_f32 v17, v0, s2, -v16
	v_rndne_f32_e32 v18, v16
	v_fmac_f32_e32 v17, 0x32a5705f, v0
	v_sub_f32_e32 v16, v16, v18
	v_add_f32_e32 v16, v16, v17
	v_exp_f32_e32 v16, v16
	v_cvt_i32_f32_e32 v17, v18
	v_sub_f32_e32 v1, v1, v25
	s_mov_b32 s4, 0xc2ce8ed0
	s_mov_b32 s3, 0x42b17218
	v_ldexp_f32 v16, v16, v17
	v_mul_f32_e32 v17, 0x3fb8aa3b, v1
	v_fma_f32 v18, v1, s2, -v17
	v_rndne_f32_e32 v19, v17
	v_fmac_f32_e32 v18, 0x32a5705f, v1
	v_sub_f32_e32 v17, v17, v19
	v_add_f32_e32 v17, v17, v18
	v_exp_f32_e32 v17, v17
	v_cvt_i32_f32_e32 v18, v19
	v_cmp_ngt_f32_e32 vcc, s4, v1
	v_cmp_ngt_f32_e64 s[0:1], s4, v0
	v_sub_f32_e32 v2, v2, v25
	v_ldexp_f32 v17, v17, v18
	v_cndmask_b32_e32 v17, 0, v17, vcc
	v_mov_b32_e32 v18, 0x7f800000
	v_cmp_nlt_f32_e32 vcc, s3, v1
	v_cndmask_b32_e64 v1, 0, v16, s[0:1]
	v_cmp_nlt_f32_e64 s[0:1], s3, v0
	v_cndmask_b32_e64 v0, v18, v1, s[0:1]
	v_cndmask_b32_e32 v1, v18, v17, vcc
	v_add_f32_e32 v0, v0, v1
	v_mul_f32_e32 v1, 0x3fb8aa3b, v2
	v_fma_f32 v16, v2, s2, -v1
	v_rndne_f32_e32 v17, v1
	v_fmac_f32_e32 v16, 0x32a5705f, v2
	v_sub_f32_e32 v1, v1, v17
	v_add_f32_e32 v1, v1, v16
	v_exp_f32_e32 v1, v1
	v_cvt_i32_f32_e32 v16, v17
	v_cmp_ngt_f32_e32 vcc, s4, v2
	v_sub_f32_e32 v3, v3, v25
	v_sub_f32_e32 v4, v4, v25
	v_ldexp_f32 v1, v1, v16
	v_cndmask_b32_e32 v1, 0, v1, vcc
	v_cmp_nlt_f32_e32 vcc, s3, v2
	v_cndmask_b32_e32 v1, v18, v1, vcc
	v_add_f32_e32 v0, v0, v1
	v_mul_f32_e32 v1, 0x3fb8aa3b, v3
	v_fma_f32 v2, v3, s2, -v1
	v_rndne_f32_e32 v16, v1
	v_fmac_f32_e32 v2, 0x32a5705f, v3
	v_sub_f32_e32 v1, v1, v16
	v_add_f32_e32 v1, v1, v2
	v_exp_f32_e32 v1, v1
	v_cvt_i32_f32_e32 v2, v16
	v_cmp_ngt_f32_e32 vcc, s4, v3
	v_sub_f32_e32 v5, v5, v25
	v_sub_f32_e32 v6, v6, v25
	v_ldexp_f32 v1, v1, v2
	v_cndmask_b32_e32 v1, 0, v1, vcc
	v_cmp_nlt_f32_e32 vcc, s3, v3
	;; [unrolled: 16-line block ×5, first 2 shown]
	v_cndmask_b32_e32 v1, v18, v1, vcc
	v_add_f32_e32 v0, v0, v1
	v_mul_f32_e32 v1, 0x3fb8aa3b, v7
	v_fma_f32 v2, v7, s2, -v1
	v_rndne_f32_e32 v3, v1
	v_fmac_f32_e32 v2, 0x32a5705f, v7
	v_sub_f32_e32 v1, v1, v3
	v_add_f32_e32 v1, v1, v2
	v_exp_f32_e32 v1, v1
	v_cvt_i32_f32_e32 v2, v3
	v_cmp_ngt_f32_e32 vcc, s4, v7
	v_ldexp_f32 v1, v1, v2
	v_mul_f32_e32 v2, 0x3fb8aa3b, v8
	v_fma_f32 v3, v8, s2, -v2
	v_rndne_f32_e32 v4, v2
	v_fmac_f32_e32 v3, 0x32a5705f, v8
	v_sub_f32_e32 v2, v2, v4
	v_add_f32_e32 v2, v2, v3
	v_exp_f32_e32 v2, v2
	v_cvt_i32_f32_e32 v3, v4
	v_cndmask_b32_e32 v1, 0, v1, vcc
	v_cmp_nlt_f32_e32 vcc, s3, v7
	v_cndmask_b32_e32 v1, v18, v1, vcc
	v_add_f32_e32 v0, v0, v1
	v_ldexp_f32 v1, v2, v3
	v_mul_f32_e32 v2, 0x3fb8aa3b, v9
	v_fma_f32 v3, v9, s2, -v2
	v_rndne_f32_e32 v4, v2
	v_fmac_f32_e32 v3, 0x32a5705f, v9
	v_sub_f32_e32 v2, v2, v4
	v_add_f32_e32 v2, v2, v3
	v_exp_f32_e32 v2, v2
	v_cvt_i32_f32_e32 v3, v4
	v_cmp_ngt_f32_e32 vcc, s4, v8
	v_cndmask_b32_e32 v1, 0, v1, vcc
	v_cmp_nlt_f32_e32 vcc, s3, v8
	v_cndmask_b32_e32 v1, v18, v1, vcc
	v_add_f32_e32 v0, v0, v1
	v_ldexp_f32 v1, v2, v3
	v_mul_f32_e32 v2, 0x3fb8aa3b, v10
	v_fma_f32 v3, v10, s2, -v2
	v_rndne_f32_e32 v4, v2
	v_fmac_f32_e32 v3, 0x32a5705f, v10
	v_sub_f32_e32 v2, v2, v4
	v_add_f32_e32 v2, v2, v3
	v_exp_f32_e32 v2, v2
	v_cvt_i32_f32_e32 v3, v4
	v_cmp_ngt_f32_e32 vcc, s4, v9
	;; [unrolled: 14-line block ×4, first 2 shown]
	v_cndmask_b32_e32 v1, 0, v1, vcc
	v_cmp_nlt_f32_e32 vcc, s3, v11
	v_cndmask_b32_e32 v1, v18, v1, vcc
	v_add_f32_e32 v0, v0, v1
	v_ldexp_f32 v1, v2, v3
	v_sub_f32_e32 v2, v13, v25
	v_mul_f32_e32 v3, 0x3fb8aa3b, v2
	v_fma_f32 v4, v2, s2, -v3
	v_rndne_f32_e32 v5, v3
	v_fmac_f32_e32 v4, 0x32a5705f, v2
	v_sub_f32_e32 v3, v3, v5
	v_add_f32_e32 v3, v3, v4
	v_exp_f32_e32 v3, v3
	v_cvt_i32_f32_e32 v4, v5
	v_cmp_ngt_f32_e32 vcc, s4, v12
	v_cndmask_b32_e32 v1, 0, v1, vcc
	v_cmp_nlt_f32_e32 vcc, s3, v12
	v_cndmask_b32_e32 v1, v18, v1, vcc
	v_add_f32_e32 v0, v0, v1
	v_ldexp_f32 v1, v3, v4
	v_sub_f32_e32 v3, v14, v25
	v_mul_f32_e32 v4, 0x3fb8aa3b, v3
	v_fma_f32 v5, v3, s2, -v4
	v_rndne_f32_e32 v6, v4
	v_fmac_f32_e32 v5, 0x32a5705f, v3
	v_sub_f32_e32 v4, v4, v6
	v_add_f32_e32 v4, v4, v5
	v_exp_f32_e32 v4, v4
	v_cvt_i32_f32_e32 v5, v6
	v_cmp_ngt_f32_e32 vcc, s4, v2
	v_cndmask_b32_e32 v1, 0, v1, vcc
	v_cmp_nlt_f32_e32 vcc, s3, v2
	v_cndmask_b32_e32 v1, v18, v1, vcc
	v_sub_f32_e32 v2, v15, v25
	v_add_f32_e32 v0, v0, v1
	v_ldexp_f32 v1, v4, v5
	v_mul_f32_e32 v4, 0x3fb8aa3b, v2
	v_fma_f32 v5, v2, s2, -v4
	v_rndne_f32_e32 v6, v4
	v_fmac_f32_e32 v5, 0x32a5705f, v2
	v_sub_f32_e32 v4, v4, v6
	v_add_f32_e32 v4, v4, v5
	v_exp_f32_e32 v4, v4
	v_cvt_i32_f32_e32 v5, v6
	v_cmp_ngt_f32_e32 vcc, s4, v3
	v_cndmask_b32_e32 v1, 0, v1, vcc
	v_cmp_nlt_f32_e32 vcc, s3, v3
	v_cndmask_b32_e32 v1, v18, v1, vcc
	v_add_f32_e32 v0, v0, v1
	v_ldexp_f32 v1, v4, v5
	v_cmp_ngt_f32_e32 vcc, s4, v2
	v_cndmask_b32_e32 v1, 0, v1, vcc
	v_cmp_nlt_f32_e32 vcc, s3, v2
	v_cndmask_b32_e32 v1, v18, v1, vcc
	v_add_f32_e32 v0, v0, v1
	v_cmp_eq_u32_e32 vcc, 0, v23
	s_nop 0
	v_mov_b32_dpp v1, v0 quad_perm:[1,0,3,2] row_mask:0xf bank_mask:0xf
	v_add_f32_e32 v0, v0, v1
	s_nop 1
	v_mov_b32_dpp v1, v0 quad_perm:[2,3,0,1] row_mask:0xf bank_mask:0xf
	s_and_b64 exec, exec, vcc
	s_cbranch_execz .LBB171_31
; %bb.19:
	v_add_f32_e32 v0, v0, v1
	v_add_f32_e32 v0, v24, v0
	v_cmp_neq_f32_e32 vcc, 0, v0
	s_and_b64 exec, exec, vcc
	s_cbranch_execz .LBB171_31
; %bb.20:
	s_andn2_b64 vcc, exec, s[44:45]
	s_cbranch_vccnz .LBB171_31
; %bb.21:
	v_div_scale_f32 v1, s[0:1], v0, v0, 1.0
	v_rcp_f32_e32 v2, v1
	v_div_scale_f32 v3, vcc, 1.0, v0, 1.0
	s_cmp_gt_u32 s36, 3
	v_fma_f32 v4, -v1, v2, 1.0
	v_fmac_f32_e32 v2, v4, v2
	v_mul_f32_e32 v4, v3, v2
	v_fma_f32 v5, -v1, v4, v3
	v_fmac_f32_e32 v4, v5, v2
	v_fma_f32 v1, -v1, v4, v3
	v_div_fmas_f32 v1, v1, v2, v4
	v_mul_lo_u32 v2, v22, s39
	v_div_fixup_f32 v0, v1, v0, 1.0
	v_ashrrev_i32_e32 v3, 31, v2
	s_cbranch_scc0 .LBB171_25
; %bb.22:
	v_lshlrev_b64 v[4:5], 2, v[2:3]
	v_mov_b32_e32 v6, s35
	v_add_co_u32_e32 v4, vcc, s34, v4
	v_addc_co_u32_e32 v5, vcc, v5, v6, vcc
	s_and_b32 s4, s36, 0x7ffffffc
	v_add_co_u32_e32 v4, vcc, 8, v4
	v_mov_b32_e32 v1, v0
	v_addc_co_u32_e32 v5, vcc, 0, v5, vcc
	s_mov_b32 s0, s4
.LBB171_23:                             ; =>This Inner Loop Header: Depth=1
	global_load_dwordx4 v[6:9], v[4:5], off offset:-8
	s_add_i32 s0, s0, -4
	s_cmp_lg_u32 s0, 0
	s_waitcnt vmcnt(0)
	v_pk_mul_f32 v[6:7], v[0:1], v[6:7]
	v_pk_mul_f32 v[8:9], v[0:1], v[8:9]
	global_store_dwordx4 v[4:5], v[6:9], off offset:-8
	v_add_co_u32_e32 v4, vcc, 16, v4
	v_addc_co_u32_e32 v5, vcc, 0, v5, vcc
	s_cbranch_scc1 .LBB171_23
; %bb.24:
	s_cmp_lg_u32 s4, s36
	s_mov_b64 s[2:3], 0
	s_cselect_b64 s[0:1], -1, 0
	s_branch .LBB171_26
.LBB171_25:
	s_mov_b64 s[2:3], -1
	s_mov_b64 s[0:1], 0
                                        ; implicit-def: $sgpr4
.LBB171_26:
	s_and_b64 vcc, exec, s[2:3]
	s_cbranch_vccz .LBB171_28
; %bb.27:
	s_mov_b64 s[0:1], -1
	s_mov_b32 s4, 0
.LBB171_28:
	s_andn2_b64 vcc, exec, s[0:1]
	s_cbranch_vccnz .LBB171_31
; %bb.29:
	v_add_co_u32_e32 v2, vcc, s4, v2
	v_addc_co_u32_e32 v3, vcc, 0, v3, vcc
	v_lshlrev_b64 v[2:3], 2, v[2:3]
	v_mov_b32_e32 v1, s35
	v_add_co_u32_e32 v2, vcc, s34, v2
	s_sub_i32 s0, s36, s4
	v_addc_co_u32_e32 v3, vcc, v1, v3, vcc
.LBB171_30:                             ; =>This Inner Loop Header: Depth=1
	global_load_dword v1, v[2:3], off
	s_add_i32 s0, s0, -1
	s_cmp_lg_u32 s0, 0
	s_waitcnt vmcnt(0)
	v_mul_f32_e32 v1, v0, v1
	global_store_dword v[2:3], v1, off
	v_add_co_u32_e32 v2, vcc, 4, v2
	v_addc_co_u32_e32 v3, vcc, 0, v3, vcc
	s_cbranch_scc1 .LBB171_30
.LBB171_31:
	s_endpgm
	.section	.rodata,"a",@progbits
	.p2align	6, 0x0
	.amdhsa_kernel _ZN4vllm3moe17topkGatingSoftmaxIDF16_Li16ELi64ELi8ELi32ELb0ELi2ELNS0_23SharedExpertScoringFuncE1EEEvPKT_PKbPfiPiS9_iiiiii
		.amdhsa_group_segment_fixed_size 0
		.amdhsa_private_segment_fixed_size 0
		.amdhsa_kernarg_size 72
		.amdhsa_user_sgpr_count 6
		.amdhsa_user_sgpr_private_segment_buffer 1
		.amdhsa_user_sgpr_dispatch_ptr 0
		.amdhsa_user_sgpr_queue_ptr 0
		.amdhsa_user_sgpr_kernarg_segment_ptr 1
		.amdhsa_user_sgpr_dispatch_id 0
		.amdhsa_user_sgpr_flat_scratch_init 0
		.amdhsa_user_sgpr_kernarg_preload_length 0
		.amdhsa_user_sgpr_kernarg_preload_offset 0
		.amdhsa_user_sgpr_private_segment_size 0
		.amdhsa_uses_dynamic_stack 0
		.amdhsa_system_sgpr_private_segment_wavefront_offset 0
		.amdhsa_system_sgpr_workgroup_id_x 1
		.amdhsa_system_sgpr_workgroup_id_y 0
		.amdhsa_system_sgpr_workgroup_id_z 0
		.amdhsa_system_sgpr_workgroup_info 0
		.amdhsa_system_vgpr_workitem_id 1
		.amdhsa_next_free_vgpr 49
		.amdhsa_next_free_sgpr 54
		.amdhsa_accum_offset 52
		.amdhsa_reserve_vcc 1
		.amdhsa_reserve_flat_scratch 0
		.amdhsa_float_round_mode_32 0
		.amdhsa_float_round_mode_16_64 0
		.amdhsa_float_denorm_mode_32 3
		.amdhsa_float_denorm_mode_16_64 3
		.amdhsa_dx10_clamp 1
		.amdhsa_ieee_mode 1
		.amdhsa_fp16_overflow 0
		.amdhsa_tg_split 0
		.amdhsa_exception_fp_ieee_invalid_op 0
		.amdhsa_exception_fp_denorm_src 0
		.amdhsa_exception_fp_ieee_div_zero 0
		.amdhsa_exception_fp_ieee_overflow 0
		.amdhsa_exception_fp_ieee_underflow 0
		.amdhsa_exception_fp_ieee_inexact 0
		.amdhsa_exception_int_div_zero 0
	.end_amdhsa_kernel
	.section	.text._ZN4vllm3moe17topkGatingSoftmaxIDF16_Li16ELi64ELi8ELi32ELb0ELi2ELNS0_23SharedExpertScoringFuncE1EEEvPKT_PKbPfiPiS9_iiiiii,"axG",@progbits,_ZN4vllm3moe17topkGatingSoftmaxIDF16_Li16ELi64ELi8ELi32ELb0ELi2ELNS0_23SharedExpertScoringFuncE1EEEvPKT_PKbPfiPiS9_iiiiii,comdat
.Lfunc_end171:
	.size	_ZN4vllm3moe17topkGatingSoftmaxIDF16_Li16ELi64ELi8ELi32ELb0ELi2ELNS0_23SharedExpertScoringFuncE1EEEvPKT_PKbPfiPiS9_iiiiii, .Lfunc_end171-_ZN4vllm3moe17topkGatingSoftmaxIDF16_Li16ELi64ELi8ELi32ELb0ELi2ELNS0_23SharedExpertScoringFuncE1EEEvPKT_PKbPfiPiS9_iiiiii
                                        ; -- End function
	.section	.AMDGPU.csdata,"",@progbits
; Kernel info:
; codeLenInByte = 4524
; NumSgprs: 58
; NumVgprs: 49
; NumAgprs: 0
; TotalNumVgprs: 49
; ScratchSize: 0
; MemoryBound: 0
; FloatMode: 240
; IeeeMode: 1
; LDSByteSize: 0 bytes/workgroup (compile time only)
; SGPRBlocks: 7
; VGPRBlocks: 6
; NumSGPRsForWavesPerEU: 58
; NumVGPRsForWavesPerEU: 49
; AccumOffset: 52
; Occupancy: 8
; WaveLimiterHint : 0
; COMPUTE_PGM_RSRC2:SCRATCH_EN: 0
; COMPUTE_PGM_RSRC2:USER_SGPR: 6
; COMPUTE_PGM_RSRC2:TRAP_HANDLER: 0
; COMPUTE_PGM_RSRC2:TGID_X_EN: 1
; COMPUTE_PGM_RSRC2:TGID_Y_EN: 0
; COMPUTE_PGM_RSRC2:TGID_Z_EN: 0
; COMPUTE_PGM_RSRC2:TIDIG_COMP_CNT: 1
; COMPUTE_PGM_RSRC3_GFX90A:ACCUM_OFFSET: 12
; COMPUTE_PGM_RSRC3_GFX90A:TG_SPLIT: 0
	.section	.text._ZN4vllm3moe17topkGatingSoftmaxIDF16_Li16ELi64ELi8ELi32ELb1ELi4ELNS0_23SharedExpertScoringFuncE1EEEvPKT_PKbPfiPiS9_iiiiii,"axG",@progbits,_ZN4vllm3moe17topkGatingSoftmaxIDF16_Li16ELi64ELi8ELi32ELb1ELi4ELNS0_23SharedExpertScoringFuncE1EEEvPKT_PKbPfiPiS9_iiiiii,comdat
	.protected	_ZN4vllm3moe17topkGatingSoftmaxIDF16_Li16ELi64ELi8ELi32ELb1ELi4ELNS0_23SharedExpertScoringFuncE1EEEvPKT_PKbPfiPiS9_iiiiii ; -- Begin function _ZN4vllm3moe17topkGatingSoftmaxIDF16_Li16ELi64ELi8ELi32ELb1ELi4ELNS0_23SharedExpertScoringFuncE1EEEvPKT_PKbPfiPiS9_iiiiii
	.globl	_ZN4vllm3moe17topkGatingSoftmaxIDF16_Li16ELi64ELi8ELi32ELb1ELi4ELNS0_23SharedExpertScoringFuncE1EEEvPKT_PKbPfiPiS9_iiiiii
	.p2align	8
	.type	_ZN4vllm3moe17topkGatingSoftmaxIDF16_Li16ELi64ELi8ELi32ELb1ELi4ELNS0_23SharedExpertScoringFuncE1EEEvPKT_PKbPfiPiS9_iiiiii,@function
_ZN4vllm3moe17topkGatingSoftmaxIDF16_Li16ELi64ELi8ELi32ELb1ELi4ELNS0_23SharedExpertScoringFuncE1EEEvPKT_PKbPfiPiS9_iiiiii: ; @_ZN4vllm3moe17topkGatingSoftmaxIDF16_Li16ELi64ELi8ELi32ELb1ELi4ELNS0_23SharedExpertScoringFuncE1EEEvPKT_PKbPfiPiS9_iiiiii
; %bb.0:
	s_load_dword s33, s[4:5], 0x18
	v_bfe_u32 v1, v0, 10, 10
	v_and_b32_e32 v0, 0x3ff, v0
	s_lshl_b32 s50, s6, 7
	v_lshlrev_b32_e32 v22, 4, v1
	v_lshrrev_b32_e32 v23, 2, v0
	v_add3_u32 v43, s50, v22, v23
	s_waitcnt lgkmcnt(0)
	v_cmp_gt_i32_e32 vcc, s33, v43
	s_and_saveexec_b64 s[0:1], vcc
	s_cbranch_execz .LBB172_27
; %bb.1:
	s_load_dwordx4 s[0:3], s[4:5], 0x0
	s_load_dwordx2 s[34:35], s[4:5], 0x10
	s_waitcnt lgkmcnt(0)
	s_cmp_eq_u64 s[2:3], 0
	s_cbranch_scc1 .LBB172_3
; %bb.2:
	v_ashrrev_i32_e32 v1, 31, v43
	v_mov_b32_e32 v3, s3
	v_add_co_u32_e32 v2, vcc, s2, v43
	v_addc_co_u32_e32 v3, vcc, v3, v1, vcc
	global_load_ubyte v1, v[2:3], off
	s_waitcnt vmcnt(0)
	v_and_b32_e32 v1, 1, v1
	v_cmp_eq_u32_e32 vcc, 1, v1
	s_xor_b64 s[2:3], vcc, -1
	s_orn2_b64 s[44:45], s[2:3], exec
	s_branch .LBB172_4
.LBB172_3:
	s_mov_b64 s[44:45], -1
.LBB172_4:
	s_load_dwordx2 s[8:9], s[4:5], 0x40
	s_load_dwordx4 s[36:39], s[4:5], 0x30
	v_mov_b32_e32 v1, s1
	v_and_b32_e32 v24, 3, v0
	v_lshlrev_b32_e32 v0, 1, v24
	s_waitcnt lgkmcnt(0)
	v_mul_lo_u32 v2, v43, s9
	v_ashrrev_i32_e32 v3, 31, v2
	v_lshlrev_b64 v[2:3], 1, v[2:3]
	v_add_co_u32_e32 v2, vcc, s0, v2
	v_addc_co_u32_e32 v3, vcc, v1, v3, vcc
	v_add_co_u32_e32 v0, vcc, v2, v0
	v_addc_co_u32_e32 v1, vcc, 0, v3, vcc
	global_load_ushort v8, v[0:1], off offset:128
	v_lshlrev_b32_e32 v4, 5, v24
	v_add_co_u32_e32 v0, vcc, v2, v4
	v_addc_co_u32_e32 v1, vcc, 0, v3, vcc
	global_load_dwordx4 v[4:7], v[0:1], off
	global_load_dwordx4 v[12:15], v[0:1], off offset:16
	v_mul_lo_u32 v16, v43, s39
	v_add3_u32 v0, v16, s36, v24
	v_ashrrev_i32_e32 v1, 31, v0
	v_lshlrev_b64 v[0:1], 2, v[0:1]
	v_mov_b32_e32 v3, s35
	v_add_co_u32_e32 v2, vcc, s34, v0
	s_mov_b32 s0, 0x3fb8aa3b
	v_addc_co_u32_e32 v3, vcc, v3, v1, vcc
	s_mov_b32 s1, 0x32a5705f
	s_mov_b32 s2, 0xc2ce8ed0
	;; [unrolled: 1-line block ×3, first 2 shown]
	v_mov_b32_e32 v9, 0x7f800000
	v_lshlrev_b32_e32 v25, 4, v24
	v_or_b32_e32 v26, 1, v25
	v_or_b32_e32 v27, 2, v25
	;; [unrolled: 1-line block ×15, first 2 shown]
	v_mov_b32_e32 v41, 0
	s_waitcnt vmcnt(2)
	v_cvt_f32_f16_e64 v10, -v8
	v_mul_f32_e32 v1, 0x3fb8aa3b, v10
	v_fma_mix_f32 v11, -v8, s0, -v1 op_sel_hi:[1,0,0]
	v_rndne_f32_e32 v17, v1
	v_fma_mix_f32 v8, -v8, s1, v11 op_sel_hi:[1,0,0]
	v_sub_f32_e32 v1, v1, v17
	v_add_f32_e32 v1, v1, v8
	v_cvt_i32_f32_e32 v11, v17
	v_exp_f32_e32 v8, v1
	v_cmp_ngt_f32_e64 s[0:1], s2, v10
	s_waitcnt vmcnt(1)
	v_cvt_f32_f16_e32 v0, v4
	v_cvt_f32_f16_sdwa v1, v4 dst_sel:DWORD dst_unused:UNUSED_PAD src0_sel:WORD_1
	v_ldexp_f32 v8, v8, v11
	v_cndmask_b32_e64 v8, 0, v8, s[0:1]
	v_cmp_nlt_f32_e64 s[0:1], s3, v10
	v_cndmask_b32_e64 v8, v9, v8, s[0:1]
	v_add_f32_e32 v8, 1.0, v8
	v_div_scale_f32 v9, s[0:1], v8, v8, 1.0
	v_rcp_f32_e32 v10, v9
	v_cmp_lt_f16_sdwa vcc, v4, v4 src0_sel:DWORD src1_sel:WORD_1
	v_cndmask_b32_e32 v4, v25, v26, vcc
	v_cndmask_b32_e32 v11, v0, v1, vcc
	v_fma_f32 v18, -v9, v10, 1.0
	v_div_scale_f32 v17, vcc, 1.0, v8, 1.0
	v_fmac_f32_e32 v10, v18, v10
	v_mul_f32_e32 v18, v17, v10
	v_fma_f32 v19, -v9, v18, v17
	v_fmac_f32_e32 v18, v19, v10
	v_fma_f32 v9, -v9, v18, v17
	v_div_fmas_f32 v9, v9, v10, v18
	v_div_fixup_f32 v8, v9, v8, 1.0
	global_store_dword v[2:3], v8, off
	v_cvt_f32_f16_e32 v2, v5
	v_cvt_f32_f16_sdwa v3, v5 dst_sel:DWORD dst_unused:UNUSED_PAD src0_sel:WORD_1
	v_cmp_lt_f32_e32 vcc, v11, v2
	v_cndmask_b32_e32 v8, v11, v2, vcc
	v_cndmask_b32_e32 v4, v4, v27, vcc
	v_cmp_lt_f32_e32 vcc, v8, v3
	v_cndmask_b32_e32 v5, v4, v28, vcc
	v_cvt_f32_f16_e32 v4, v6
	v_cndmask_b32_e32 v8, v8, v3, vcc
	v_cmp_lt_f32_e32 vcc, v8, v4
	v_cndmask_b32_e32 v9, v5, v29, vcc
	v_cvt_f32_f16_sdwa v5, v6 dst_sel:DWORD dst_unused:UNUSED_PAD src0_sel:WORD_1
	v_cvt_f32_f16_e32 v6, v7
	v_cndmask_b32_e32 v8, v8, v4, vcc
	v_cvt_f32_f16_sdwa v7, v7 dst_sel:DWORD dst_unused:UNUSED_PAD src0_sel:WORD_1
	v_cmp_lt_f32_e32 vcc, v8, v5
	v_cndmask_b32_e32 v8, v8, v5, vcc
	v_cndmask_b32_e32 v9, v9, v30, vcc
	v_cmp_lt_f32_e32 vcc, v8, v6
	v_cndmask_b32_e32 v8, v8, v6, vcc
	v_cndmask_b32_e32 v9, v9, v31, vcc
	v_cmp_lt_f32_e32 vcc, v8, v7
	v_cndmask_b32_e32 v10, v8, v7, vcc
	s_waitcnt vmcnt(1)
	v_cvt_f32_f16_e32 v8, v12
	v_cndmask_b32_e32 v9, v9, v32, vcc
	v_cmp_lt_f32_e32 vcc, v10, v8
	v_cndmask_b32_e32 v11, v9, v33, vcc
	v_cvt_f32_f16_sdwa v9, v12 dst_sel:DWORD dst_unused:UNUSED_PAD src0_sel:WORD_1
	v_cndmask_b32_e32 v10, v10, v8, vcc
	v_cmp_lt_f32_e32 vcc, v10, v9
	v_cndmask_b32_e32 v12, v10, v9, vcc
	v_cvt_f32_f16_e32 v10, v13
	v_cndmask_b32_e32 v11, v11, v34, vcc
	v_cmp_lt_f32_e32 vcc, v12, v10
	v_cndmask_b32_e32 v17, v11, v35, vcc
	v_cvt_f32_f16_sdwa v11, v13 dst_sel:DWORD dst_unused:UNUSED_PAD src0_sel:WORD_1
	v_cndmask_b32_e32 v12, v12, v10, vcc
	v_cmp_lt_f32_e32 vcc, v12, v11
	v_cndmask_b32_e32 v13, v17, v36, vcc
	v_cndmask_b32_e32 v17, v12, v11, vcc
	v_cvt_f32_f16_e32 v12, v14
	v_cmp_lt_f32_e32 vcc, v17, v12
	v_cndmask_b32_e32 v18, v13, v37, vcc
	v_cvt_f32_f16_sdwa v13, v14 dst_sel:DWORD dst_unused:UNUSED_PAD src0_sel:WORD_1
	v_cvt_f32_f16_e32 v14, v15
	v_cndmask_b32_e32 v17, v17, v12, vcc
	v_cvt_f32_f16_sdwa v15, v15 dst_sel:DWORD dst_unused:UNUSED_PAD src0_sel:WORD_1
	v_cmp_lt_f32_e32 vcc, v17, v13
	v_cndmask_b32_e32 v17, v17, v13, vcc
	v_cndmask_b32_e32 v18, v18, v38, vcc
	v_cmp_lt_f32_e32 vcc, v17, v14
	v_cndmask_b32_e32 v17, v17, v14, vcc
	v_cndmask_b32_e32 v18, v18, v39, vcc
	;; [unrolled: 3-line block ×3, first 2 shown]
	s_nop 0
	v_mov_b32_dpp v20, v18 quad_perm:[1,0,3,2] row_mask:0xf bank_mask:0xf
	v_mov_b32_dpp v19, v17 quad_perm:[1,0,3,2] row_mask:0xf bank_mask:0xf
	v_cmp_eq_f32_e64 s[0:1], v17, v19
	v_cmp_lt_i32_e64 s[2:3], v20, v18
	v_cmp_lt_f32_e32 vcc, v17, v19
	s_and_b64 s[0:1], s[0:1], s[2:3]
	s_or_b64 vcc, vcc, s[0:1]
	v_cndmask_b32_e32 v17, v17, v19, vcc
	v_cndmask_b32_e32 v18, v18, v20, vcc
	s_cmp_gt_i32 s36, 0
	s_cselect_b64 s[46:47], -1, 0
	s_cmp_lt_i32 s36, 1
	v_cmp_eq_u32_e32 vcc, 0, v24
	v_mov_b32_dpp v20, v18 quad_perm:[2,3,0,1] row_mask:0xf bank_mask:0xf
	v_mov_b32_dpp v19, v17 quad_perm:[2,3,0,1] row_mask:0xf bank_mask:0xf
	s_cbranch_scc1 .LBB172_16
; %bb.5:
	s_load_dwordx4 s[40:43], s[4:5], 0x20
	v_cmp_eq_f32_e64 s[2:3], v17, v19
	v_cmp_lt_i32_e64 s[6:7], v20, v18
	v_cmp_lt_f32_e64 s[0:1], v17, v19
	s_and_b64 s[2:3], s[2:3], s[6:7]
	s_or_b64 s[0:1], s[0:1], s[2:3]
	v_cndmask_b32_e64 v44, v18, v20, s[0:1]
	v_cndmask_b32_e64 v42, v17, v19, s[0:1]
	v_mul_lo_u32 v20, v43, s8
	v_mul_lo_u32 v18, v43, s36
	v_mov_b32_e32 v41, 0
	s_and_saveexec_b64 s[4:5], vcc
	s_cbranch_execz .LBB172_7
; %bb.6:
	v_sub_f32_e32 v17, v42, v42
	v_mul_f32_e32 v19, 0x3fb8aa3b, v17
	s_mov_b32 s0, 0x3fb8aa3b
	v_rndne_f32_e32 v21, v19
	v_sub_f32_e32 v41, v19, v21
	v_fma_f32 v19, v17, s0, -v19
	v_fmac_f32_e32 v19, 0x32a5705f, v17
	v_add_f32_e32 v19, v41, v19
	v_exp_f32_e32 v19, v19
	v_cvt_i32_f32_e32 v21, v21
	v_cmp_le_i32_e64 s[0:1], s37, v44
	v_cmp_gt_i32_e64 s[2:3], s38, v44
	s_and_b64 s[2:3], s[0:1], s[2:3]
	s_mov_b32 s0, 0xc2ce8ed0
	v_ldexp_f32 v19, v19, v21
	v_cmp_ngt_f32_e64 s[0:1], s0, v17
	v_cndmask_b32_e64 v19, 0, v19, s[0:1]
	s_mov_b32 s0, 0x42b17218
	v_cmp_nlt_f32_e64 s[0:1], s0, v17
	v_ashrrev_i32_e32 v17, 31, v16
	v_mov_b32_e32 v21, 0x7f800000
	v_lshlrev_b64 v[46:47], 2, v[16:17]
	v_cndmask_b32_e64 v41, v21, v19, s[0:1]
	v_mov_b32_e32 v17, s35
	v_add_co_u32_e64 v46, s[0:1], s34, v46
	v_addc_co_u32_e64 v47, s[0:1], v17, v47, s[0:1]
	v_ashrrev_i32_e32 v21, 31, v20
	global_store_dword v[46:47], v41, off
	v_subrev_u32_e32 v17, s37, v44
	s_and_b64 s[0:1], s[44:45], s[2:3]
	v_lshlrev_b64 v[46:47], 2, v[20:21]
	v_cndmask_b32_e64 v17, 64, v17, s[0:1]
	s_waitcnt lgkmcnt(0)
	v_mov_b32_e32 v19, s41
	v_add_co_u32_e64 v46, s[0:1], s40, v46
	v_addc_co_u32_e64 v47, s[0:1], v19, v47, s[0:1]
	v_ashrrev_i32_e32 v19, 31, v18
	global_store_dword v[46:47], v17, off
	v_lshlrev_b64 v[46:47], 2, v[18:19]
	v_mov_b32_e32 v17, s43
	v_add_co_u32_e64 v46, s[0:1], s42, v46
	v_addc_co_u32_e64 v47, s[0:1], v17, v47, s[0:1]
	global_store_dword v[46:47], v43, off
.LBB172_7:
	s_or_b64 exec, exec, s[4:5]
	v_ashrrev_i32_e32 v19, 31, v44
	v_lshrrev_b32_e32 v17, 28, v19
	v_add_u32_e32 v17, v44, v17
	v_ashrrev_i32_e32 v17, 4, v17
	v_lshrrev_b32_e32 v21, 30, v17
	v_add_u32_e32 v21, v17, v21
	v_and_b32_e32 v21, -4, v21
	v_sub_u32_e32 v21, v17, v21
	v_cmp_eq_u32_e64 s[0:1], v24, v21
	s_and_saveexec_b64 s[48:49], s[0:1]
	s_cbranch_execz .LBB172_9
; %bb.8:
	v_lshrrev_b32_e32 v19, 26, v19
	v_add_u32_e32 v19, v44, v19
	v_lshlrev_b32_e32 v17, 4, v17
	v_sub_u32_e32 v17, v44, v17
	v_ashrrev_i32_e32 v19, 6, v19
	v_lshl_add_u32 v17, v19, 4, v17
	v_mov_b32_e32 v19, 0xff800000
	v_cmp_ne_u32_e64 s[0:1], 14, v17
	v_cmp_ne_u32_e64 s[2:3], 13, v17
	;; [unrolled: 1-line block ×16, first 2 shown]
	v_cndmask_b32_e64 v15, v19, v15, s[30:31]
	v_cndmask_b32_e64 v14, v19, v14, s[0:1]
	;; [unrolled: 1-line block ×16, first 2 shown]
.LBB172_9:
	s_or_b64 exec, exec, s[48:49]
	s_cmp_eq_u32 s36, 1
	s_cbranch_scc1 .LBB172_16
; %bb.10:
	s_add_i32 s50, s50, s33
	s_add_i32 s39, s36, -1
	v_add3_u32 v17, s50, v23, v22
	v_add_u32_e32 v18, 1, v18
	v_add_u32_e32 v20, 1, v20
	;; [unrolled: 1-line block ×3, first 2 shown]
	s_mov_b32 s50, 0x3fb8aa3b
	s_mov_b32 s51, 0xc2ce8ed0
	;; [unrolled: 1-line block ×3, first 2 shown]
	v_mov_b32_e32 v43, 0x7f800000
	v_mov_b32_e32 v44, 0xff800000
	s_branch .LBB172_12
.LBB172_11:                             ;   in Loop: Header=BB172_12 Depth=1
	s_or_b64 exec, exec, s[48:49]
	s_add_i32 s39, s39, -1
	v_add_u32_e32 v17, s33, v17
	v_add_u32_e32 v18, 1, v18
	;; [unrolled: 1-line block ×3, first 2 shown]
	s_cmp_eq_u32 s39, 0
	v_add_u32_e32 v22, 1, v22
	s_cbranch_scc1 .LBB172_16
.LBB172_12:                             ; =>This Inner Loop Header: Depth=1
	v_cmp_gt_f32_e64 s[0:1], v1, v0
	v_cndmask_b32_e64 v21, v0, v1, s[0:1]
	v_cndmask_b32_e64 v19, v25, v26, s[0:1]
	v_cmp_gt_f32_e64 s[0:1], v2, v21
	v_cndmask_b32_e64 v21, v21, v2, s[0:1]
	v_cndmask_b32_e64 v19, v19, v27, s[0:1]
	;; [unrolled: 3-line block ×15, first 2 shown]
	s_nop 0
	v_mov_b32_dpp v45, v23 quad_perm:[1,0,3,2] row_mask:0xf bank_mask:0xf
	v_mov_b32_dpp v21, v19 quad_perm:[1,0,3,2] row_mask:0xf bank_mask:0xf
	v_cmp_eq_f32_e64 s[2:3], v19, v21
	v_cmp_lt_i32_e64 s[4:5], v45, v23
	v_cmp_lt_f32_e64 s[0:1], v19, v21
	s_and_b64 s[2:3], s[2:3], s[4:5]
	s_or_b64 s[0:1], s[0:1], s[2:3]
	v_cndmask_b32_e64 v19, v19, v21, s[0:1]
	v_cndmask_b32_e64 v23, v23, v45, s[0:1]
	s_nop 0
	v_mov_b32_dpp v21, v19 quad_perm:[2,3,0,1] row_mask:0xf bank_mask:0xf
	v_mov_b32_dpp v45, v23 quad_perm:[2,3,0,1] row_mask:0xf bank_mask:0xf
	v_cmp_eq_f32_e64 s[2:3], v19, v21
	v_cmp_lt_i32_e64 s[4:5], v45, v23
	v_cmp_lt_f32_e64 s[0:1], v19, v21
	s_and_b64 s[2:3], s[2:3], s[4:5]
	s_or_b64 s[0:1], s[0:1], s[2:3]
	v_cndmask_b32_e64 v45, v23, v45, s[0:1]
	s_and_saveexec_b64 s[4:5], vcc
	s_cbranch_execz .LBB172_14
; %bb.13:                               ;   in Loop: Header=BB172_12 Depth=1
	v_cndmask_b32_e64 v19, v19, v21, s[0:1]
	v_sub_f32_e32 v19, v19, v42
	v_mul_f32_e32 v21, 0x3fb8aa3b, v19
	v_fma_f32 v23, v19, s50, -v21
	v_rndne_f32_e32 v46, v21
	v_fmac_f32_e32 v23, 0x32a5705f, v19
	v_sub_f32_e32 v21, v21, v46
	v_add_f32_e32 v21, v21, v23
	v_exp_f32_e32 v21, v21
	v_cvt_i32_f32_e32 v23, v46
	v_cmp_le_i32_e64 s[0:1], s37, v45
	v_cmp_gt_i32_e64 s[2:3], s38, v45
	s_and_b64 s[2:3], s[0:1], s[2:3]
	v_ldexp_f32 v21, v21, v23
	v_cmp_ngt_f32_e64 s[0:1], s51, v19
	v_ashrrev_i32_e32 v23, 31, v22
	v_cndmask_b32_e64 v21, 0, v21, s[0:1]
	v_cmp_nlt_f32_e64 s[0:1], s52, v19
	v_lshlrev_b64 v[46:47], 2, v[22:23]
	v_cndmask_b32_e64 v48, v43, v21, s[0:1]
	v_mov_b32_e32 v19, s35
	v_add_co_u32_e64 v46, s[0:1], s34, v46
	v_addc_co_u32_e64 v47, s[0:1], v19, v47, s[0:1]
	v_ashrrev_i32_e32 v21, 31, v20
	global_store_dword v[46:47], v48, off
	v_subrev_u32_e32 v19, s37, v45
	s_and_b64 s[0:1], s[44:45], s[2:3]
	v_lshlrev_b64 v[46:47], 2, v[20:21]
	v_cndmask_b32_e64 v19, 64, v19, s[0:1]
	s_waitcnt lgkmcnt(0)
	v_mov_b32_e32 v21, s41
	v_add_co_u32_e64 v46, s[0:1], s40, v46
	v_addc_co_u32_e64 v47, s[0:1], v21, v47, s[0:1]
	global_store_dword v[46:47], v19, off
	v_ashrrev_i32_e32 v19, 31, v18
	v_lshlrev_b64 v[46:47], 2, v[18:19]
	v_mov_b32_e32 v19, s43
	v_add_co_u32_e64 v46, s[0:1], s42, v46
	v_addc_co_u32_e64 v47, s[0:1], v19, v47, s[0:1]
	v_add_f32_e32 v41, v41, v48
	global_store_dword v[46:47], v17, off
.LBB172_14:                             ;   in Loop: Header=BB172_12 Depth=1
	s_or_b64 exec, exec, s[4:5]
	v_ashrrev_i32_e32 v21, 31, v45
	v_lshrrev_b32_e32 v19, 28, v21
	v_add_u32_e32 v19, v45, v19
	v_ashrrev_i32_e32 v19, 4, v19
	v_lshrrev_b32_e32 v23, 30, v19
	v_add_u32_e32 v23, v19, v23
	v_and_b32_e32 v23, -4, v23
	v_sub_u32_e32 v23, v19, v23
	v_cmp_eq_u32_e64 s[0:1], v24, v23
	s_and_saveexec_b64 s[48:49], s[0:1]
	s_cbranch_execz .LBB172_11
; %bb.15:                               ;   in Loop: Header=BB172_12 Depth=1
	v_lshrrev_b32_e32 v21, 26, v21
	v_add_u32_e32 v21, v45, v21
	v_lshlrev_b32_e32 v19, 4, v19
	v_sub_u32_e32 v19, v45, v19
	v_ashrrev_i32_e32 v21, 6, v21
	v_lshl_add_u32 v19, v21, 4, v19
	v_cmp_ne_u32_e64 s[0:1], 14, v19
	v_cmp_ne_u32_e64 s[2:3], 13, v19
	;; [unrolled: 1-line block ×16, first 2 shown]
	v_cndmask_b32_e64 v15, v44, v15, s[30:31]
	v_cndmask_b32_e64 v14, v44, v14, s[0:1]
	;; [unrolled: 1-line block ×16, first 2 shown]
	s_branch .LBB172_11
.LBB172_16:
	v_cmp_eq_u32_e32 vcc, 0, v24
	v_cmp_neq_f32_e64 s[0:1], 0, v41
	s_and_b64 s[0:1], vcc, s[0:1]
	s_and_b64 exec, exec, s[0:1]
	s_cbranch_execz .LBB172_27
; %bb.17:
	s_andn2_b64 vcc, exec, s[46:47]
	s_cbranch_vccnz .LBB172_27
; %bb.18:
	v_div_scale_f32 v0, s[0:1], v41, v41, 1.0
	v_rcp_f32_e32 v1, v0
	v_div_scale_f32 v2, vcc, 1.0, v41, 1.0
	s_cmp_gt_u32 s36, 3
	v_fma_f32 v3, -v0, v1, 1.0
	v_fmac_f32_e32 v1, v3, v1
	v_mul_f32_e32 v3, v2, v1
	v_fma_f32 v4, -v0, v3, v2
	v_fmac_f32_e32 v3, v4, v1
	v_fma_f32 v0, -v0, v3, v2
	v_div_fmas_f32 v0, v0, v1, v3
	v_div_fixup_f32 v0, v0, v41, 1.0
	v_ashrrev_i32_e32 v17, 31, v16
	s_cbranch_scc0 .LBB172_22
; %bb.19:
	v_lshlrev_b64 v[2:3], 2, v[16:17]
	v_mov_b32_e32 v4, s35
	v_add_co_u32_e32 v2, vcc, s34, v2
	v_addc_co_u32_e32 v3, vcc, v3, v4, vcc
	s_and_b32 s4, s36, 0x7ffffffc
	v_add_co_u32_e32 v2, vcc, 8, v2
	v_mov_b32_e32 v1, v0
	v_addc_co_u32_e32 v3, vcc, 0, v3, vcc
	s_mov_b32 s0, s4
.LBB172_20:                             ; =>This Inner Loop Header: Depth=1
	global_load_dwordx4 v[4:7], v[2:3], off offset:-8
	s_add_i32 s0, s0, -4
	s_cmp_lg_u32 s0, 0
	s_waitcnt vmcnt(0)
	v_pk_mul_f32 v[4:5], v[0:1], v[4:5]
	v_pk_mul_f32 v[6:7], v[0:1], v[6:7]
	global_store_dwordx4 v[2:3], v[4:7], off offset:-8
	v_add_co_u32_e32 v2, vcc, 16, v2
	v_addc_co_u32_e32 v3, vcc, 0, v3, vcc
	s_cbranch_scc1 .LBB172_20
; %bb.21:
	s_cmp_lg_u32 s4, s36
	s_cselect_b64 s[0:1], -1, 0
	s_branch .LBB172_24
.LBB172_22:
	s_mov_b64 s[0:1], 0
                                        ; implicit-def: $sgpr4
	s_cbranch_execz .LBB172_24
; %bb.23:
	s_mov_b64 s[0:1], -1
	s_mov_b32 s4, 0
.LBB172_24:
	s_andn2_b64 vcc, exec, s[0:1]
	s_cbranch_vccnz .LBB172_27
; %bb.25:
	v_add_co_u32_e32 v2, vcc, s4, v16
	v_addc_co_u32_e32 v3, vcc, 0, v17, vcc
	v_lshlrev_b64 v[2:3], 2, v[2:3]
	v_mov_b32_e32 v1, s35
	v_add_co_u32_e32 v2, vcc, s34, v2
	s_sub_i32 s0, s36, s4
	v_addc_co_u32_e32 v3, vcc, v1, v3, vcc
.LBB172_26:                             ; =>This Inner Loop Header: Depth=1
	global_load_dword v1, v[2:3], off
	s_add_i32 s0, s0, -1
	s_cmp_lg_u32 s0, 0
	s_waitcnt vmcnt(0)
	v_mul_f32_e32 v1, v0, v1
	global_store_dword v[2:3], v1, off
	v_add_co_u32_e32 v2, vcc, 4, v2
	v_addc_co_u32_e32 v3, vcc, 0, v3, vcc
	s_cbranch_scc1 .LBB172_26
.LBB172_27:
	s_endpgm
	.section	.rodata,"a",@progbits
	.p2align	6, 0x0
	.amdhsa_kernel _ZN4vllm3moe17topkGatingSoftmaxIDF16_Li16ELi64ELi8ELi32ELb1ELi4ELNS0_23SharedExpertScoringFuncE1EEEvPKT_PKbPfiPiS9_iiiiii
		.amdhsa_group_segment_fixed_size 0
		.amdhsa_private_segment_fixed_size 0
		.amdhsa_kernarg_size 72
		.amdhsa_user_sgpr_count 6
		.amdhsa_user_sgpr_private_segment_buffer 1
		.amdhsa_user_sgpr_dispatch_ptr 0
		.amdhsa_user_sgpr_queue_ptr 0
		.amdhsa_user_sgpr_kernarg_segment_ptr 1
		.amdhsa_user_sgpr_dispatch_id 0
		.amdhsa_user_sgpr_flat_scratch_init 0
		.amdhsa_user_sgpr_kernarg_preload_length 0
		.amdhsa_user_sgpr_kernarg_preload_offset 0
		.amdhsa_user_sgpr_private_segment_size 0
		.amdhsa_uses_dynamic_stack 0
		.amdhsa_system_sgpr_private_segment_wavefront_offset 0
		.amdhsa_system_sgpr_workgroup_id_x 1
		.amdhsa_system_sgpr_workgroup_id_y 0
		.amdhsa_system_sgpr_workgroup_id_z 0
		.amdhsa_system_sgpr_workgroup_info 0
		.amdhsa_system_vgpr_workitem_id 1
		.amdhsa_next_free_vgpr 49
		.amdhsa_next_free_sgpr 53
		.amdhsa_accum_offset 52
		.amdhsa_reserve_vcc 1
		.amdhsa_reserve_flat_scratch 0
		.amdhsa_float_round_mode_32 0
		.amdhsa_float_round_mode_16_64 0
		.amdhsa_float_denorm_mode_32 3
		.amdhsa_float_denorm_mode_16_64 3
		.amdhsa_dx10_clamp 1
		.amdhsa_ieee_mode 1
		.amdhsa_fp16_overflow 0
		.amdhsa_tg_split 0
		.amdhsa_exception_fp_ieee_invalid_op 0
		.amdhsa_exception_fp_denorm_src 0
		.amdhsa_exception_fp_ieee_div_zero 0
		.amdhsa_exception_fp_ieee_overflow 0
		.amdhsa_exception_fp_ieee_underflow 0
		.amdhsa_exception_fp_ieee_inexact 0
		.amdhsa_exception_int_div_zero 0
	.end_amdhsa_kernel
	.section	.text._ZN4vllm3moe17topkGatingSoftmaxIDF16_Li16ELi64ELi8ELi32ELb1ELi4ELNS0_23SharedExpertScoringFuncE1EEEvPKT_PKbPfiPiS9_iiiiii,"axG",@progbits,_ZN4vllm3moe17topkGatingSoftmaxIDF16_Li16ELi64ELi8ELi32ELb1ELi4ELNS0_23SharedExpertScoringFuncE1EEEvPKT_PKbPfiPiS9_iiiiii,comdat
.Lfunc_end172:
	.size	_ZN4vllm3moe17topkGatingSoftmaxIDF16_Li16ELi64ELi8ELi32ELb1ELi4ELNS0_23SharedExpertScoringFuncE1EEEvPKT_PKbPfiPiS9_iiiiii, .Lfunc_end172-_ZN4vllm3moe17topkGatingSoftmaxIDF16_Li16ELi64ELi8ELi32ELb1ELi4ELNS0_23SharedExpertScoringFuncE1EEEvPKT_PKbPfiPiS9_iiiiii
                                        ; -- End function
	.section	.AMDGPU.csdata,"",@progbits
; Kernel info:
; codeLenInByte = 3204
; NumSgprs: 57
; NumVgprs: 49
; NumAgprs: 0
; TotalNumVgprs: 49
; ScratchSize: 0
; MemoryBound: 0
; FloatMode: 240
; IeeeMode: 1
; LDSByteSize: 0 bytes/workgroup (compile time only)
; SGPRBlocks: 7
; VGPRBlocks: 6
; NumSGPRsForWavesPerEU: 57
; NumVGPRsForWavesPerEU: 49
; AccumOffset: 52
; Occupancy: 8
; WaveLimiterHint : 0
; COMPUTE_PGM_RSRC2:SCRATCH_EN: 0
; COMPUTE_PGM_RSRC2:USER_SGPR: 6
; COMPUTE_PGM_RSRC2:TRAP_HANDLER: 0
; COMPUTE_PGM_RSRC2:TGID_X_EN: 1
; COMPUTE_PGM_RSRC2:TGID_Y_EN: 0
; COMPUTE_PGM_RSRC2:TGID_Z_EN: 0
; COMPUTE_PGM_RSRC2:TIDIG_COMP_CNT: 1
; COMPUTE_PGM_RSRC3_GFX90A:ACCUM_OFFSET: 12
; COMPUTE_PGM_RSRC3_GFX90A:TG_SPLIT: 0
	.section	.text._ZN4vllm3moe17topkGatingSoftmaxIDF16_Li16ELi64ELi8ELi32ELb0ELi4ELNS0_23SharedExpertScoringFuncE1EEEvPKT_PKbPfiPiS9_iiiiii,"axG",@progbits,_ZN4vllm3moe17topkGatingSoftmaxIDF16_Li16ELi64ELi8ELi32ELb0ELi4ELNS0_23SharedExpertScoringFuncE1EEEvPKT_PKbPfiPiS9_iiiiii,comdat
	.protected	_ZN4vllm3moe17topkGatingSoftmaxIDF16_Li16ELi64ELi8ELi32ELb0ELi4ELNS0_23SharedExpertScoringFuncE1EEEvPKT_PKbPfiPiS9_iiiiii ; -- Begin function _ZN4vllm3moe17topkGatingSoftmaxIDF16_Li16ELi64ELi8ELi32ELb0ELi4ELNS0_23SharedExpertScoringFuncE1EEEvPKT_PKbPfiPiS9_iiiiii
	.globl	_ZN4vllm3moe17topkGatingSoftmaxIDF16_Li16ELi64ELi8ELi32ELb0ELi4ELNS0_23SharedExpertScoringFuncE1EEEvPKT_PKbPfiPiS9_iiiiii
	.p2align	8
	.type	_ZN4vllm3moe17topkGatingSoftmaxIDF16_Li16ELi64ELi8ELi32ELb0ELi4ELNS0_23SharedExpertScoringFuncE1EEEvPKT_PKbPfiPiS9_iiiiii,@function
_ZN4vllm3moe17topkGatingSoftmaxIDF16_Li16ELi64ELi8ELi32ELb0ELi4ELNS0_23SharedExpertScoringFuncE1EEEvPKT_PKbPfiPiS9_iiiiii: ; @_ZN4vllm3moe17topkGatingSoftmaxIDF16_Li16ELi64ELi8ELi32ELb0ELi4ELNS0_23SharedExpertScoringFuncE1EEEvPKT_PKbPfiPiS9_iiiiii
; %bb.0:
	s_load_dword s33, s[4:5], 0x18
	v_bfe_u32 v1, v0, 10, 10
	v_and_b32_e32 v0, 0x3ff, v0
	s_lshl_b32 s50, s6, 7
	v_lshlrev_b32_e32 v22, 4, v1
	v_lshrrev_b32_e32 v23, 2, v0
	v_add3_u32 v43, s50, v22, v23
	s_waitcnt lgkmcnt(0)
	v_cmp_gt_i32_e32 vcc, s33, v43
	s_and_saveexec_b64 s[0:1], vcc
	s_cbranch_execz .LBB173_29
; %bb.1:
	s_load_dwordx4 s[0:3], s[4:5], 0x0
	s_load_dwordx2 s[34:35], s[4:5], 0x10
	s_waitcnt lgkmcnt(0)
	s_cmp_eq_u64 s[2:3], 0
	s_cbranch_scc1 .LBB173_3
; %bb.2:
	v_ashrrev_i32_e32 v1, 31, v43
	v_mov_b32_e32 v3, s3
	v_add_co_u32_e32 v2, vcc, s2, v43
	v_addc_co_u32_e32 v3, vcc, v3, v1, vcc
	global_load_ubyte v1, v[2:3], off
	s_waitcnt vmcnt(0)
	v_and_b32_e32 v1, 1, v1
	v_cmp_eq_u32_e32 vcc, 1, v1
	s_xor_b64 s[2:3], vcc, -1
	s_orn2_b64 s[46:47], s[2:3], exec
	s_branch .LBB173_4
.LBB173_3:
	s_mov_b64 s[46:47], -1
.LBB173_4:
	s_load_dwordx2 s[6:7], s[4:5], 0x40
	s_load_dwordx4 s[36:39], s[4:5], 0x30
	v_mov_b32_e32 v1, s1
	v_and_b32_e32 v24, 3, v0
	v_lshlrev_b32_e32 v0, 1, v24
	s_waitcnt lgkmcnt(0)
	v_mul_lo_u32 v2, v43, s7
	v_ashrrev_i32_e32 v3, 31, v2
	v_lshlrev_b64 v[2:3], 1, v[2:3]
	v_add_co_u32_e32 v2, vcc, s0, v2
	v_addc_co_u32_e32 v3, vcc, v1, v3, vcc
	v_add_co_u32_e32 v0, vcc, v2, v0
	v_addc_co_u32_e32 v1, vcc, 0, v3, vcc
	global_load_ushort v8, v[0:1], off offset:128
	v_lshlrev_b32_e32 v4, 5, v24
	v_add_co_u32_e32 v0, vcc, v2, v4
	v_addc_co_u32_e32 v1, vcc, 0, v3, vcc
	global_load_dwordx4 v[4:7], v[0:1], off
	global_load_dwordx4 v[12:15], v[0:1], off offset:16
	v_mul_lo_u32 v16, v43, s39
	v_add3_u32 v0, v16, s36, v24
	v_ashrrev_i32_e32 v1, 31, v0
	v_lshlrev_b64 v[0:1], 2, v[0:1]
	v_mov_b32_e32 v3, s35
	v_add_co_u32_e32 v2, vcc, s34, v0
	s_mov_b32 s0, 0x3fb8aa3b
	v_addc_co_u32_e32 v3, vcc, v3, v1, vcc
	s_mov_b32 s1, 0x32a5705f
	s_mov_b32 s2, 0xc2ce8ed0
	s_mov_b32 s3, 0x42b17218
	v_mov_b32_e32 v9, 0x7f800000
	v_lshlrev_b32_e32 v27, 4, v24
	v_or_b32_e32 v28, 1, v27
	v_or_b32_e32 v29, 2, v27
	;; [unrolled: 1-line block ×15, first 2 shown]
	v_mov_b32_e32 v26, 0
	s_waitcnt vmcnt(2)
	v_cvt_f32_f16_e64 v10, -v8
	v_mul_f32_e32 v1, 0x3fb8aa3b, v10
	v_fma_mix_f32 v11, -v8, s0, -v1 op_sel_hi:[1,0,0]
	v_rndne_f32_e32 v17, v1
	v_fma_mix_f32 v8, -v8, s1, v11 op_sel_hi:[1,0,0]
	v_sub_f32_e32 v1, v1, v17
	v_add_f32_e32 v1, v1, v8
	v_cvt_i32_f32_e32 v11, v17
	v_exp_f32_e32 v8, v1
	v_cmp_ngt_f32_e64 s[0:1], s2, v10
	s_waitcnt vmcnt(1)
	v_cvt_f32_f16_e32 v0, v4
	v_cvt_f32_f16_sdwa v1, v4 dst_sel:DWORD dst_unused:UNUSED_PAD src0_sel:WORD_1
	v_ldexp_f32 v8, v8, v11
	v_cndmask_b32_e64 v8, 0, v8, s[0:1]
	v_cmp_nlt_f32_e64 s[0:1], s3, v10
	v_cndmask_b32_e64 v8, v9, v8, s[0:1]
	v_add_f32_e32 v8, 1.0, v8
	v_div_scale_f32 v9, s[0:1], v8, v8, 1.0
	v_rcp_f32_e32 v10, v9
	v_cmp_lt_f16_sdwa vcc, v4, v4 src0_sel:DWORD src1_sel:WORD_1
	v_cndmask_b32_e32 v4, v27, v28, vcc
	v_cndmask_b32_e32 v11, v0, v1, vcc
	v_fma_f32 v18, -v9, v10, 1.0
	v_div_scale_f32 v17, vcc, 1.0, v8, 1.0
	v_fmac_f32_e32 v10, v18, v10
	v_mul_f32_e32 v18, v17, v10
	v_fma_f32 v19, -v9, v18, v17
	v_fmac_f32_e32 v18, v19, v10
	v_fma_f32 v9, -v9, v18, v17
	v_div_fmas_f32 v9, v9, v10, v18
	v_div_fixup_f32 v8, v9, v8, 1.0
	global_store_dword v[2:3], v8, off
	v_cvt_f32_f16_e32 v2, v5
	v_cvt_f32_f16_sdwa v3, v5 dst_sel:DWORD dst_unused:UNUSED_PAD src0_sel:WORD_1
	v_cmp_lt_f32_e32 vcc, v11, v2
	v_cndmask_b32_e32 v8, v11, v2, vcc
	v_cndmask_b32_e32 v4, v4, v29, vcc
	v_cmp_lt_f32_e32 vcc, v8, v3
	v_cndmask_b32_e32 v5, v4, v30, vcc
	v_cvt_f32_f16_e32 v4, v6
	v_cndmask_b32_e32 v8, v8, v3, vcc
	v_cmp_lt_f32_e32 vcc, v8, v4
	v_cndmask_b32_e32 v9, v5, v31, vcc
	v_cvt_f32_f16_sdwa v5, v6 dst_sel:DWORD dst_unused:UNUSED_PAD src0_sel:WORD_1
	v_cvt_f32_f16_e32 v6, v7
	v_cndmask_b32_e32 v8, v8, v4, vcc
	v_cvt_f32_f16_sdwa v7, v7 dst_sel:DWORD dst_unused:UNUSED_PAD src0_sel:WORD_1
	v_cmp_lt_f32_e32 vcc, v8, v5
	v_cndmask_b32_e32 v8, v8, v5, vcc
	v_cndmask_b32_e32 v9, v9, v32, vcc
	v_cmp_lt_f32_e32 vcc, v8, v6
	v_cndmask_b32_e32 v8, v8, v6, vcc
	v_cndmask_b32_e32 v9, v9, v33, vcc
	v_cmp_lt_f32_e32 vcc, v8, v7
	v_cndmask_b32_e32 v10, v8, v7, vcc
	s_waitcnt vmcnt(1)
	v_cvt_f32_f16_e32 v8, v12
	v_cndmask_b32_e32 v9, v9, v34, vcc
	v_cmp_lt_f32_e32 vcc, v10, v8
	v_cndmask_b32_e32 v11, v9, v35, vcc
	v_cvt_f32_f16_sdwa v9, v12 dst_sel:DWORD dst_unused:UNUSED_PAD src0_sel:WORD_1
	v_cndmask_b32_e32 v10, v10, v8, vcc
	v_cmp_lt_f32_e32 vcc, v10, v9
	v_cndmask_b32_e32 v12, v10, v9, vcc
	v_cvt_f32_f16_e32 v10, v13
	v_cndmask_b32_e32 v11, v11, v36, vcc
	v_cmp_lt_f32_e32 vcc, v12, v10
	v_cndmask_b32_e32 v17, v11, v37, vcc
	v_cvt_f32_f16_sdwa v11, v13 dst_sel:DWORD dst_unused:UNUSED_PAD src0_sel:WORD_1
	v_cndmask_b32_e32 v12, v12, v10, vcc
	v_cmp_lt_f32_e32 vcc, v12, v11
	v_cndmask_b32_e32 v13, v17, v38, vcc
	v_cndmask_b32_e32 v17, v12, v11, vcc
	v_cvt_f32_f16_e32 v12, v14
	v_cmp_lt_f32_e32 vcc, v17, v12
	v_cndmask_b32_e32 v18, v13, v39, vcc
	v_cvt_f32_f16_sdwa v13, v14 dst_sel:DWORD dst_unused:UNUSED_PAD src0_sel:WORD_1
	v_cvt_f32_f16_e32 v14, v15
	v_cndmask_b32_e32 v17, v17, v12, vcc
	v_cvt_f32_f16_sdwa v15, v15 dst_sel:DWORD dst_unused:UNUSED_PAD src0_sel:WORD_1
	v_cmp_lt_f32_e32 vcc, v17, v13
	v_cndmask_b32_e32 v17, v17, v13, vcc
	v_cndmask_b32_e32 v18, v18, v40, vcc
	v_cmp_lt_f32_e32 vcc, v17, v14
	v_cndmask_b32_e32 v17, v17, v14, vcc
	v_cndmask_b32_e32 v18, v18, v41, vcc
	;; [unrolled: 3-line block ×3, first 2 shown]
	s_nop 0
	v_mov_b32_dpp v20, v18 quad_perm:[1,0,3,2] row_mask:0xf bank_mask:0xf
	v_mov_b32_dpp v19, v17 quad_perm:[1,0,3,2] row_mask:0xf bank_mask:0xf
	v_cmp_eq_f32_e64 s[0:1], v17, v19
	v_cmp_lt_i32_e64 s[2:3], v20, v18
	v_cmp_lt_f32_e32 vcc, v17, v19
	s_and_b64 s[0:1], s[0:1], s[2:3]
	s_or_b64 vcc, vcc, s[0:1]
	v_cndmask_b32_e32 v19, v17, v19, vcc
	v_cndmask_b32_e32 v17, v18, v20, vcc
	s_nop 0
	v_mov_b32_dpp v20, v19 quad_perm:[2,3,0,1] row_mask:0xf bank_mask:0xf
	v_mov_b32_dpp v18, v17 quad_perm:[2,3,0,1] row_mask:0xf bank_mask:0xf
	v_cmp_eq_f32_e64 s[0:1], v19, v20
	v_cmp_lt_i32_e64 s[2:3], v18, v17
	v_cmp_lt_f32_e32 vcc, v19, v20
	s_and_b64 s[0:1], s[0:1], s[2:3]
	s_or_b64 s[0:1], vcc, s[0:1]
	s_cmp_gt_i32 s36, 0
	v_cndmask_b32_e64 v25, v19, v20, s[0:1]
	s_cselect_b64 s[44:45], -1, 0
	s_cmp_lt_i32 s36, 1
	v_cmp_eq_u32_e32 vcc, 0, v24
	s_cbranch_scc1 .LBB173_16
; %bb.5:
	s_load_dwordx4 s[40:43], s[4:5], 0x20
	v_cndmask_b32_e64 v44, v17, v18, s[0:1]
	v_mul_lo_u32 v20, v43, s6
	v_mul_lo_u32 v18, v43, s36
	v_mov_b32_e32 v26, 0
	s_and_saveexec_b64 s[4:5], vcc
	s_cbranch_execz .LBB173_7
; %bb.6:
	v_sub_f32_e32 v17, v25, v25
	v_mul_f32_e32 v19, 0x3fb8aa3b, v17
	s_mov_b32 s0, 0x3fb8aa3b
	v_rndne_f32_e32 v21, v19
	v_sub_f32_e32 v26, v19, v21
	v_fma_f32 v19, v17, s0, -v19
	v_fmac_f32_e32 v19, 0x32a5705f, v17
	v_add_f32_e32 v19, v26, v19
	v_exp_f32_e32 v19, v19
	v_cvt_i32_f32_e32 v21, v21
	v_cmp_le_i32_e64 s[0:1], s37, v44
	v_cmp_gt_i32_e64 s[2:3], s38, v44
	s_and_b64 s[2:3], s[0:1], s[2:3]
	s_mov_b32 s0, 0xc2ce8ed0
	v_ldexp_f32 v19, v19, v21
	v_cmp_ngt_f32_e64 s[0:1], s0, v17
	v_cndmask_b32_e64 v19, 0, v19, s[0:1]
	s_mov_b32 s0, 0x42b17218
	v_cmp_nlt_f32_e64 s[0:1], s0, v17
	v_ashrrev_i32_e32 v17, 31, v16
	v_mov_b32_e32 v21, 0x7f800000
	v_lshlrev_b64 v[46:47], 2, v[16:17]
	v_cndmask_b32_e64 v26, v21, v19, s[0:1]
	v_mov_b32_e32 v17, s35
	v_add_co_u32_e64 v46, s[0:1], s34, v46
	v_addc_co_u32_e64 v47, s[0:1], v17, v47, s[0:1]
	v_ashrrev_i32_e32 v21, 31, v20
	global_store_dword v[46:47], v26, off
	v_subrev_u32_e32 v17, s37, v44
	s_and_b64 s[0:1], s[46:47], s[2:3]
	v_lshlrev_b64 v[46:47], 2, v[20:21]
	v_cndmask_b32_e64 v17, 64, v17, s[0:1]
	s_waitcnt lgkmcnt(0)
	v_mov_b32_e32 v19, s41
	v_add_co_u32_e64 v46, s[0:1], s40, v46
	v_addc_co_u32_e64 v47, s[0:1], v19, v47, s[0:1]
	v_ashrrev_i32_e32 v19, 31, v18
	global_store_dword v[46:47], v17, off
	v_lshlrev_b64 v[46:47], 2, v[18:19]
	v_mov_b32_e32 v17, s43
	v_add_co_u32_e64 v46, s[0:1], s42, v46
	v_addc_co_u32_e64 v47, s[0:1], v17, v47, s[0:1]
	global_store_dword v[46:47], v43, off
.LBB173_7:
	s_or_b64 exec, exec, s[4:5]
	v_ashrrev_i32_e32 v19, 31, v44
	v_lshrrev_b32_e32 v17, 28, v19
	v_add_u32_e32 v17, v44, v17
	v_ashrrev_i32_e32 v17, 4, v17
	v_lshrrev_b32_e32 v21, 30, v17
	v_add_u32_e32 v21, v17, v21
	v_and_b32_e32 v21, -4, v21
	v_sub_u32_e32 v21, v17, v21
	v_cmp_eq_u32_e64 s[0:1], v24, v21
	s_and_saveexec_b64 s[48:49], s[0:1]
	s_cbranch_execz .LBB173_9
; %bb.8:
	v_lshrrev_b32_e32 v19, 26, v19
	v_add_u32_e32 v19, v44, v19
	v_lshlrev_b32_e32 v17, 4, v17
	v_sub_u32_e32 v17, v44, v17
	v_ashrrev_i32_e32 v19, 6, v19
	v_lshl_add_u32 v17, v19, 4, v17
	v_mov_b32_e32 v19, 0xff800000
	v_cmp_ne_u32_e64 s[0:1], 14, v17
	v_cmp_ne_u32_e64 s[2:3], 13, v17
	;; [unrolled: 1-line block ×16, first 2 shown]
	v_cndmask_b32_e64 v15, v19, v15, s[30:31]
	v_cndmask_b32_e64 v14, v19, v14, s[0:1]
	;; [unrolled: 1-line block ×16, first 2 shown]
.LBB173_9:
	s_or_b64 exec, exec, s[48:49]
	s_cmp_eq_u32 s36, 1
	s_cbranch_scc1 .LBB173_16
; %bb.10:
	s_add_i32 s50, s50, s33
	s_add_i32 s39, s36, -1
	v_add3_u32 v17, s50, v23, v22
	v_add_u32_e32 v18, 1, v18
	v_add_u32_e32 v20, 1, v20
	;; [unrolled: 1-line block ×3, first 2 shown]
	s_mov_b32 s50, 0x3fb8aa3b
	s_mov_b32 s51, 0xc2ce8ed0
	;; [unrolled: 1-line block ×3, first 2 shown]
	v_mov_b32_e32 v43, 0x7f800000
	v_mov_b32_e32 v44, 0xff800000
	s_branch .LBB173_12
.LBB173_11:                             ;   in Loop: Header=BB173_12 Depth=1
	s_or_b64 exec, exec, s[48:49]
	s_add_i32 s39, s39, -1
	v_add_u32_e32 v17, s33, v17
	v_add_u32_e32 v18, 1, v18
	;; [unrolled: 1-line block ×3, first 2 shown]
	s_cmp_eq_u32 s39, 0
	v_add_u32_e32 v22, 1, v22
	s_cbranch_scc1 .LBB173_16
.LBB173_12:                             ; =>This Inner Loop Header: Depth=1
	v_cmp_gt_f32_e64 s[0:1], v1, v0
	v_cndmask_b32_e64 v21, v0, v1, s[0:1]
	v_cndmask_b32_e64 v19, v27, v28, s[0:1]
	v_cmp_gt_f32_e64 s[0:1], v2, v21
	v_cndmask_b32_e64 v21, v21, v2, s[0:1]
	v_cndmask_b32_e64 v19, v19, v29, s[0:1]
	;; [unrolled: 3-line block ×15, first 2 shown]
	s_nop 0
	v_mov_b32_dpp v45, v23 quad_perm:[1,0,3,2] row_mask:0xf bank_mask:0xf
	v_mov_b32_dpp v21, v19 quad_perm:[1,0,3,2] row_mask:0xf bank_mask:0xf
	v_cmp_eq_f32_e64 s[2:3], v19, v21
	v_cmp_lt_i32_e64 s[4:5], v45, v23
	v_cmp_lt_f32_e64 s[0:1], v19, v21
	s_and_b64 s[2:3], s[2:3], s[4:5]
	s_or_b64 s[0:1], s[0:1], s[2:3]
	v_cndmask_b32_e64 v19, v19, v21, s[0:1]
	v_cndmask_b32_e64 v23, v23, v45, s[0:1]
	s_nop 0
	v_mov_b32_dpp v21, v19 quad_perm:[2,3,0,1] row_mask:0xf bank_mask:0xf
	v_mov_b32_dpp v45, v23 quad_perm:[2,3,0,1] row_mask:0xf bank_mask:0xf
	v_cmp_eq_f32_e64 s[2:3], v19, v21
	v_cmp_lt_i32_e64 s[4:5], v45, v23
	v_cmp_lt_f32_e64 s[0:1], v19, v21
	s_and_b64 s[2:3], s[2:3], s[4:5]
	s_or_b64 s[0:1], s[0:1], s[2:3]
	v_cndmask_b32_e64 v45, v23, v45, s[0:1]
	s_and_saveexec_b64 s[4:5], vcc
	s_cbranch_execz .LBB173_14
; %bb.13:                               ;   in Loop: Header=BB173_12 Depth=1
	v_cndmask_b32_e64 v19, v19, v21, s[0:1]
	v_sub_f32_e32 v19, v19, v25
	v_mul_f32_e32 v21, 0x3fb8aa3b, v19
	v_fma_f32 v23, v19, s50, -v21
	v_rndne_f32_e32 v46, v21
	v_fmac_f32_e32 v23, 0x32a5705f, v19
	v_sub_f32_e32 v21, v21, v46
	v_add_f32_e32 v21, v21, v23
	v_exp_f32_e32 v21, v21
	v_cvt_i32_f32_e32 v23, v46
	v_cmp_le_i32_e64 s[0:1], s37, v45
	v_cmp_gt_i32_e64 s[2:3], s38, v45
	s_and_b64 s[2:3], s[0:1], s[2:3]
	v_ldexp_f32 v21, v21, v23
	v_cmp_ngt_f32_e64 s[0:1], s51, v19
	v_ashrrev_i32_e32 v23, 31, v22
	v_cndmask_b32_e64 v21, 0, v21, s[0:1]
	v_cmp_nlt_f32_e64 s[0:1], s52, v19
	v_lshlrev_b64 v[46:47], 2, v[22:23]
	v_cndmask_b32_e64 v48, v43, v21, s[0:1]
	v_mov_b32_e32 v19, s35
	v_add_co_u32_e64 v46, s[0:1], s34, v46
	v_addc_co_u32_e64 v47, s[0:1], v19, v47, s[0:1]
	v_ashrrev_i32_e32 v21, 31, v20
	global_store_dword v[46:47], v48, off
	v_subrev_u32_e32 v19, s37, v45
	s_and_b64 s[0:1], s[46:47], s[2:3]
	v_lshlrev_b64 v[46:47], 2, v[20:21]
	v_cndmask_b32_e64 v19, 64, v19, s[0:1]
	s_waitcnt lgkmcnt(0)
	v_mov_b32_e32 v21, s41
	v_add_co_u32_e64 v46, s[0:1], s40, v46
	v_addc_co_u32_e64 v47, s[0:1], v21, v47, s[0:1]
	global_store_dword v[46:47], v19, off
	v_ashrrev_i32_e32 v19, 31, v18
	v_lshlrev_b64 v[46:47], 2, v[18:19]
	v_mov_b32_e32 v19, s43
	v_add_co_u32_e64 v46, s[0:1], s42, v46
	v_addc_co_u32_e64 v47, s[0:1], v19, v47, s[0:1]
	v_add_f32_e32 v26, v26, v48
	global_store_dword v[46:47], v17, off
.LBB173_14:                             ;   in Loop: Header=BB173_12 Depth=1
	s_or_b64 exec, exec, s[4:5]
	v_ashrrev_i32_e32 v21, 31, v45
	v_lshrrev_b32_e32 v19, 28, v21
	v_add_u32_e32 v19, v45, v19
	v_ashrrev_i32_e32 v19, 4, v19
	v_lshrrev_b32_e32 v23, 30, v19
	v_add_u32_e32 v23, v19, v23
	v_and_b32_e32 v23, -4, v23
	v_sub_u32_e32 v23, v19, v23
	v_cmp_eq_u32_e64 s[0:1], v24, v23
	s_and_saveexec_b64 s[48:49], s[0:1]
	s_cbranch_execz .LBB173_11
; %bb.15:                               ;   in Loop: Header=BB173_12 Depth=1
	v_lshrrev_b32_e32 v21, 26, v21
	v_add_u32_e32 v21, v45, v21
	v_lshlrev_b32_e32 v19, 4, v19
	v_sub_u32_e32 v19, v45, v19
	v_ashrrev_i32_e32 v21, 6, v21
	v_lshl_add_u32 v19, v21, 4, v19
	v_cmp_ne_u32_e64 s[0:1], 14, v19
	v_cmp_ne_u32_e64 s[2:3], 13, v19
	v_cmp_ne_u32_e64 s[4:5], 12, v19
	v_cmp_ne_u32_e64 s[6:7], 11, v19
	v_cmp_ne_u32_e64 s[8:9], 10, v19
	v_cmp_ne_u32_e64 s[10:11], 9, v19
	v_cmp_ne_u32_e64 s[12:13], 8, v19
	v_cmp_ne_u32_e64 s[14:15], 7, v19
	v_cmp_ne_u32_e64 s[16:17], 6, v19
	v_cmp_ne_u32_e64 s[18:19], 5, v19
	v_cmp_ne_u32_e64 s[20:21], 4, v19
	v_cmp_ne_u32_e64 s[22:23], 3, v19
	v_cmp_ne_u32_e64 s[24:25], 2, v19
	v_cmp_ne_u32_e64 s[26:27], 1, v19
	v_cmp_ne_u32_e64 s[28:29], 0, v19
	v_cmp_ne_u32_e64 s[30:31], 15, v19
	v_cndmask_b32_e64 v15, v44, v15, s[30:31]
	v_cndmask_b32_e64 v14, v44, v14, s[0:1]
	v_cndmask_b32_e64 v13, v44, v13, s[2:3]
	v_cndmask_b32_e64 v12, v44, v12, s[4:5]
	v_cndmask_b32_e64 v11, v44, v11, s[6:7]
	v_cndmask_b32_e64 v10, v44, v10, s[8:9]
	v_cndmask_b32_e64 v9, v44, v9, s[10:11]
	v_cndmask_b32_e64 v8, v44, v8, s[12:13]
	v_cndmask_b32_e64 v7, v44, v7, s[14:15]
	v_cndmask_b32_e64 v6, v44, v6, s[16:17]
	v_cndmask_b32_e64 v5, v44, v5, s[18:19]
	v_cndmask_b32_e64 v4, v44, v4, s[20:21]
	v_cndmask_b32_e64 v3, v44, v3, s[22:23]
	v_cndmask_b32_e64 v2, v44, v2, s[24:25]
	v_cndmask_b32_e64 v1, v44, v1, s[26:27]
	v_cndmask_b32_e64 v0, v44, v0, s[28:29]
	s_branch .LBB173_11
.LBB173_16:
	v_sub_f32_e32 v0, v0, v25
	s_mov_b32 s2, 0x3fb8aa3b
	v_mul_f32_e32 v17, 0x3fb8aa3b, v0
	v_fma_f32 v18, v0, s2, -v17
	v_rndne_f32_e32 v19, v17
	v_fmac_f32_e32 v18, 0x32a5705f, v0
	v_sub_f32_e32 v17, v17, v19
	v_add_f32_e32 v17, v17, v18
	v_exp_f32_e32 v17, v17
	v_cvt_i32_f32_e32 v18, v19
	v_sub_f32_e32 v1, v1, v25
	s_mov_b32 s4, 0xc2ce8ed0
	s_mov_b32 s3, 0x42b17218
	v_ldexp_f32 v17, v17, v18
	v_mul_f32_e32 v18, 0x3fb8aa3b, v1
	v_fma_f32 v19, v1, s2, -v18
	v_rndne_f32_e32 v20, v18
	v_fmac_f32_e32 v19, 0x32a5705f, v1
	v_sub_f32_e32 v18, v18, v20
	v_add_f32_e32 v18, v18, v19
	v_exp_f32_e32 v18, v18
	v_cvt_i32_f32_e32 v19, v20
	v_cmp_ngt_f32_e32 vcc, s4, v1
	v_cmp_ngt_f32_e64 s[0:1], s4, v0
	v_sub_f32_e32 v2, v2, v25
	v_ldexp_f32 v18, v18, v19
	v_cndmask_b32_e32 v18, 0, v18, vcc
	v_mov_b32_e32 v19, 0x7f800000
	v_cmp_nlt_f32_e32 vcc, s3, v1
	v_cndmask_b32_e64 v1, 0, v17, s[0:1]
	v_cmp_nlt_f32_e64 s[0:1], s3, v0
	v_cndmask_b32_e64 v0, v19, v1, s[0:1]
	v_cndmask_b32_e32 v1, v19, v18, vcc
	v_add_f32_e32 v0, v0, v1
	v_mul_f32_e32 v1, 0x3fb8aa3b, v2
	v_fma_f32 v17, v2, s2, -v1
	v_rndne_f32_e32 v18, v1
	v_fmac_f32_e32 v17, 0x32a5705f, v2
	v_sub_f32_e32 v1, v1, v18
	v_add_f32_e32 v1, v1, v17
	v_exp_f32_e32 v1, v1
	v_cvt_i32_f32_e32 v17, v18
	v_cmp_ngt_f32_e32 vcc, s4, v2
	v_sub_f32_e32 v3, v3, v25
	v_sub_f32_e32 v4, v4, v25
	v_ldexp_f32 v1, v1, v17
	v_cndmask_b32_e32 v1, 0, v1, vcc
	v_cmp_nlt_f32_e32 vcc, s3, v2
	v_cndmask_b32_e32 v1, v19, v1, vcc
	v_add_f32_e32 v0, v0, v1
	v_mul_f32_e32 v1, 0x3fb8aa3b, v3
	v_fma_f32 v2, v3, s2, -v1
	v_rndne_f32_e32 v17, v1
	v_fmac_f32_e32 v2, 0x32a5705f, v3
	v_sub_f32_e32 v1, v1, v17
	v_add_f32_e32 v1, v1, v2
	v_exp_f32_e32 v1, v1
	v_cvt_i32_f32_e32 v2, v17
	v_cmp_ngt_f32_e32 vcc, s4, v3
	v_sub_f32_e32 v5, v5, v25
	v_sub_f32_e32 v6, v6, v25
	v_ldexp_f32 v1, v1, v2
	v_cndmask_b32_e32 v1, 0, v1, vcc
	v_cmp_nlt_f32_e32 vcc, s3, v3
	;; [unrolled: 16-line block ×5, first 2 shown]
	v_cndmask_b32_e32 v1, v19, v1, vcc
	v_add_f32_e32 v0, v0, v1
	v_mul_f32_e32 v1, 0x3fb8aa3b, v7
	v_fma_f32 v2, v7, s2, -v1
	v_rndne_f32_e32 v3, v1
	v_fmac_f32_e32 v2, 0x32a5705f, v7
	v_sub_f32_e32 v1, v1, v3
	v_add_f32_e32 v1, v1, v2
	v_exp_f32_e32 v1, v1
	v_cvt_i32_f32_e32 v2, v3
	v_cmp_ngt_f32_e32 vcc, s4, v7
	v_ldexp_f32 v1, v1, v2
	v_mul_f32_e32 v2, 0x3fb8aa3b, v8
	v_fma_f32 v3, v8, s2, -v2
	v_rndne_f32_e32 v4, v2
	v_fmac_f32_e32 v3, 0x32a5705f, v8
	v_sub_f32_e32 v2, v2, v4
	v_add_f32_e32 v2, v2, v3
	v_exp_f32_e32 v2, v2
	v_cvt_i32_f32_e32 v3, v4
	v_cndmask_b32_e32 v1, 0, v1, vcc
	v_cmp_nlt_f32_e32 vcc, s3, v7
	v_cndmask_b32_e32 v1, v19, v1, vcc
	v_add_f32_e32 v0, v0, v1
	v_ldexp_f32 v1, v2, v3
	v_mul_f32_e32 v2, 0x3fb8aa3b, v9
	v_fma_f32 v3, v9, s2, -v2
	v_rndne_f32_e32 v4, v2
	v_fmac_f32_e32 v3, 0x32a5705f, v9
	v_sub_f32_e32 v2, v2, v4
	v_add_f32_e32 v2, v2, v3
	v_exp_f32_e32 v2, v2
	v_cvt_i32_f32_e32 v3, v4
	v_cmp_ngt_f32_e32 vcc, s4, v8
	v_cndmask_b32_e32 v1, 0, v1, vcc
	v_cmp_nlt_f32_e32 vcc, s3, v8
	v_cndmask_b32_e32 v1, v19, v1, vcc
	v_add_f32_e32 v0, v0, v1
	v_ldexp_f32 v1, v2, v3
	v_mul_f32_e32 v2, 0x3fb8aa3b, v10
	v_fma_f32 v3, v10, s2, -v2
	v_rndne_f32_e32 v4, v2
	v_fmac_f32_e32 v3, 0x32a5705f, v10
	v_sub_f32_e32 v2, v2, v4
	v_add_f32_e32 v2, v2, v3
	v_exp_f32_e32 v2, v2
	v_cvt_i32_f32_e32 v3, v4
	v_cmp_ngt_f32_e32 vcc, s4, v9
	v_cndmask_b32_e32 v1, 0, v1, vcc
	v_cmp_nlt_f32_e32 vcc, s3, v9
	v_cndmask_b32_e32 v1, v19, v1, vcc
	v_add_f32_e32 v0, v0, v1
	v_ldexp_f32 v1, v2, v3
	v_mul_f32_e32 v2, 0x3fb8aa3b, v11
	v_fma_f32 v3, v11, s2, -v2
	v_rndne_f32_e32 v4, v2
	v_fmac_f32_e32 v3, 0x32a5705f, v11
	v_sub_f32_e32 v2, v2, v4
	v_add_f32_e32 v2, v2, v3
	v_exp_f32_e32 v2, v2
	v_cvt_i32_f32_e32 v3, v4
	v_cmp_ngt_f32_e32 vcc, s4, v10
	v_cndmask_b32_e32 v1, 0, v1, vcc
	v_cmp_nlt_f32_e32 vcc, s3, v10
	v_cndmask_b32_e32 v1, v19, v1, vcc
	v_add_f32_e32 v0, v0, v1
	v_ldexp_f32 v1, v2, v3
	v_mul_f32_e32 v2, 0x3fb8aa3b, v12
	v_fma_f32 v3, v12, s2, -v2
	v_rndne_f32_e32 v4, v2
	v_fmac_f32_e32 v3, 0x32a5705f, v12
	v_sub_f32_e32 v2, v2, v4
	v_add_f32_e32 v2, v2, v3
	v_exp_f32_e32 v2, v2
	v_cvt_i32_f32_e32 v3, v4
	v_cmp_ngt_f32_e32 vcc, s4, v11
	v_cndmask_b32_e32 v1, 0, v1, vcc
	v_cmp_nlt_f32_e32 vcc, s3, v11
	v_cndmask_b32_e32 v1, v19, v1, vcc
	v_add_f32_e32 v0, v0, v1
	v_ldexp_f32 v1, v2, v3
	v_sub_f32_e32 v2, v13, v25
	v_mul_f32_e32 v3, 0x3fb8aa3b, v2
	v_fma_f32 v4, v2, s2, -v3
	v_rndne_f32_e32 v5, v3
	v_fmac_f32_e32 v4, 0x32a5705f, v2
	v_sub_f32_e32 v3, v3, v5
	v_add_f32_e32 v3, v3, v4
	v_exp_f32_e32 v3, v3
	v_cvt_i32_f32_e32 v4, v5
	v_cmp_ngt_f32_e32 vcc, s4, v12
	v_cndmask_b32_e32 v1, 0, v1, vcc
	v_cmp_nlt_f32_e32 vcc, s3, v12
	v_cndmask_b32_e32 v1, v19, v1, vcc
	v_add_f32_e32 v0, v0, v1
	v_ldexp_f32 v1, v3, v4
	v_sub_f32_e32 v3, v14, v25
	v_mul_f32_e32 v4, 0x3fb8aa3b, v3
	v_fma_f32 v5, v3, s2, -v4
	v_rndne_f32_e32 v6, v4
	v_fmac_f32_e32 v5, 0x32a5705f, v3
	v_sub_f32_e32 v4, v4, v6
	v_add_f32_e32 v4, v4, v5
	v_exp_f32_e32 v4, v4
	v_cvt_i32_f32_e32 v5, v6
	v_cmp_ngt_f32_e32 vcc, s4, v2
	v_cndmask_b32_e32 v1, 0, v1, vcc
	v_cmp_nlt_f32_e32 vcc, s3, v2
	v_cndmask_b32_e32 v1, v19, v1, vcc
	v_sub_f32_e32 v2, v15, v25
	v_add_f32_e32 v0, v0, v1
	v_ldexp_f32 v1, v4, v5
	v_mul_f32_e32 v4, 0x3fb8aa3b, v2
	v_fma_f32 v5, v2, s2, -v4
	v_rndne_f32_e32 v6, v4
	v_fmac_f32_e32 v5, 0x32a5705f, v2
	v_sub_f32_e32 v4, v4, v6
	v_add_f32_e32 v4, v4, v5
	v_exp_f32_e32 v4, v4
	v_cvt_i32_f32_e32 v5, v6
	v_cmp_ngt_f32_e32 vcc, s4, v3
	v_cndmask_b32_e32 v1, 0, v1, vcc
	v_cmp_nlt_f32_e32 vcc, s3, v3
	v_cndmask_b32_e32 v1, v19, v1, vcc
	v_add_f32_e32 v0, v0, v1
	v_ldexp_f32 v1, v4, v5
	v_cmp_ngt_f32_e32 vcc, s4, v2
	v_cndmask_b32_e32 v1, 0, v1, vcc
	v_cmp_nlt_f32_e32 vcc, s3, v2
	v_cndmask_b32_e32 v1, v19, v1, vcc
	v_add_f32_e32 v0, v0, v1
	v_cmp_eq_u32_e32 vcc, 0, v24
	s_nop 0
	v_mov_b32_dpp v1, v0 quad_perm:[1,0,3,2] row_mask:0xf bank_mask:0xf
	v_add_f32_e32 v0, v0, v1
	s_nop 1
	v_mov_b32_dpp v1, v0 quad_perm:[2,3,0,1] row_mask:0xf bank_mask:0xf
	s_and_b64 exec, exec, vcc
	s_cbranch_execz .LBB173_29
; %bb.17:
	v_add_f32_e32 v0, v0, v1
	v_add_f32_e32 v0, v26, v0
	v_cmp_neq_f32_e32 vcc, 0, v0
	s_and_b64 exec, exec, vcc
	s_cbranch_execz .LBB173_29
; %bb.18:
	s_andn2_b64 vcc, exec, s[44:45]
	s_cbranch_vccnz .LBB173_29
; %bb.19:
	v_div_scale_f32 v1, s[0:1], v0, v0, 1.0
	v_rcp_f32_e32 v2, v1
	v_div_scale_f32 v3, vcc, 1.0, v0, 1.0
	s_cmp_gt_u32 s36, 3
	v_fma_f32 v4, -v1, v2, 1.0
	v_fmac_f32_e32 v2, v4, v2
	v_mul_f32_e32 v4, v3, v2
	v_fma_f32 v5, -v1, v4, v3
	v_fmac_f32_e32 v4, v5, v2
	v_fma_f32 v1, -v1, v4, v3
	v_div_fmas_f32 v1, v1, v2, v4
	v_div_fixup_f32 v0, v1, v0, 1.0
	v_ashrrev_i32_e32 v17, 31, v16
	s_cbranch_scc0 .LBB173_23
; %bb.20:
	v_lshlrev_b64 v[2:3], 2, v[16:17]
	v_mov_b32_e32 v4, s35
	v_add_co_u32_e32 v2, vcc, s34, v2
	v_addc_co_u32_e32 v3, vcc, v3, v4, vcc
	s_and_b32 s4, s36, 0x7ffffffc
	v_add_co_u32_e32 v2, vcc, 8, v2
	v_mov_b32_e32 v1, v0
	v_addc_co_u32_e32 v3, vcc, 0, v3, vcc
	s_mov_b32 s0, s4
.LBB173_21:                             ; =>This Inner Loop Header: Depth=1
	global_load_dwordx4 v[4:7], v[2:3], off offset:-8
	s_add_i32 s0, s0, -4
	s_cmp_lg_u32 s0, 0
	s_waitcnt vmcnt(0)
	v_pk_mul_f32 v[4:5], v[0:1], v[4:5]
	v_pk_mul_f32 v[6:7], v[0:1], v[6:7]
	global_store_dwordx4 v[2:3], v[4:7], off offset:-8
	v_add_co_u32_e32 v2, vcc, 16, v2
	v_addc_co_u32_e32 v3, vcc, 0, v3, vcc
	s_cbranch_scc1 .LBB173_21
; %bb.22:
	s_cmp_lg_u32 s4, s36
	s_mov_b64 s[2:3], 0
	s_cselect_b64 s[0:1], -1, 0
	s_branch .LBB173_24
.LBB173_23:
	s_mov_b64 s[2:3], -1
	s_mov_b64 s[0:1], 0
                                        ; implicit-def: $sgpr4
.LBB173_24:
	s_and_b64 vcc, exec, s[2:3]
	s_cbranch_vccz .LBB173_26
; %bb.25:
	s_mov_b64 s[0:1], -1
	s_mov_b32 s4, 0
.LBB173_26:
	s_andn2_b64 vcc, exec, s[0:1]
	s_cbranch_vccnz .LBB173_29
; %bb.27:
	v_add_co_u32_e32 v2, vcc, s4, v16
	v_addc_co_u32_e32 v3, vcc, 0, v17, vcc
	v_lshlrev_b64 v[2:3], 2, v[2:3]
	v_mov_b32_e32 v1, s35
	v_add_co_u32_e32 v2, vcc, s34, v2
	s_sub_i32 s0, s36, s4
	v_addc_co_u32_e32 v3, vcc, v1, v3, vcc
.LBB173_28:                             ; =>This Inner Loop Header: Depth=1
	global_load_dword v1, v[2:3], off
	s_add_i32 s0, s0, -1
	s_cmp_lg_u32 s0, 0
	s_waitcnt vmcnt(0)
	v_mul_f32_e32 v1, v0, v1
	global_store_dword v[2:3], v1, off
	v_add_co_u32_e32 v2, vcc, 4, v2
	v_addc_co_u32_e32 v3, vcc, 0, v3, vcc
	s_cbranch_scc1 .LBB173_28
.LBB173_29:
	s_endpgm
	.section	.rodata,"a",@progbits
	.p2align	6, 0x0
	.amdhsa_kernel _ZN4vllm3moe17topkGatingSoftmaxIDF16_Li16ELi64ELi8ELi32ELb0ELi4ELNS0_23SharedExpertScoringFuncE1EEEvPKT_PKbPfiPiS9_iiiiii
		.amdhsa_group_segment_fixed_size 0
		.amdhsa_private_segment_fixed_size 0
		.amdhsa_kernarg_size 72
		.amdhsa_user_sgpr_count 6
		.amdhsa_user_sgpr_private_segment_buffer 1
		.amdhsa_user_sgpr_dispatch_ptr 0
		.amdhsa_user_sgpr_queue_ptr 0
		.amdhsa_user_sgpr_kernarg_segment_ptr 1
		.amdhsa_user_sgpr_dispatch_id 0
		.amdhsa_user_sgpr_flat_scratch_init 0
		.amdhsa_user_sgpr_kernarg_preload_length 0
		.amdhsa_user_sgpr_kernarg_preload_offset 0
		.amdhsa_user_sgpr_private_segment_size 0
		.amdhsa_uses_dynamic_stack 0
		.amdhsa_system_sgpr_private_segment_wavefront_offset 0
		.amdhsa_system_sgpr_workgroup_id_x 1
		.amdhsa_system_sgpr_workgroup_id_y 0
		.amdhsa_system_sgpr_workgroup_id_z 0
		.amdhsa_system_sgpr_workgroup_info 0
		.amdhsa_system_vgpr_workitem_id 1
		.amdhsa_next_free_vgpr 49
		.amdhsa_next_free_sgpr 53
		.amdhsa_accum_offset 52
		.amdhsa_reserve_vcc 1
		.amdhsa_reserve_flat_scratch 0
		.amdhsa_float_round_mode_32 0
		.amdhsa_float_round_mode_16_64 0
		.amdhsa_float_denorm_mode_32 3
		.amdhsa_float_denorm_mode_16_64 3
		.amdhsa_dx10_clamp 1
		.amdhsa_ieee_mode 1
		.amdhsa_fp16_overflow 0
		.amdhsa_tg_split 0
		.amdhsa_exception_fp_ieee_invalid_op 0
		.amdhsa_exception_fp_denorm_src 0
		.amdhsa_exception_fp_ieee_div_zero 0
		.amdhsa_exception_fp_ieee_overflow 0
		.amdhsa_exception_fp_ieee_underflow 0
		.amdhsa_exception_fp_ieee_inexact 0
		.amdhsa_exception_int_div_zero 0
	.end_amdhsa_kernel
	.section	.text._ZN4vllm3moe17topkGatingSoftmaxIDF16_Li16ELi64ELi8ELi32ELb0ELi4ELNS0_23SharedExpertScoringFuncE1EEEvPKT_PKbPfiPiS9_iiiiii,"axG",@progbits,_ZN4vllm3moe17topkGatingSoftmaxIDF16_Li16ELi64ELi8ELi32ELb0ELi4ELNS0_23SharedExpertScoringFuncE1EEEvPKT_PKbPfiPiS9_iiiiii,comdat
.Lfunc_end173:
	.size	_ZN4vllm3moe17topkGatingSoftmaxIDF16_Li16ELi64ELi8ELi32ELb0ELi4ELNS0_23SharedExpertScoringFuncE1EEEvPKT_PKbPfiPiS9_iiiiii, .Lfunc_end173-_ZN4vllm3moe17topkGatingSoftmaxIDF16_Li16ELi64ELi8ELi32ELb0ELi4ELNS0_23SharedExpertScoringFuncE1EEEvPKT_PKbPfiPiS9_iiiiii
                                        ; -- End function
	.section	.AMDGPU.csdata,"",@progbits
; Kernel info:
; codeLenInByte = 4512
; NumSgprs: 57
; NumVgprs: 49
; NumAgprs: 0
; TotalNumVgprs: 49
; ScratchSize: 0
; MemoryBound: 0
; FloatMode: 240
; IeeeMode: 1
; LDSByteSize: 0 bytes/workgroup (compile time only)
; SGPRBlocks: 7
; VGPRBlocks: 6
; NumSGPRsForWavesPerEU: 57
; NumVGPRsForWavesPerEU: 49
; AccumOffset: 52
; Occupancy: 8
; WaveLimiterHint : 0
; COMPUTE_PGM_RSRC2:SCRATCH_EN: 0
; COMPUTE_PGM_RSRC2:USER_SGPR: 6
; COMPUTE_PGM_RSRC2:TRAP_HANDLER: 0
; COMPUTE_PGM_RSRC2:TGID_X_EN: 1
; COMPUTE_PGM_RSRC2:TGID_Y_EN: 0
; COMPUTE_PGM_RSRC2:TGID_Z_EN: 0
; COMPUTE_PGM_RSRC2:TIDIG_COMP_CNT: 1
; COMPUTE_PGM_RSRC3_GFX90A:ACCUM_OFFSET: 12
; COMPUTE_PGM_RSRC3_GFX90A:TG_SPLIT: 0
	.section	.text._ZN4vllm3moe17topkGatingSoftmaxIDF16_Li16ELi64ELi8ELi32ELb1ELi8ELNS0_23SharedExpertScoringFuncE1EEEvPKT_PKbPfiPiS9_iiiiii,"axG",@progbits,_ZN4vllm3moe17topkGatingSoftmaxIDF16_Li16ELi64ELi8ELi32ELb1ELi8ELNS0_23SharedExpertScoringFuncE1EEEvPKT_PKbPfiPiS9_iiiiii,comdat
	.protected	_ZN4vllm3moe17topkGatingSoftmaxIDF16_Li16ELi64ELi8ELi32ELb1ELi8ELNS0_23SharedExpertScoringFuncE1EEEvPKT_PKbPfiPiS9_iiiiii ; -- Begin function _ZN4vllm3moe17topkGatingSoftmaxIDF16_Li16ELi64ELi8ELi32ELb1ELi8ELNS0_23SharedExpertScoringFuncE1EEEvPKT_PKbPfiPiS9_iiiiii
	.globl	_ZN4vllm3moe17topkGatingSoftmaxIDF16_Li16ELi64ELi8ELi32ELb1ELi8ELNS0_23SharedExpertScoringFuncE1EEEvPKT_PKbPfiPiS9_iiiiii
	.p2align	8
	.type	_ZN4vllm3moe17topkGatingSoftmaxIDF16_Li16ELi64ELi8ELi32ELb1ELi8ELNS0_23SharedExpertScoringFuncE1EEEvPKT_PKbPfiPiS9_iiiiii,@function
_ZN4vllm3moe17topkGatingSoftmaxIDF16_Li16ELi64ELi8ELi32ELb1ELi8ELNS0_23SharedExpertScoringFuncE1EEEvPKT_PKbPfiPiS9_iiiiii: ; @_ZN4vllm3moe17topkGatingSoftmaxIDF16_Li16ELi64ELi8ELi32ELb1ELi8ELNS0_23SharedExpertScoringFuncE1EEEvPKT_PKbPfiPiS9_iiiiii
; %bb.0:
	s_load_dword s33, s[4:5], 0x18
	v_bfe_u32 v1, v0, 10, 10
	v_and_b32_e32 v0, 0x3ff, v0
	s_lshl_b32 s50, s6, 7
	v_lshlrev_b32_e32 v22, 4, v1
	v_lshrrev_b32_e32 v23, 2, v0
	v_add3_u32 v43, s50, v22, v23
	s_waitcnt lgkmcnt(0)
	v_cmp_gt_i32_e32 vcc, s33, v43
	s_and_saveexec_b64 s[0:1], vcc
	s_cbranch_execz .LBB174_30
; %bb.1:
	s_load_dwordx4 s[0:3], s[4:5], 0x0
	s_load_dwordx2 s[34:35], s[4:5], 0x10
	s_mov_b64 s[6:7], 0
	s_waitcnt lgkmcnt(0)
	s_cmp_eq_u64 s[2:3], 0
	s_cbranch_scc1 .LBB174_3
; %bb.2:
	v_ashrrev_i32_e32 v1, 31, v43
	v_mov_b32_e32 v3, s3
	v_add_co_u32_e32 v2, vcc, s2, v43
	v_addc_co_u32_e32 v3, vcc, v3, v1, vcc
	global_load_ubyte v1, v[2:3], off
	s_waitcnt vmcnt(0)
	v_and_b32_e32 v1, 1, v1
	v_cmp_eq_u32_e32 vcc, 1, v1
	s_xor_b64 s[2:3], vcc, -1
	s_orn2_b64 s[44:45], s[2:3], exec
	s_branch .LBB174_4
.LBB174_3:
	s_mov_b64 s[44:45], -1
.LBB174_4:
	s_load_dwordx2 s[8:9], s[4:5], 0x40
	s_load_dwordx4 s[36:39], s[4:5], 0x30
	v_mov_b32_e32 v1, s1
	v_and_b32_e32 v24, 3, v0
	v_lshlrev_b32_e32 v0, 5, v24
	s_waitcnt lgkmcnt(0)
	v_mul_lo_u32 v2, v43, s9
	v_ashrrev_i32_e32 v3, 31, v2
	v_lshlrev_b64 v[8:9], 1, v[2:3]
	v_add_co_u32_e32 v2, vcc, s0, v8
	v_addc_co_u32_e32 v1, vcc, v1, v9, vcc
	v_add_co_u32_e32 v0, vcc, v2, v0
	v_addc_co_u32_e32 v1, vcc, 0, v1, vcc
	global_load_dwordx4 v[12:15], v[0:1], off offset:16
	global_load_dwordx4 v[4:7], v[0:1], off
	v_lshlrev_b32_e32 v0, 1, v24
	v_add_co_u32_e32 v0, vcc, v8, v0
	v_addc_co_u32_e32 v1, vcc, 0, v9, vcc
	v_mov_b32_e32 v3, s1
	v_add_co_u32_e32 v0, vcc, s0, v0
	v_addc_co_u32_e32 v1, vcc, v1, v3, vcc
	s_movk_i32 s0, 0x80
	v_mul_lo_u32 v16, v43, s39
	v_add_co_u32_e32 v0, vcc, s0, v0
	v_lshlrev_b32_e32 v25, 4, v24
	v_add_u32_e32 v2, s36, v16
	v_addc_co_u32_e32 v1, vcc, 0, v1, vcc
	s_mov_b32 s0, 0x3fb8aa3b
	s_mov_b32 s1, 0x32a5705f
	;; [unrolled: 1-line block ×4, first 2 shown]
	v_mov_b32_e32 v3, 0x7f800000
	v_mov_b32_e32 v8, s35
	;; [unrolled: 1-line block ×3, first 2 shown]
.LBB174_5:                              ; =>This Inner Loop Header: Depth=1
	global_load_ushort v17, v[0:1], off
	v_add_co_u32_e32 v0, vcc, 8, v0
	v_add_u32_e32 v18, 4, v9
	v_addc_co_u32_e32 v1, vcc, 0, v1, vcc
	v_add_u32_e32 v10, v2, v9
	v_cmp_lt_u32_e32 vcc, 3, v9
	v_mov_b32_e32 v9, v18
	v_ashrrev_i32_e32 v11, 31, v10
	v_lshlrev_b64 v[10:11], 2, v[10:11]
	s_or_b64 s[6:7], vcc, s[6:7]
	v_add_co_u32_e32 v10, vcc, s34, v10
	v_addc_co_u32_e32 v11, vcc, v8, v11, vcc
	s_waitcnt vmcnt(0)
	v_cvt_f32_f16_e64 v18, -v17
	v_mul_f32_e32 v19, 0x3fb8aa3b, v18
	v_rndne_f32_e32 v20, v19
	v_fma_mix_f32 v21, -v17, s0, -v19 op_sel_hi:[1,0,0]
	v_sub_f32_e32 v19, v19, v20
	v_fma_mix_f32 v17, -v17, s1, v21 op_sel_hi:[1,0,0]
	v_add_f32_e32 v17, v19, v17
	v_cvt_i32_f32_e32 v20, v20
	v_exp_f32_e32 v17, v17
	v_cmp_ngt_f32_e32 vcc, s2, v18
	v_ldexp_f32 v17, v17, v20
	v_cndmask_b32_e32 v17, 0, v17, vcc
	v_cmp_nlt_f32_e32 vcc, s3, v18
	v_cndmask_b32_e32 v17, v3, v17, vcc
	v_add_f32_e32 v17, 1.0, v17
	v_div_scale_f32 v18, s[10:11], v17, v17, 1.0
	v_rcp_f32_e32 v19, v18
	v_div_scale_f32 v20, vcc, 1.0, v17, 1.0
	v_fma_f32 v21, -v18, v19, 1.0
	v_fmac_f32_e32 v19, v21, v19
	v_mul_f32_e32 v21, v20, v19
	v_fma_f32 v26, -v18, v21, v20
	v_fmac_f32_e32 v21, v26, v19
	v_fma_f32 v18, -v18, v21, v20
	v_div_fmas_f32 v18, v18, v19, v21
	v_div_fixup_f32 v17, v18, v17, 1.0
	global_store_dword v[10:11], v17, off
	s_andn2_b64 exec, exec, s[6:7]
	s_cbranch_execnz .LBB174_5
; %bb.6:
	s_or_b64 exec, exec, s[6:7]
	v_cvt_f32_f16_e32 v0, v4
	v_cvt_f32_f16_sdwa v1, v4 dst_sel:DWORD dst_unused:UNUSED_PAD src0_sel:WORD_1
	v_cvt_f32_f16_e32 v2, v5
	v_cmp_lt_f16_sdwa vcc, v4, v4 src0_sel:DWORD src1_sel:WORD_1
	v_or_b32_e32 v26, 1, v25
	v_cndmask_b32_e32 v4, v0, v1, vcc
	v_cndmask_b32_e32 v3, v25, v26, vcc
	v_or_b32_e32 v27, 2, v25
	v_cmp_lt_f32_e32 vcc, v4, v2
	v_cndmask_b32_e32 v8, v3, v27, vcc
	v_cvt_f32_f16_sdwa v3, v5 dst_sel:DWORD dst_unused:UNUSED_PAD src0_sel:WORD_1
	v_cndmask_b32_e32 v4, v4, v2, vcc
	v_or_b32_e32 v28, 3, v25
	v_or_b32_e32 v29, 4, v25
	v_cmp_lt_f32_e32 vcc, v4, v3
	v_cndmask_b32_e32 v5, v8, v28, vcc
	v_cndmask_b32_e32 v8, v4, v3, vcc
	v_cvt_f32_f16_e32 v4, v6
	v_or_b32_e32 v30, 5, v25
	v_or_b32_e32 v31, 6, v25
	;; [unrolled: 1-line block ×3, first 2 shown]
	v_cmp_lt_f32_e32 vcc, v8, v4
	v_cndmask_b32_e32 v9, v5, v29, vcc
	v_cvt_f32_f16_sdwa v5, v6 dst_sel:DWORD dst_unused:UNUSED_PAD src0_sel:WORD_1
	v_cvt_f32_f16_e32 v6, v7
	v_cndmask_b32_e32 v8, v8, v4, vcc
	v_cvt_f32_f16_sdwa v7, v7 dst_sel:DWORD dst_unused:UNUSED_PAD src0_sel:WORD_1
	v_cmp_lt_f32_e32 vcc, v8, v5
	v_cndmask_b32_e32 v8, v8, v5, vcc
	v_cndmask_b32_e32 v9, v9, v30, vcc
	v_cmp_lt_f32_e32 vcc, v8, v6
	v_cndmask_b32_e32 v8, v8, v6, vcc
	v_cndmask_b32_e32 v9, v9, v31, vcc
	v_cmp_lt_f32_e32 vcc, v8, v7
	v_cndmask_b32_e32 v10, v8, v7, vcc
	v_cvt_f32_f16_e32 v8, v12
	v_cndmask_b32_e32 v9, v9, v32, vcc
	v_or_b32_e32 v33, 8, v25
	v_or_b32_e32 v34, 9, v25
	v_cmp_lt_f32_e32 vcc, v10, v8
	v_cndmask_b32_e32 v11, v9, v33, vcc
	v_cvt_f32_f16_sdwa v9, v12 dst_sel:DWORD dst_unused:UNUSED_PAD src0_sel:WORD_1
	v_cndmask_b32_e32 v10, v10, v8, vcc
	v_or_b32_e32 v35, 10, v25
	v_or_b32_e32 v36, 11, v25
	v_cmp_lt_f32_e32 vcc, v10, v9
	v_cndmask_b32_e32 v12, v10, v9, vcc
	v_cvt_f32_f16_e32 v10, v13
	v_cndmask_b32_e32 v11, v11, v34, vcc
	v_or_b32_e32 v37, 12, v25
	v_or_b32_e32 v38, 13, v25
	v_cmp_lt_f32_e32 vcc, v12, v10
	v_cndmask_b32_e32 v17, v11, v35, vcc
	v_cvt_f32_f16_sdwa v11, v13 dst_sel:DWORD dst_unused:UNUSED_PAD src0_sel:WORD_1
	v_cndmask_b32_e32 v12, v12, v10, vcc
	v_or_b32_e32 v39, 14, v25
	v_or_b32_e32 v40, 15, v25
	v_cmp_lt_f32_e32 vcc, v12, v11
	v_cndmask_b32_e32 v13, v17, v36, vcc
	v_cndmask_b32_e32 v17, v12, v11, vcc
	v_cvt_f32_f16_e32 v12, v14
	v_cmp_lt_f32_e32 vcc, v17, v12
	v_cndmask_b32_e32 v18, v13, v37, vcc
	v_cvt_f32_f16_sdwa v13, v14 dst_sel:DWORD dst_unused:UNUSED_PAD src0_sel:WORD_1
	v_cvt_f32_f16_e32 v14, v15
	v_cndmask_b32_e32 v17, v17, v12, vcc
	v_cvt_f32_f16_sdwa v15, v15 dst_sel:DWORD dst_unused:UNUSED_PAD src0_sel:WORD_1
	v_cmp_lt_f32_e32 vcc, v17, v13
	v_cndmask_b32_e32 v17, v17, v13, vcc
	v_cndmask_b32_e32 v18, v18, v38, vcc
	v_cmp_lt_f32_e32 vcc, v17, v14
	v_cndmask_b32_e32 v17, v17, v14, vcc
	v_cndmask_b32_e32 v18, v18, v39, vcc
	;; [unrolled: 3-line block ×3, first 2 shown]
	s_nop 0
	v_mov_b32_dpp v20, v18 quad_perm:[1,0,3,2] row_mask:0xf bank_mask:0xf
	v_mov_b32_dpp v19, v17 quad_perm:[1,0,3,2] row_mask:0xf bank_mask:0xf
	v_cmp_eq_f32_e64 s[0:1], v17, v19
	v_cmp_lt_i32_e64 s[2:3], v20, v18
	v_cmp_lt_f32_e32 vcc, v17, v19
	s_and_b64 s[0:1], s[0:1], s[2:3]
	s_or_b64 vcc, vcc, s[0:1]
	s_cmp_gt_i32 s36, 0
	v_cndmask_b32_e32 v17, v17, v19, vcc
	v_cndmask_b32_e32 v18, v18, v20, vcc
	s_cselect_b64 s[46:47], -1, 0
	s_and_b64 vcc, exec, s[46:47]
	v_cmp_eq_u32_e64 s[0:1], 0, v24
	v_mov_b32_dpp v20, v18 quad_perm:[2,3,0,1] row_mask:0xf bank_mask:0xf
	v_mov_b32_dpp v19, v17 quad_perm:[2,3,0,1] row_mask:0xf bank_mask:0xf
	s_cbranch_vccz .LBB174_18
; %bb.7:
	s_load_dwordx4 s[40:43], s[4:5], 0x20
	v_cmp_eq_f32_e64 s[2:3], v17, v19
	v_cmp_lt_i32_e64 s[6:7], v20, v18
	v_cmp_lt_f32_e32 vcc, v17, v19
	s_and_b64 s[2:3], s[2:3], s[6:7]
	s_or_b64 vcc, vcc, s[2:3]
	v_cndmask_b32_e32 v44, v18, v20, vcc
	v_cndmask_b32_e32 v42, v17, v19, vcc
	v_mul_lo_u32 v20, v43, s8
	v_mul_lo_u32 v18, v43, s36
	v_mov_b32_e32 v41, 0
	s_and_saveexec_b64 s[4:5], s[0:1]
	s_cbranch_execz .LBB174_9
; %bb.8:
	v_sub_f32_e32 v17, v42, v42
	v_mul_f32_e32 v19, 0x3fb8aa3b, v17
	s_mov_b32 s2, 0x3fb8aa3b
	v_rndne_f32_e32 v21, v19
	v_sub_f32_e32 v41, v19, v21
	v_fma_f32 v19, v17, s2, -v19
	v_fmac_f32_e32 v19, 0x32a5705f, v17
	v_add_f32_e32 v19, v41, v19
	v_exp_f32_e32 v19, v19
	v_cvt_i32_f32_e32 v21, v21
	v_cmp_le_i32_e32 vcc, s37, v44
	v_cmp_gt_i32_e64 s[2:3], s38, v44
	s_mov_b32 s6, 0xc2ce8ed0
	s_and_b64 s[2:3], vcc, s[2:3]
	v_ldexp_f32 v19, v19, v21
	v_cmp_ngt_f32_e32 vcc, s6, v17
	s_mov_b32 s6, 0x42b17218
	v_cndmask_b32_e32 v19, 0, v19, vcc
	v_cmp_nlt_f32_e32 vcc, s6, v17
	v_ashrrev_i32_e32 v17, 31, v16
	v_mov_b32_e32 v21, 0x7f800000
	v_lshlrev_b64 v[46:47], 2, v[16:17]
	v_cndmask_b32_e32 v41, v21, v19, vcc
	v_mov_b32_e32 v17, s35
	v_add_co_u32_e32 v46, vcc, s34, v46
	v_addc_co_u32_e32 v47, vcc, v17, v47, vcc
	v_ashrrev_i32_e32 v21, 31, v20
	global_store_dword v[46:47], v41, off
	v_subrev_u32_e32 v17, s37, v44
	s_and_b64 vcc, s[44:45], s[2:3]
	v_lshlrev_b64 v[46:47], 2, v[20:21]
	v_cndmask_b32_e32 v17, 64, v17, vcc
	s_waitcnt lgkmcnt(0)
	v_mov_b32_e32 v19, s41
	v_add_co_u32_e32 v46, vcc, s40, v46
	v_addc_co_u32_e32 v47, vcc, v19, v47, vcc
	v_ashrrev_i32_e32 v19, 31, v18
	global_store_dword v[46:47], v17, off
	v_lshlrev_b64 v[46:47], 2, v[18:19]
	v_mov_b32_e32 v17, s43
	v_add_co_u32_e32 v46, vcc, s42, v46
	v_addc_co_u32_e32 v47, vcc, v17, v47, vcc
	global_store_dword v[46:47], v43, off
.LBB174_9:
	s_or_b64 exec, exec, s[4:5]
	v_ashrrev_i32_e32 v19, 31, v44
	v_lshrrev_b32_e32 v17, 28, v19
	v_add_u32_e32 v17, v44, v17
	v_ashrrev_i32_e32 v17, 4, v17
	v_lshrrev_b32_e32 v21, 30, v17
	v_add_u32_e32 v21, v17, v21
	v_and_b32_e32 v21, -4, v21
	v_sub_u32_e32 v21, v17, v21
	v_cmp_eq_u32_e32 vcc, v24, v21
	s_and_saveexec_b64 s[48:49], vcc
	s_cbranch_execz .LBB174_11
; %bb.10:
	v_lshrrev_b32_e32 v19, 26, v19
	v_add_u32_e32 v19, v44, v19
	v_lshlrev_b32_e32 v17, 4, v17
	v_sub_u32_e32 v17, v44, v17
	v_ashrrev_i32_e32 v19, 6, v19
	v_lshl_add_u32 v17, v19, 4, v17
	v_mov_b32_e32 v19, 0xff800000
	v_cmp_ne_u32_e32 vcc, 14, v17
	v_cmp_ne_u32_e64 s[2:3], 13, v17
	v_cmp_ne_u32_e64 s[4:5], 12, v17
	;; [unrolled: 1-line block ×15, first 2 shown]
	v_cndmask_b32_e64 v15, v19, v15, s[30:31]
	v_cndmask_b32_e32 v14, v19, v14, vcc
	v_cndmask_b32_e64 v13, v19, v13, s[2:3]
	v_cndmask_b32_e64 v12, v19, v12, s[4:5]
	;; [unrolled: 1-line block ×14, first 2 shown]
.LBB174_11:
	s_or_b64 exec, exec, s[48:49]
	s_cmp_eq_u32 s36, 1
	s_cbranch_scc1 .LBB174_19
; %bb.12:
	s_add_i32 s50, s50, s33
	s_add_i32 s39, s36, -1
	v_add3_u32 v17, s50, v23, v22
	v_add_u32_e32 v18, 1, v18
	v_add_u32_e32 v20, 1, v20
	;; [unrolled: 1-line block ×3, first 2 shown]
	s_mov_b32 s50, 0x3fb8aa3b
	s_mov_b32 s51, 0xc2ce8ed0
	;; [unrolled: 1-line block ×3, first 2 shown]
	v_mov_b32_e32 v43, 0x7f800000
	v_mov_b32_e32 v44, 0xff800000
	s_branch .LBB174_14
.LBB174_13:                             ;   in Loop: Header=BB174_14 Depth=1
	s_or_b64 exec, exec, s[48:49]
	s_add_i32 s39, s39, -1
	v_add_u32_e32 v17, s33, v17
	v_add_u32_e32 v18, 1, v18
	;; [unrolled: 1-line block ×3, first 2 shown]
	s_cmp_eq_u32 s39, 0
	v_add_u32_e32 v22, 1, v22
	s_cbranch_scc1 .LBB174_19
.LBB174_14:                             ; =>This Inner Loop Header: Depth=1
	v_cmp_gt_f32_e32 vcc, v1, v0
	v_cndmask_b32_e32 v21, v0, v1, vcc
	v_cndmask_b32_e32 v19, v25, v26, vcc
	v_cmp_gt_f32_e32 vcc, v2, v21
	v_cndmask_b32_e32 v21, v21, v2, vcc
	v_cndmask_b32_e32 v19, v19, v27, vcc
	;; [unrolled: 3-line block ×15, first 2 shown]
	s_nop 0
	v_mov_b32_dpp v45, v23 quad_perm:[1,0,3,2] row_mask:0xf bank_mask:0xf
	v_mov_b32_dpp v21, v19 quad_perm:[1,0,3,2] row_mask:0xf bank_mask:0xf
	v_cmp_eq_f32_e64 s[2:3], v19, v21
	v_cmp_lt_i32_e64 s[4:5], v45, v23
	v_cmp_lt_f32_e32 vcc, v19, v21
	s_and_b64 s[2:3], s[2:3], s[4:5]
	s_or_b64 vcc, vcc, s[2:3]
	v_cndmask_b32_e32 v19, v19, v21, vcc
	v_cndmask_b32_e32 v23, v23, v45, vcc
	s_nop 0
	v_mov_b32_dpp v21, v19 quad_perm:[2,3,0,1] row_mask:0xf bank_mask:0xf
	v_mov_b32_dpp v45, v23 quad_perm:[2,3,0,1] row_mask:0xf bank_mask:0xf
	v_cmp_eq_f32_e64 s[2:3], v19, v21
	v_cmp_lt_i32_e64 s[4:5], v45, v23
	v_cmp_lt_f32_e32 vcc, v19, v21
	s_and_b64 s[2:3], s[2:3], s[4:5]
	s_or_b64 vcc, vcc, s[2:3]
	v_cndmask_b32_e32 v45, v23, v45, vcc
	s_and_saveexec_b64 s[4:5], s[0:1]
	s_cbranch_execz .LBB174_16
; %bb.15:                               ;   in Loop: Header=BB174_14 Depth=1
	v_cndmask_b32_e32 v19, v19, v21, vcc
	v_sub_f32_e32 v19, v19, v42
	v_mul_f32_e32 v21, 0x3fb8aa3b, v19
	v_fma_f32 v23, v19, s50, -v21
	v_rndne_f32_e32 v46, v21
	v_fmac_f32_e32 v23, 0x32a5705f, v19
	v_sub_f32_e32 v21, v21, v46
	v_add_f32_e32 v21, v21, v23
	v_exp_f32_e32 v21, v21
	v_cvt_i32_f32_e32 v23, v46
	v_cmp_le_i32_e32 vcc, s37, v45
	v_cmp_gt_i32_e64 s[2:3], s38, v45
	s_and_b64 s[2:3], vcc, s[2:3]
	v_ldexp_f32 v21, v21, v23
	v_cmp_ngt_f32_e32 vcc, s51, v19
	v_ashrrev_i32_e32 v23, 31, v22
	v_cndmask_b32_e32 v21, 0, v21, vcc
	v_cmp_nlt_f32_e32 vcc, s52, v19
	v_lshlrev_b64 v[46:47], 2, v[22:23]
	v_cndmask_b32_e32 v48, v43, v21, vcc
	v_mov_b32_e32 v19, s35
	v_add_co_u32_e32 v46, vcc, s34, v46
	v_addc_co_u32_e32 v47, vcc, v19, v47, vcc
	v_ashrrev_i32_e32 v21, 31, v20
	global_store_dword v[46:47], v48, off
	v_subrev_u32_e32 v19, s37, v45
	s_and_b64 vcc, s[44:45], s[2:3]
	v_lshlrev_b64 v[46:47], 2, v[20:21]
	v_cndmask_b32_e32 v19, 64, v19, vcc
	s_waitcnt lgkmcnt(0)
	v_mov_b32_e32 v21, s41
	v_add_co_u32_e32 v46, vcc, s40, v46
	v_addc_co_u32_e32 v47, vcc, v21, v47, vcc
	global_store_dword v[46:47], v19, off
	v_ashrrev_i32_e32 v19, 31, v18
	v_lshlrev_b64 v[46:47], 2, v[18:19]
	v_mov_b32_e32 v19, s43
	v_add_co_u32_e32 v46, vcc, s42, v46
	v_addc_co_u32_e32 v47, vcc, v19, v47, vcc
	v_add_f32_e32 v41, v41, v48
	global_store_dword v[46:47], v17, off
.LBB174_16:                             ;   in Loop: Header=BB174_14 Depth=1
	s_or_b64 exec, exec, s[4:5]
	v_ashrrev_i32_e32 v21, 31, v45
	v_lshrrev_b32_e32 v19, 28, v21
	v_add_u32_e32 v19, v45, v19
	v_ashrrev_i32_e32 v19, 4, v19
	v_lshrrev_b32_e32 v23, 30, v19
	v_add_u32_e32 v23, v19, v23
	v_and_b32_e32 v23, -4, v23
	v_sub_u32_e32 v23, v19, v23
	v_cmp_eq_u32_e32 vcc, v24, v23
	s_and_saveexec_b64 s[48:49], vcc
	s_cbranch_execz .LBB174_13
; %bb.17:                               ;   in Loop: Header=BB174_14 Depth=1
	v_lshrrev_b32_e32 v21, 26, v21
	v_add_u32_e32 v21, v45, v21
	v_lshlrev_b32_e32 v19, 4, v19
	v_sub_u32_e32 v19, v45, v19
	v_ashrrev_i32_e32 v21, 6, v21
	v_lshl_add_u32 v19, v21, 4, v19
	v_cmp_ne_u32_e32 vcc, 14, v19
	v_cmp_ne_u32_e64 s[2:3], 13, v19
	v_cmp_ne_u32_e64 s[4:5], 12, v19
	;; [unrolled: 1-line block ×15, first 2 shown]
	v_cndmask_b32_e64 v15, v44, v15, s[30:31]
	v_cndmask_b32_e32 v14, v44, v14, vcc
	v_cndmask_b32_e64 v13, v44, v13, s[2:3]
	v_cndmask_b32_e64 v12, v44, v12, s[4:5]
	v_cndmask_b32_e64 v11, v44, v11, s[6:7]
	v_cndmask_b32_e64 v10, v44, v10, s[8:9]
	v_cndmask_b32_e64 v9, v44, v9, s[10:11]
	v_cndmask_b32_e64 v8, v44, v8, s[12:13]
	v_cndmask_b32_e64 v7, v44, v7, s[14:15]
	v_cndmask_b32_e64 v6, v44, v6, s[16:17]
	v_cndmask_b32_e64 v5, v44, v5, s[18:19]
	v_cndmask_b32_e64 v4, v44, v4, s[20:21]
	v_cndmask_b32_e64 v3, v44, v3, s[22:23]
	v_cndmask_b32_e64 v2, v44, v2, s[24:25]
	v_cndmask_b32_e64 v1, v44, v1, s[26:27]
	v_cndmask_b32_e64 v0, v44, v0, s[28:29]
	s_branch .LBB174_13
.LBB174_18:
	v_mov_b32_e32 v41, 0
.LBB174_19:
	v_cmp_eq_u32_e32 vcc, 0, v24
	v_cmp_neq_f32_e64 s[0:1], 0, v41
	s_and_b64 s[0:1], vcc, s[0:1]
	s_and_b64 exec, exec, s[0:1]
	s_cbranch_execz .LBB174_30
; %bb.20:
	s_andn2_b64 vcc, exec, s[46:47]
	s_cbranch_vccnz .LBB174_30
; %bb.21:
	v_div_scale_f32 v0, s[0:1], v41, v41, 1.0
	v_rcp_f32_e32 v1, v0
	v_div_scale_f32 v2, vcc, 1.0, v41, 1.0
	s_cmp_gt_u32 s36, 3
	v_fma_f32 v3, -v0, v1, 1.0
	v_fmac_f32_e32 v1, v3, v1
	v_mul_f32_e32 v3, v2, v1
	v_fma_f32 v4, -v0, v3, v2
	v_fmac_f32_e32 v3, v4, v1
	v_fma_f32 v0, -v0, v3, v2
	v_div_fmas_f32 v0, v0, v1, v3
	v_div_fixup_f32 v0, v0, v41, 1.0
	v_ashrrev_i32_e32 v17, 31, v16
	s_cbranch_scc0 .LBB174_25
; %bb.22:
	v_lshlrev_b64 v[2:3], 2, v[16:17]
	v_mov_b32_e32 v4, s35
	v_add_co_u32_e32 v2, vcc, s34, v2
	v_addc_co_u32_e32 v3, vcc, v3, v4, vcc
	s_and_b32 s4, s36, 0x7ffffffc
	v_add_co_u32_e32 v2, vcc, 8, v2
	v_mov_b32_e32 v1, v0
	v_addc_co_u32_e32 v3, vcc, 0, v3, vcc
	s_mov_b32 s0, s4
.LBB174_23:                             ; =>This Inner Loop Header: Depth=1
	global_load_dwordx4 v[4:7], v[2:3], off offset:-8
	s_add_i32 s0, s0, -4
	s_cmp_lg_u32 s0, 0
	s_waitcnt vmcnt(0)
	v_pk_mul_f32 v[4:5], v[0:1], v[4:5]
	v_pk_mul_f32 v[6:7], v[0:1], v[6:7]
	global_store_dwordx4 v[2:3], v[4:7], off offset:-8
	v_add_co_u32_e32 v2, vcc, 16, v2
	v_addc_co_u32_e32 v3, vcc, 0, v3, vcc
	s_cbranch_scc1 .LBB174_23
; %bb.24:
	s_cmp_lg_u32 s4, s36
	s_cselect_b64 s[0:1], -1, 0
	s_branch .LBB174_27
.LBB174_25:
	s_mov_b64 s[0:1], 0
                                        ; implicit-def: $sgpr4
	s_cbranch_execz .LBB174_27
; %bb.26:
	s_mov_b64 s[0:1], -1
	s_mov_b32 s4, 0
.LBB174_27:
	s_andn2_b64 vcc, exec, s[0:1]
	s_cbranch_vccnz .LBB174_30
; %bb.28:
	v_add_co_u32_e32 v2, vcc, s4, v16
	v_addc_co_u32_e32 v3, vcc, 0, v17, vcc
	v_lshlrev_b64 v[2:3], 2, v[2:3]
	v_mov_b32_e32 v1, s35
	v_add_co_u32_e32 v2, vcc, s34, v2
	s_sub_i32 s0, s36, s4
	v_addc_co_u32_e32 v3, vcc, v1, v3, vcc
.LBB174_29:                             ; =>This Inner Loop Header: Depth=1
	global_load_dword v1, v[2:3], off
	s_add_i32 s0, s0, -1
	s_cmp_lg_u32 s0, 0
	s_waitcnt vmcnt(0)
	v_mul_f32_e32 v1, v0, v1
	global_store_dword v[2:3], v1, off
	v_add_co_u32_e32 v2, vcc, 4, v2
	v_addc_co_u32_e32 v3, vcc, 0, v3, vcc
	s_cbranch_scc1 .LBB174_29
.LBB174_30:
	s_endpgm
	.section	.rodata,"a",@progbits
	.p2align	6, 0x0
	.amdhsa_kernel _ZN4vllm3moe17topkGatingSoftmaxIDF16_Li16ELi64ELi8ELi32ELb1ELi8ELNS0_23SharedExpertScoringFuncE1EEEvPKT_PKbPfiPiS9_iiiiii
		.amdhsa_group_segment_fixed_size 0
		.amdhsa_private_segment_fixed_size 0
		.amdhsa_kernarg_size 72
		.amdhsa_user_sgpr_count 6
		.amdhsa_user_sgpr_private_segment_buffer 1
		.amdhsa_user_sgpr_dispatch_ptr 0
		.amdhsa_user_sgpr_queue_ptr 0
		.amdhsa_user_sgpr_kernarg_segment_ptr 1
		.amdhsa_user_sgpr_dispatch_id 0
		.amdhsa_user_sgpr_flat_scratch_init 0
		.amdhsa_user_sgpr_kernarg_preload_length 0
		.amdhsa_user_sgpr_kernarg_preload_offset 0
		.amdhsa_user_sgpr_private_segment_size 0
		.amdhsa_uses_dynamic_stack 0
		.amdhsa_system_sgpr_private_segment_wavefront_offset 0
		.amdhsa_system_sgpr_workgroup_id_x 1
		.amdhsa_system_sgpr_workgroup_id_y 0
		.amdhsa_system_sgpr_workgroup_id_z 0
		.amdhsa_system_sgpr_workgroup_info 0
		.amdhsa_system_vgpr_workitem_id 1
		.amdhsa_next_free_vgpr 49
		.amdhsa_next_free_sgpr 53
		.amdhsa_accum_offset 52
		.amdhsa_reserve_vcc 1
		.amdhsa_reserve_flat_scratch 0
		.amdhsa_float_round_mode_32 0
		.amdhsa_float_round_mode_16_64 0
		.amdhsa_float_denorm_mode_32 3
		.amdhsa_float_denorm_mode_16_64 3
		.amdhsa_dx10_clamp 1
		.amdhsa_ieee_mode 1
		.amdhsa_fp16_overflow 0
		.amdhsa_tg_split 0
		.amdhsa_exception_fp_ieee_invalid_op 0
		.amdhsa_exception_fp_denorm_src 0
		.amdhsa_exception_fp_ieee_div_zero 0
		.amdhsa_exception_fp_ieee_overflow 0
		.amdhsa_exception_fp_ieee_underflow 0
		.amdhsa_exception_fp_ieee_inexact 0
		.amdhsa_exception_int_div_zero 0
	.end_amdhsa_kernel
	.section	.text._ZN4vllm3moe17topkGatingSoftmaxIDF16_Li16ELi64ELi8ELi32ELb1ELi8ELNS0_23SharedExpertScoringFuncE1EEEvPKT_PKbPfiPiS9_iiiiii,"axG",@progbits,_ZN4vllm3moe17topkGatingSoftmaxIDF16_Li16ELi64ELi8ELi32ELb1ELi8ELNS0_23SharedExpertScoringFuncE1EEEvPKT_PKbPfiPiS9_iiiiii,comdat
.Lfunc_end174:
	.size	_ZN4vllm3moe17topkGatingSoftmaxIDF16_Li16ELi64ELi8ELi32ELb1ELi8ELNS0_23SharedExpertScoringFuncE1EEEvPKT_PKbPfiPiS9_iiiiii, .Lfunc_end174-_ZN4vllm3moe17topkGatingSoftmaxIDF16_Li16ELi64ELi8ELi32ELb1ELi8ELNS0_23SharedExpertScoringFuncE1EEEvPKT_PKbPfiPiS9_iiiiii
                                        ; -- End function
	.section	.AMDGPU.csdata,"",@progbits
; Kernel info:
; codeLenInByte = 2916
; NumSgprs: 57
; NumVgprs: 49
; NumAgprs: 0
; TotalNumVgprs: 49
; ScratchSize: 0
; MemoryBound: 0
; FloatMode: 240
; IeeeMode: 1
; LDSByteSize: 0 bytes/workgroup (compile time only)
; SGPRBlocks: 7
; VGPRBlocks: 6
; NumSGPRsForWavesPerEU: 57
; NumVGPRsForWavesPerEU: 49
; AccumOffset: 52
; Occupancy: 8
; WaveLimiterHint : 0
; COMPUTE_PGM_RSRC2:SCRATCH_EN: 0
; COMPUTE_PGM_RSRC2:USER_SGPR: 6
; COMPUTE_PGM_RSRC2:TRAP_HANDLER: 0
; COMPUTE_PGM_RSRC2:TGID_X_EN: 1
; COMPUTE_PGM_RSRC2:TGID_Y_EN: 0
; COMPUTE_PGM_RSRC2:TGID_Z_EN: 0
; COMPUTE_PGM_RSRC2:TIDIG_COMP_CNT: 1
; COMPUTE_PGM_RSRC3_GFX90A:ACCUM_OFFSET: 12
; COMPUTE_PGM_RSRC3_GFX90A:TG_SPLIT: 0
	.section	.text._ZN4vllm3moe17topkGatingSoftmaxIDF16_Li16ELi64ELi8ELi32ELb0ELi8ELNS0_23SharedExpertScoringFuncE1EEEvPKT_PKbPfiPiS9_iiiiii,"axG",@progbits,_ZN4vllm3moe17topkGatingSoftmaxIDF16_Li16ELi64ELi8ELi32ELb0ELi8ELNS0_23SharedExpertScoringFuncE1EEEvPKT_PKbPfiPiS9_iiiiii,comdat
	.protected	_ZN4vllm3moe17topkGatingSoftmaxIDF16_Li16ELi64ELi8ELi32ELb0ELi8ELNS0_23SharedExpertScoringFuncE1EEEvPKT_PKbPfiPiS9_iiiiii ; -- Begin function _ZN4vllm3moe17topkGatingSoftmaxIDF16_Li16ELi64ELi8ELi32ELb0ELi8ELNS0_23SharedExpertScoringFuncE1EEEvPKT_PKbPfiPiS9_iiiiii
	.globl	_ZN4vllm3moe17topkGatingSoftmaxIDF16_Li16ELi64ELi8ELi32ELb0ELi8ELNS0_23SharedExpertScoringFuncE1EEEvPKT_PKbPfiPiS9_iiiiii
	.p2align	8
	.type	_ZN4vllm3moe17topkGatingSoftmaxIDF16_Li16ELi64ELi8ELi32ELb0ELi8ELNS0_23SharedExpertScoringFuncE1EEEvPKT_PKbPfiPiS9_iiiiii,@function
_ZN4vllm3moe17topkGatingSoftmaxIDF16_Li16ELi64ELi8ELi32ELb0ELi8ELNS0_23SharedExpertScoringFuncE1EEEvPKT_PKbPfiPiS9_iiiiii: ; @_ZN4vllm3moe17topkGatingSoftmaxIDF16_Li16ELi64ELi8ELi32ELb0ELi8ELNS0_23SharedExpertScoringFuncE1EEEvPKT_PKbPfiPiS9_iiiiii
; %bb.0:
	s_load_dword s33, s[4:5], 0x18
	v_bfe_u32 v1, v0, 10, 10
	v_and_b32_e32 v0, 0x3ff, v0
	s_lshl_b32 s50, s6, 7
	v_lshlrev_b32_e32 v22, 4, v1
	v_lshrrev_b32_e32 v23, 2, v0
	v_add3_u32 v43, s50, v22, v23
	s_waitcnt lgkmcnt(0)
	v_cmp_gt_i32_e32 vcc, s33, v43
	s_and_saveexec_b64 s[0:1], vcc
	s_cbranch_execz .LBB175_32
; %bb.1:
	s_load_dwordx4 s[0:3], s[4:5], 0x0
	s_load_dwordx2 s[34:35], s[4:5], 0x10
	s_mov_b64 s[8:9], 0
	s_waitcnt lgkmcnt(0)
	s_cmp_eq_u64 s[2:3], 0
	s_cbranch_scc1 .LBB175_3
; %bb.2:
	v_ashrrev_i32_e32 v1, 31, v43
	v_mov_b32_e32 v3, s3
	v_add_co_u32_e32 v2, vcc, s2, v43
	v_addc_co_u32_e32 v3, vcc, v3, v1, vcc
	global_load_ubyte v1, v[2:3], off
	s_waitcnt vmcnt(0)
	v_and_b32_e32 v1, 1, v1
	v_cmp_eq_u32_e32 vcc, 1, v1
	s_xor_b64 s[2:3], vcc, -1
	s_orn2_b64 s[46:47], s[2:3], exec
	s_branch .LBB175_4
.LBB175_3:
	s_mov_b64 s[46:47], -1
.LBB175_4:
	s_load_dwordx2 s[6:7], s[4:5], 0x40
	s_load_dwordx4 s[36:39], s[4:5], 0x30
	v_mov_b32_e32 v1, s1
	v_and_b32_e32 v24, 3, v0
	v_lshlrev_b32_e32 v0, 5, v24
	s_waitcnt lgkmcnt(0)
	v_mul_lo_u32 v2, v43, s7
	v_ashrrev_i32_e32 v3, 31, v2
	v_lshlrev_b64 v[8:9], 1, v[2:3]
	v_add_co_u32_e32 v2, vcc, s0, v8
	v_addc_co_u32_e32 v1, vcc, v1, v9, vcc
	v_add_co_u32_e32 v0, vcc, v2, v0
	v_addc_co_u32_e32 v1, vcc, 0, v1, vcc
	global_load_dwordx4 v[12:15], v[0:1], off offset:16
	global_load_dwordx4 v[4:7], v[0:1], off
	v_lshlrev_b32_e32 v0, 1, v24
	v_add_co_u32_e32 v0, vcc, v8, v0
	v_addc_co_u32_e32 v1, vcc, 0, v9, vcc
	v_mov_b32_e32 v3, s1
	v_add_co_u32_e32 v0, vcc, s0, v0
	v_addc_co_u32_e32 v1, vcc, v1, v3, vcc
	s_movk_i32 s0, 0x80
	v_mul_lo_u32 v16, v43, s39
	v_add_co_u32_e32 v0, vcc, s0, v0
	v_lshlrev_b32_e32 v27, 4, v24
	v_add_u32_e32 v2, s36, v16
	v_addc_co_u32_e32 v1, vcc, 0, v1, vcc
	s_mov_b32 s0, 0x3fb8aa3b
	s_mov_b32 s1, 0x32a5705f
	;; [unrolled: 1-line block ×4, first 2 shown]
	v_mov_b32_e32 v3, 0x7f800000
	v_mov_b32_e32 v8, s35
	;; [unrolled: 1-line block ×3, first 2 shown]
.LBB175_5:                              ; =>This Inner Loop Header: Depth=1
	global_load_ushort v17, v[0:1], off
	v_add_co_u32_e32 v0, vcc, 8, v0
	v_add_u32_e32 v18, 4, v9
	v_addc_co_u32_e32 v1, vcc, 0, v1, vcc
	v_add_u32_e32 v10, v2, v9
	v_cmp_lt_u32_e32 vcc, 3, v9
	v_mov_b32_e32 v9, v18
	v_ashrrev_i32_e32 v11, 31, v10
	v_lshlrev_b64 v[10:11], 2, v[10:11]
	s_or_b64 s[8:9], vcc, s[8:9]
	v_add_co_u32_e32 v10, vcc, s34, v10
	v_addc_co_u32_e32 v11, vcc, v8, v11, vcc
	s_waitcnt vmcnt(0)
	v_cvt_f32_f16_e64 v18, -v17
	v_mul_f32_e32 v19, 0x3fb8aa3b, v18
	v_rndne_f32_e32 v20, v19
	v_fma_mix_f32 v21, -v17, s0, -v19 op_sel_hi:[1,0,0]
	v_sub_f32_e32 v19, v19, v20
	v_fma_mix_f32 v17, -v17, s1, v21 op_sel_hi:[1,0,0]
	v_add_f32_e32 v17, v19, v17
	v_cvt_i32_f32_e32 v20, v20
	v_exp_f32_e32 v17, v17
	v_cmp_ngt_f32_e32 vcc, s2, v18
	v_ldexp_f32 v17, v17, v20
	v_cndmask_b32_e32 v17, 0, v17, vcc
	v_cmp_nlt_f32_e32 vcc, s3, v18
	v_cndmask_b32_e32 v17, v3, v17, vcc
	v_add_f32_e32 v17, 1.0, v17
	v_div_scale_f32 v18, s[10:11], v17, v17, 1.0
	v_rcp_f32_e32 v19, v18
	v_div_scale_f32 v20, vcc, 1.0, v17, 1.0
	v_fma_f32 v21, -v18, v19, 1.0
	v_fmac_f32_e32 v19, v21, v19
	v_mul_f32_e32 v21, v20, v19
	v_fma_f32 v25, -v18, v21, v20
	v_fmac_f32_e32 v21, v25, v19
	v_fma_f32 v18, -v18, v21, v20
	v_div_fmas_f32 v18, v18, v19, v21
	v_div_fixup_f32 v17, v18, v17, 1.0
	global_store_dword v[10:11], v17, off
	s_andn2_b64 exec, exec, s[8:9]
	s_cbranch_execnz .LBB175_5
; %bb.6:
	s_or_b64 exec, exec, s[8:9]
	v_cvt_f32_f16_e32 v0, v4
	v_cvt_f32_f16_sdwa v1, v4 dst_sel:DWORD dst_unused:UNUSED_PAD src0_sel:WORD_1
	v_cvt_f32_f16_e32 v2, v5
	v_cmp_lt_f16_sdwa vcc, v4, v4 src0_sel:DWORD src1_sel:WORD_1
	v_or_b32_e32 v28, 1, v27
	v_cndmask_b32_e32 v4, v0, v1, vcc
	v_cndmask_b32_e32 v3, v27, v28, vcc
	v_or_b32_e32 v29, 2, v27
	v_cmp_lt_f32_e32 vcc, v4, v2
	v_cndmask_b32_e32 v8, v3, v29, vcc
	v_cvt_f32_f16_sdwa v3, v5 dst_sel:DWORD dst_unused:UNUSED_PAD src0_sel:WORD_1
	v_cndmask_b32_e32 v4, v4, v2, vcc
	v_or_b32_e32 v30, 3, v27
	v_or_b32_e32 v31, 4, v27
	v_cmp_lt_f32_e32 vcc, v4, v3
	v_cndmask_b32_e32 v5, v8, v30, vcc
	v_cndmask_b32_e32 v8, v4, v3, vcc
	v_cvt_f32_f16_e32 v4, v6
	v_or_b32_e32 v32, 5, v27
	v_or_b32_e32 v33, 6, v27
	v_or_b32_e32 v34, 7, v27
	v_cmp_lt_f32_e32 vcc, v8, v4
	v_cndmask_b32_e32 v9, v5, v31, vcc
	v_cvt_f32_f16_sdwa v5, v6 dst_sel:DWORD dst_unused:UNUSED_PAD src0_sel:WORD_1
	v_cvt_f32_f16_e32 v6, v7
	v_cndmask_b32_e32 v8, v8, v4, vcc
	v_cvt_f32_f16_sdwa v7, v7 dst_sel:DWORD dst_unused:UNUSED_PAD src0_sel:WORD_1
	v_cmp_lt_f32_e32 vcc, v8, v5
	v_cndmask_b32_e32 v8, v8, v5, vcc
	v_cndmask_b32_e32 v9, v9, v32, vcc
	v_cmp_lt_f32_e32 vcc, v8, v6
	v_cndmask_b32_e32 v8, v8, v6, vcc
	v_cndmask_b32_e32 v9, v9, v33, vcc
	v_cmp_lt_f32_e32 vcc, v8, v7
	v_cndmask_b32_e32 v10, v8, v7, vcc
	v_cvt_f32_f16_e32 v8, v12
	v_cndmask_b32_e32 v9, v9, v34, vcc
	v_or_b32_e32 v35, 8, v27
	v_or_b32_e32 v36, 9, v27
	v_cmp_lt_f32_e32 vcc, v10, v8
	v_cndmask_b32_e32 v11, v9, v35, vcc
	v_cvt_f32_f16_sdwa v9, v12 dst_sel:DWORD dst_unused:UNUSED_PAD src0_sel:WORD_1
	v_cndmask_b32_e32 v10, v10, v8, vcc
	v_or_b32_e32 v37, 10, v27
	v_or_b32_e32 v38, 11, v27
	v_cmp_lt_f32_e32 vcc, v10, v9
	v_cndmask_b32_e32 v12, v10, v9, vcc
	v_cvt_f32_f16_e32 v10, v13
	v_cndmask_b32_e32 v11, v11, v36, vcc
	v_or_b32_e32 v39, 12, v27
	v_or_b32_e32 v40, 13, v27
	v_cmp_lt_f32_e32 vcc, v12, v10
	v_cndmask_b32_e32 v17, v11, v37, vcc
	v_cvt_f32_f16_sdwa v11, v13 dst_sel:DWORD dst_unused:UNUSED_PAD src0_sel:WORD_1
	v_cndmask_b32_e32 v12, v12, v10, vcc
	v_or_b32_e32 v41, 14, v27
	v_or_b32_e32 v42, 15, v27
	v_cmp_lt_f32_e32 vcc, v12, v11
	v_cndmask_b32_e32 v13, v17, v38, vcc
	v_cndmask_b32_e32 v17, v12, v11, vcc
	v_cvt_f32_f16_e32 v12, v14
	v_cmp_lt_f32_e32 vcc, v17, v12
	v_cndmask_b32_e32 v18, v13, v39, vcc
	v_cvt_f32_f16_sdwa v13, v14 dst_sel:DWORD dst_unused:UNUSED_PAD src0_sel:WORD_1
	v_cvt_f32_f16_e32 v14, v15
	v_cndmask_b32_e32 v17, v17, v12, vcc
	v_cvt_f32_f16_sdwa v15, v15 dst_sel:DWORD dst_unused:UNUSED_PAD src0_sel:WORD_1
	v_cmp_lt_f32_e32 vcc, v17, v13
	v_cndmask_b32_e32 v17, v17, v13, vcc
	v_cndmask_b32_e32 v18, v18, v40, vcc
	v_cmp_lt_f32_e32 vcc, v17, v14
	v_cndmask_b32_e32 v17, v17, v14, vcc
	v_cndmask_b32_e32 v18, v18, v41, vcc
	;; [unrolled: 3-line block ×3, first 2 shown]
	s_nop 0
	v_mov_b32_dpp v20, v18 quad_perm:[1,0,3,2] row_mask:0xf bank_mask:0xf
	v_mov_b32_dpp v19, v17 quad_perm:[1,0,3,2] row_mask:0xf bank_mask:0xf
	v_cmp_eq_f32_e64 s[0:1], v17, v19
	v_cmp_lt_i32_e64 s[2:3], v20, v18
	v_cmp_lt_f32_e32 vcc, v17, v19
	s_and_b64 s[0:1], s[0:1], s[2:3]
	s_or_b64 vcc, vcc, s[0:1]
	v_cndmask_b32_e32 v19, v17, v19, vcc
	v_cndmask_b32_e32 v17, v18, v20, vcc
	s_nop 0
	v_mov_b32_dpp v20, v19 quad_perm:[2,3,0,1] row_mask:0xf bank_mask:0xf
	v_mov_b32_dpp v18, v17 quad_perm:[2,3,0,1] row_mask:0xf bank_mask:0xf
	v_cmp_eq_f32_e64 s[0:1], v19, v20
	v_cmp_lt_i32_e64 s[2:3], v18, v17
	v_cmp_lt_f32_e32 vcc, v19, v20
	s_and_b64 s[0:1], s[0:1], s[2:3]
	s_or_b64 s[2:3], vcc, s[0:1]
	s_cmp_gt_i32 s36, 0
	s_cselect_b64 s[44:45], -1, 0
	v_cndmask_b32_e64 v25, v19, v20, s[2:3]
	s_and_b64 vcc, exec, s[44:45]
	v_cmp_eq_u32_e64 s[0:1], 0, v24
	s_cbranch_vccz .LBB175_18
; %bb.7:
	s_load_dwordx4 s[40:43], s[4:5], 0x20
	v_cndmask_b32_e64 v44, v17, v18, s[2:3]
	v_mul_lo_u32 v20, v43, s6
	v_mul_lo_u32 v18, v43, s36
	v_mov_b32_e32 v26, 0
	s_and_saveexec_b64 s[4:5], s[0:1]
	s_cbranch_execz .LBB175_9
; %bb.8:
	v_sub_f32_e32 v17, v25, v25
	v_mul_f32_e32 v19, 0x3fb8aa3b, v17
	s_mov_b32 s2, 0x3fb8aa3b
	v_rndne_f32_e32 v21, v19
	v_sub_f32_e32 v26, v19, v21
	v_fma_f32 v19, v17, s2, -v19
	v_fmac_f32_e32 v19, 0x32a5705f, v17
	v_add_f32_e32 v19, v26, v19
	v_exp_f32_e32 v19, v19
	v_cvt_i32_f32_e32 v21, v21
	v_cmp_le_i32_e32 vcc, s37, v44
	v_cmp_gt_i32_e64 s[2:3], s38, v44
	s_mov_b32 s6, 0xc2ce8ed0
	s_and_b64 s[2:3], vcc, s[2:3]
	v_ldexp_f32 v19, v19, v21
	v_cmp_ngt_f32_e32 vcc, s6, v17
	s_mov_b32 s6, 0x42b17218
	v_cndmask_b32_e32 v19, 0, v19, vcc
	v_cmp_nlt_f32_e32 vcc, s6, v17
	v_ashrrev_i32_e32 v17, 31, v16
	v_mov_b32_e32 v21, 0x7f800000
	v_lshlrev_b64 v[46:47], 2, v[16:17]
	v_cndmask_b32_e32 v26, v21, v19, vcc
	v_mov_b32_e32 v17, s35
	v_add_co_u32_e32 v46, vcc, s34, v46
	v_addc_co_u32_e32 v47, vcc, v17, v47, vcc
	v_ashrrev_i32_e32 v21, 31, v20
	global_store_dword v[46:47], v26, off
	v_subrev_u32_e32 v17, s37, v44
	s_and_b64 vcc, s[46:47], s[2:3]
	v_lshlrev_b64 v[46:47], 2, v[20:21]
	v_cndmask_b32_e32 v17, 64, v17, vcc
	s_waitcnt lgkmcnt(0)
	v_mov_b32_e32 v19, s41
	v_add_co_u32_e32 v46, vcc, s40, v46
	v_addc_co_u32_e32 v47, vcc, v19, v47, vcc
	v_ashrrev_i32_e32 v19, 31, v18
	global_store_dword v[46:47], v17, off
	v_lshlrev_b64 v[46:47], 2, v[18:19]
	v_mov_b32_e32 v17, s43
	v_add_co_u32_e32 v46, vcc, s42, v46
	v_addc_co_u32_e32 v47, vcc, v17, v47, vcc
	global_store_dword v[46:47], v43, off
.LBB175_9:
	s_or_b64 exec, exec, s[4:5]
	v_ashrrev_i32_e32 v19, 31, v44
	v_lshrrev_b32_e32 v17, 28, v19
	v_add_u32_e32 v17, v44, v17
	v_ashrrev_i32_e32 v17, 4, v17
	v_lshrrev_b32_e32 v21, 30, v17
	v_add_u32_e32 v21, v17, v21
	v_and_b32_e32 v21, -4, v21
	v_sub_u32_e32 v21, v17, v21
	v_cmp_eq_u32_e32 vcc, v24, v21
	s_and_saveexec_b64 s[48:49], vcc
	s_cbranch_execz .LBB175_11
; %bb.10:
	v_lshrrev_b32_e32 v19, 26, v19
	v_add_u32_e32 v19, v44, v19
	v_lshlrev_b32_e32 v17, 4, v17
	v_sub_u32_e32 v17, v44, v17
	v_ashrrev_i32_e32 v19, 6, v19
	v_lshl_add_u32 v17, v19, 4, v17
	v_mov_b32_e32 v19, 0xff800000
	v_cmp_ne_u32_e32 vcc, 14, v17
	v_cmp_ne_u32_e64 s[2:3], 13, v17
	v_cmp_ne_u32_e64 s[4:5], 12, v17
	v_cmp_ne_u32_e64 s[6:7], 11, v17
	v_cmp_ne_u32_e64 s[8:9], 10, v17
	v_cmp_ne_u32_e64 s[10:11], 9, v17
	v_cmp_ne_u32_e64 s[12:13], 8, v17
	v_cmp_ne_u32_e64 s[14:15], 7, v17
	v_cmp_ne_u32_e64 s[16:17], 6, v17
	v_cmp_ne_u32_e64 s[18:19], 5, v17
	v_cmp_ne_u32_e64 s[20:21], 4, v17
	v_cmp_ne_u32_e64 s[22:23], 3, v17
	v_cmp_ne_u32_e64 s[24:25], 2, v17
	v_cmp_ne_u32_e64 s[26:27], 1, v17
	v_cmp_ne_u32_e64 s[28:29], 0, v17
	v_cmp_ne_u32_e64 s[30:31], 15, v17
	v_cndmask_b32_e64 v15, v19, v15, s[30:31]
	v_cndmask_b32_e32 v14, v19, v14, vcc
	v_cndmask_b32_e64 v13, v19, v13, s[2:3]
	v_cndmask_b32_e64 v12, v19, v12, s[4:5]
	;; [unrolled: 1-line block ×14, first 2 shown]
.LBB175_11:
	s_or_b64 exec, exec, s[48:49]
	s_cmp_eq_u32 s36, 1
	s_cbranch_scc1 .LBB175_19
; %bb.12:
	s_add_i32 s50, s50, s33
	s_add_i32 s39, s36, -1
	v_add3_u32 v17, s50, v23, v22
	v_add_u32_e32 v18, 1, v18
	v_add_u32_e32 v20, 1, v20
	;; [unrolled: 1-line block ×3, first 2 shown]
	s_mov_b32 s50, 0x3fb8aa3b
	s_mov_b32 s51, 0xc2ce8ed0
	;; [unrolled: 1-line block ×3, first 2 shown]
	v_mov_b32_e32 v43, 0x7f800000
	v_mov_b32_e32 v44, 0xff800000
	s_branch .LBB175_14
.LBB175_13:                             ;   in Loop: Header=BB175_14 Depth=1
	s_or_b64 exec, exec, s[48:49]
	s_add_i32 s39, s39, -1
	v_add_u32_e32 v17, s33, v17
	v_add_u32_e32 v18, 1, v18
	v_add_u32_e32 v20, 1, v20
	s_cmp_eq_u32 s39, 0
	v_add_u32_e32 v22, 1, v22
	s_cbranch_scc1 .LBB175_19
.LBB175_14:                             ; =>This Inner Loop Header: Depth=1
	v_cmp_gt_f32_e32 vcc, v1, v0
	v_cndmask_b32_e32 v21, v0, v1, vcc
	v_cndmask_b32_e32 v19, v27, v28, vcc
	v_cmp_gt_f32_e32 vcc, v2, v21
	v_cndmask_b32_e32 v21, v21, v2, vcc
	v_cndmask_b32_e32 v19, v19, v29, vcc
	;; [unrolled: 3-line block ×15, first 2 shown]
	s_nop 0
	v_mov_b32_dpp v45, v23 quad_perm:[1,0,3,2] row_mask:0xf bank_mask:0xf
	v_mov_b32_dpp v21, v19 quad_perm:[1,0,3,2] row_mask:0xf bank_mask:0xf
	v_cmp_eq_f32_e64 s[2:3], v19, v21
	v_cmp_lt_i32_e64 s[4:5], v45, v23
	v_cmp_lt_f32_e32 vcc, v19, v21
	s_and_b64 s[2:3], s[2:3], s[4:5]
	s_or_b64 vcc, vcc, s[2:3]
	v_cndmask_b32_e32 v19, v19, v21, vcc
	v_cndmask_b32_e32 v23, v23, v45, vcc
	s_nop 0
	v_mov_b32_dpp v21, v19 quad_perm:[2,3,0,1] row_mask:0xf bank_mask:0xf
	v_mov_b32_dpp v45, v23 quad_perm:[2,3,0,1] row_mask:0xf bank_mask:0xf
	v_cmp_eq_f32_e64 s[2:3], v19, v21
	v_cmp_lt_i32_e64 s[4:5], v45, v23
	v_cmp_lt_f32_e32 vcc, v19, v21
	s_and_b64 s[2:3], s[2:3], s[4:5]
	s_or_b64 vcc, vcc, s[2:3]
	v_cndmask_b32_e32 v45, v23, v45, vcc
	s_and_saveexec_b64 s[4:5], s[0:1]
	s_cbranch_execz .LBB175_16
; %bb.15:                               ;   in Loop: Header=BB175_14 Depth=1
	v_cndmask_b32_e32 v19, v19, v21, vcc
	v_sub_f32_e32 v19, v19, v25
	v_mul_f32_e32 v21, 0x3fb8aa3b, v19
	v_fma_f32 v23, v19, s50, -v21
	v_rndne_f32_e32 v46, v21
	v_fmac_f32_e32 v23, 0x32a5705f, v19
	v_sub_f32_e32 v21, v21, v46
	v_add_f32_e32 v21, v21, v23
	v_exp_f32_e32 v21, v21
	v_cvt_i32_f32_e32 v23, v46
	v_cmp_le_i32_e32 vcc, s37, v45
	v_cmp_gt_i32_e64 s[2:3], s38, v45
	s_and_b64 s[2:3], vcc, s[2:3]
	v_ldexp_f32 v21, v21, v23
	v_cmp_ngt_f32_e32 vcc, s51, v19
	v_ashrrev_i32_e32 v23, 31, v22
	v_cndmask_b32_e32 v21, 0, v21, vcc
	v_cmp_nlt_f32_e32 vcc, s52, v19
	v_lshlrev_b64 v[46:47], 2, v[22:23]
	v_cndmask_b32_e32 v48, v43, v21, vcc
	v_mov_b32_e32 v19, s35
	v_add_co_u32_e32 v46, vcc, s34, v46
	v_addc_co_u32_e32 v47, vcc, v19, v47, vcc
	v_ashrrev_i32_e32 v21, 31, v20
	global_store_dword v[46:47], v48, off
	v_subrev_u32_e32 v19, s37, v45
	s_and_b64 vcc, s[46:47], s[2:3]
	v_lshlrev_b64 v[46:47], 2, v[20:21]
	v_cndmask_b32_e32 v19, 64, v19, vcc
	s_waitcnt lgkmcnt(0)
	v_mov_b32_e32 v21, s41
	v_add_co_u32_e32 v46, vcc, s40, v46
	v_addc_co_u32_e32 v47, vcc, v21, v47, vcc
	global_store_dword v[46:47], v19, off
	v_ashrrev_i32_e32 v19, 31, v18
	v_lshlrev_b64 v[46:47], 2, v[18:19]
	v_mov_b32_e32 v19, s43
	v_add_co_u32_e32 v46, vcc, s42, v46
	v_addc_co_u32_e32 v47, vcc, v19, v47, vcc
	v_add_f32_e32 v26, v26, v48
	global_store_dword v[46:47], v17, off
.LBB175_16:                             ;   in Loop: Header=BB175_14 Depth=1
	s_or_b64 exec, exec, s[4:5]
	v_ashrrev_i32_e32 v21, 31, v45
	v_lshrrev_b32_e32 v19, 28, v21
	v_add_u32_e32 v19, v45, v19
	v_ashrrev_i32_e32 v19, 4, v19
	v_lshrrev_b32_e32 v23, 30, v19
	v_add_u32_e32 v23, v19, v23
	v_and_b32_e32 v23, -4, v23
	v_sub_u32_e32 v23, v19, v23
	v_cmp_eq_u32_e32 vcc, v24, v23
	s_and_saveexec_b64 s[48:49], vcc
	s_cbranch_execz .LBB175_13
; %bb.17:                               ;   in Loop: Header=BB175_14 Depth=1
	v_lshrrev_b32_e32 v21, 26, v21
	v_add_u32_e32 v21, v45, v21
	v_lshlrev_b32_e32 v19, 4, v19
	v_sub_u32_e32 v19, v45, v19
	v_ashrrev_i32_e32 v21, 6, v21
	v_lshl_add_u32 v19, v21, 4, v19
	v_cmp_ne_u32_e32 vcc, 14, v19
	v_cmp_ne_u32_e64 s[2:3], 13, v19
	v_cmp_ne_u32_e64 s[4:5], 12, v19
	;; [unrolled: 1-line block ×15, first 2 shown]
	v_cndmask_b32_e64 v15, v44, v15, s[30:31]
	v_cndmask_b32_e32 v14, v44, v14, vcc
	v_cndmask_b32_e64 v13, v44, v13, s[2:3]
	v_cndmask_b32_e64 v12, v44, v12, s[4:5]
	;; [unrolled: 1-line block ×14, first 2 shown]
	s_branch .LBB175_13
.LBB175_18:
	v_mov_b32_e32 v26, 0
.LBB175_19:
	v_sub_f32_e32 v0, v0, v25
	s_mov_b32 s2, 0x3fb8aa3b
	v_mul_f32_e32 v17, 0x3fb8aa3b, v0
	v_fma_f32 v18, v0, s2, -v17
	v_rndne_f32_e32 v19, v17
	v_fmac_f32_e32 v18, 0x32a5705f, v0
	v_sub_f32_e32 v17, v17, v19
	v_add_f32_e32 v17, v17, v18
	v_exp_f32_e32 v17, v17
	v_cvt_i32_f32_e32 v18, v19
	v_sub_f32_e32 v1, v1, v25
	s_mov_b32 s4, 0xc2ce8ed0
	s_mov_b32 s3, 0x42b17218
	v_ldexp_f32 v17, v17, v18
	v_mul_f32_e32 v18, 0x3fb8aa3b, v1
	v_fma_f32 v19, v1, s2, -v18
	v_rndne_f32_e32 v20, v18
	v_fmac_f32_e32 v19, 0x32a5705f, v1
	v_sub_f32_e32 v18, v18, v20
	v_add_f32_e32 v18, v18, v19
	v_exp_f32_e32 v18, v18
	v_cvt_i32_f32_e32 v19, v20
	v_cmp_ngt_f32_e32 vcc, s4, v1
	v_cmp_ngt_f32_e64 s[0:1], s4, v0
	v_sub_f32_e32 v2, v2, v25
	v_ldexp_f32 v18, v18, v19
	v_cndmask_b32_e32 v18, 0, v18, vcc
	v_mov_b32_e32 v19, 0x7f800000
	v_cmp_nlt_f32_e32 vcc, s3, v1
	v_cndmask_b32_e64 v1, 0, v17, s[0:1]
	v_cmp_nlt_f32_e64 s[0:1], s3, v0
	v_cndmask_b32_e64 v0, v19, v1, s[0:1]
	v_cndmask_b32_e32 v1, v19, v18, vcc
	v_add_f32_e32 v0, v0, v1
	v_mul_f32_e32 v1, 0x3fb8aa3b, v2
	v_fma_f32 v17, v2, s2, -v1
	v_rndne_f32_e32 v18, v1
	v_fmac_f32_e32 v17, 0x32a5705f, v2
	v_sub_f32_e32 v1, v1, v18
	v_add_f32_e32 v1, v1, v17
	v_exp_f32_e32 v1, v1
	v_cvt_i32_f32_e32 v17, v18
	v_cmp_ngt_f32_e32 vcc, s4, v2
	v_sub_f32_e32 v3, v3, v25
	v_sub_f32_e32 v4, v4, v25
	v_ldexp_f32 v1, v1, v17
	v_cndmask_b32_e32 v1, 0, v1, vcc
	v_cmp_nlt_f32_e32 vcc, s3, v2
	v_cndmask_b32_e32 v1, v19, v1, vcc
	v_add_f32_e32 v0, v0, v1
	v_mul_f32_e32 v1, 0x3fb8aa3b, v3
	v_fma_f32 v2, v3, s2, -v1
	v_rndne_f32_e32 v17, v1
	v_fmac_f32_e32 v2, 0x32a5705f, v3
	v_sub_f32_e32 v1, v1, v17
	v_add_f32_e32 v1, v1, v2
	v_exp_f32_e32 v1, v1
	v_cvt_i32_f32_e32 v2, v17
	v_cmp_ngt_f32_e32 vcc, s4, v3
	v_sub_f32_e32 v5, v5, v25
	v_sub_f32_e32 v6, v6, v25
	v_ldexp_f32 v1, v1, v2
	v_cndmask_b32_e32 v1, 0, v1, vcc
	v_cmp_nlt_f32_e32 vcc, s3, v3
	;; [unrolled: 16-line block ×5, first 2 shown]
	v_cndmask_b32_e32 v1, v19, v1, vcc
	v_add_f32_e32 v0, v0, v1
	v_mul_f32_e32 v1, 0x3fb8aa3b, v7
	v_fma_f32 v2, v7, s2, -v1
	v_rndne_f32_e32 v3, v1
	v_fmac_f32_e32 v2, 0x32a5705f, v7
	v_sub_f32_e32 v1, v1, v3
	v_add_f32_e32 v1, v1, v2
	v_exp_f32_e32 v1, v1
	v_cvt_i32_f32_e32 v2, v3
	v_cmp_ngt_f32_e32 vcc, s4, v7
	v_ldexp_f32 v1, v1, v2
	v_mul_f32_e32 v2, 0x3fb8aa3b, v8
	v_fma_f32 v3, v8, s2, -v2
	v_rndne_f32_e32 v4, v2
	v_fmac_f32_e32 v3, 0x32a5705f, v8
	v_sub_f32_e32 v2, v2, v4
	v_add_f32_e32 v2, v2, v3
	v_exp_f32_e32 v2, v2
	v_cvt_i32_f32_e32 v3, v4
	v_cndmask_b32_e32 v1, 0, v1, vcc
	v_cmp_nlt_f32_e32 vcc, s3, v7
	v_cndmask_b32_e32 v1, v19, v1, vcc
	v_add_f32_e32 v0, v0, v1
	v_ldexp_f32 v1, v2, v3
	v_mul_f32_e32 v2, 0x3fb8aa3b, v9
	v_fma_f32 v3, v9, s2, -v2
	v_rndne_f32_e32 v4, v2
	v_fmac_f32_e32 v3, 0x32a5705f, v9
	v_sub_f32_e32 v2, v2, v4
	v_add_f32_e32 v2, v2, v3
	v_exp_f32_e32 v2, v2
	v_cvt_i32_f32_e32 v3, v4
	v_cmp_ngt_f32_e32 vcc, s4, v8
	v_cndmask_b32_e32 v1, 0, v1, vcc
	v_cmp_nlt_f32_e32 vcc, s3, v8
	v_cndmask_b32_e32 v1, v19, v1, vcc
	v_add_f32_e32 v0, v0, v1
	v_ldexp_f32 v1, v2, v3
	v_mul_f32_e32 v2, 0x3fb8aa3b, v10
	v_fma_f32 v3, v10, s2, -v2
	v_rndne_f32_e32 v4, v2
	v_fmac_f32_e32 v3, 0x32a5705f, v10
	v_sub_f32_e32 v2, v2, v4
	v_add_f32_e32 v2, v2, v3
	v_exp_f32_e32 v2, v2
	v_cvt_i32_f32_e32 v3, v4
	v_cmp_ngt_f32_e32 vcc, s4, v9
	;; [unrolled: 14-line block ×4, first 2 shown]
	v_cndmask_b32_e32 v1, 0, v1, vcc
	v_cmp_nlt_f32_e32 vcc, s3, v11
	v_cndmask_b32_e32 v1, v19, v1, vcc
	v_add_f32_e32 v0, v0, v1
	v_ldexp_f32 v1, v2, v3
	v_sub_f32_e32 v2, v13, v25
	v_mul_f32_e32 v3, 0x3fb8aa3b, v2
	v_fma_f32 v4, v2, s2, -v3
	v_rndne_f32_e32 v5, v3
	v_fmac_f32_e32 v4, 0x32a5705f, v2
	v_sub_f32_e32 v3, v3, v5
	v_add_f32_e32 v3, v3, v4
	v_exp_f32_e32 v3, v3
	v_cvt_i32_f32_e32 v4, v5
	v_cmp_ngt_f32_e32 vcc, s4, v12
	v_cndmask_b32_e32 v1, 0, v1, vcc
	v_cmp_nlt_f32_e32 vcc, s3, v12
	v_cndmask_b32_e32 v1, v19, v1, vcc
	v_add_f32_e32 v0, v0, v1
	v_ldexp_f32 v1, v3, v4
	v_sub_f32_e32 v3, v14, v25
	v_mul_f32_e32 v4, 0x3fb8aa3b, v3
	v_fma_f32 v5, v3, s2, -v4
	v_rndne_f32_e32 v6, v4
	v_fmac_f32_e32 v5, 0x32a5705f, v3
	v_sub_f32_e32 v4, v4, v6
	v_add_f32_e32 v4, v4, v5
	v_exp_f32_e32 v4, v4
	v_cvt_i32_f32_e32 v5, v6
	v_cmp_ngt_f32_e32 vcc, s4, v2
	v_cndmask_b32_e32 v1, 0, v1, vcc
	v_cmp_nlt_f32_e32 vcc, s3, v2
	v_cndmask_b32_e32 v1, v19, v1, vcc
	v_sub_f32_e32 v2, v15, v25
	v_add_f32_e32 v0, v0, v1
	v_ldexp_f32 v1, v4, v5
	v_mul_f32_e32 v4, 0x3fb8aa3b, v2
	v_fma_f32 v5, v2, s2, -v4
	v_rndne_f32_e32 v6, v4
	v_fmac_f32_e32 v5, 0x32a5705f, v2
	v_sub_f32_e32 v4, v4, v6
	v_add_f32_e32 v4, v4, v5
	v_exp_f32_e32 v4, v4
	v_cvt_i32_f32_e32 v5, v6
	v_cmp_ngt_f32_e32 vcc, s4, v3
	v_cndmask_b32_e32 v1, 0, v1, vcc
	v_cmp_nlt_f32_e32 vcc, s3, v3
	v_cndmask_b32_e32 v1, v19, v1, vcc
	v_add_f32_e32 v0, v0, v1
	v_ldexp_f32 v1, v4, v5
	v_cmp_ngt_f32_e32 vcc, s4, v2
	v_cndmask_b32_e32 v1, 0, v1, vcc
	v_cmp_nlt_f32_e32 vcc, s3, v2
	v_cndmask_b32_e32 v1, v19, v1, vcc
	v_add_f32_e32 v0, v0, v1
	v_cmp_eq_u32_e32 vcc, 0, v24
	s_nop 0
	v_mov_b32_dpp v1, v0 quad_perm:[1,0,3,2] row_mask:0xf bank_mask:0xf
	v_add_f32_e32 v0, v0, v1
	s_nop 1
	v_mov_b32_dpp v1, v0 quad_perm:[2,3,0,1] row_mask:0xf bank_mask:0xf
	s_and_b64 exec, exec, vcc
	s_cbranch_execz .LBB175_32
; %bb.20:
	v_add_f32_e32 v0, v0, v1
	v_add_f32_e32 v0, v26, v0
	v_cmp_neq_f32_e32 vcc, 0, v0
	s_and_b64 exec, exec, vcc
	s_cbranch_execz .LBB175_32
; %bb.21:
	s_andn2_b64 vcc, exec, s[44:45]
	s_cbranch_vccnz .LBB175_32
; %bb.22:
	v_div_scale_f32 v1, s[0:1], v0, v0, 1.0
	v_rcp_f32_e32 v2, v1
	v_div_scale_f32 v3, vcc, 1.0, v0, 1.0
	s_cmp_gt_u32 s36, 3
	v_fma_f32 v4, -v1, v2, 1.0
	v_fmac_f32_e32 v2, v4, v2
	v_mul_f32_e32 v4, v3, v2
	v_fma_f32 v5, -v1, v4, v3
	v_fmac_f32_e32 v4, v5, v2
	v_fma_f32 v1, -v1, v4, v3
	v_div_fmas_f32 v1, v1, v2, v4
	v_div_fixup_f32 v0, v1, v0, 1.0
	v_ashrrev_i32_e32 v17, 31, v16
	s_cbranch_scc0 .LBB175_26
; %bb.23:
	v_lshlrev_b64 v[2:3], 2, v[16:17]
	v_mov_b32_e32 v4, s35
	v_add_co_u32_e32 v2, vcc, s34, v2
	v_addc_co_u32_e32 v3, vcc, v3, v4, vcc
	s_and_b32 s4, s36, 0x7ffffffc
	v_add_co_u32_e32 v2, vcc, 8, v2
	v_mov_b32_e32 v1, v0
	v_addc_co_u32_e32 v3, vcc, 0, v3, vcc
	s_mov_b32 s0, s4
.LBB175_24:                             ; =>This Inner Loop Header: Depth=1
	global_load_dwordx4 v[4:7], v[2:3], off offset:-8
	s_add_i32 s0, s0, -4
	s_cmp_lg_u32 s0, 0
	s_waitcnt vmcnt(0)
	v_pk_mul_f32 v[4:5], v[0:1], v[4:5]
	v_pk_mul_f32 v[6:7], v[0:1], v[6:7]
	global_store_dwordx4 v[2:3], v[4:7], off offset:-8
	v_add_co_u32_e32 v2, vcc, 16, v2
	v_addc_co_u32_e32 v3, vcc, 0, v3, vcc
	s_cbranch_scc1 .LBB175_24
; %bb.25:
	s_cmp_lg_u32 s4, s36
	s_mov_b64 s[2:3], 0
	s_cselect_b64 s[0:1], -1, 0
	s_branch .LBB175_27
.LBB175_26:
	s_mov_b64 s[2:3], -1
	s_mov_b64 s[0:1], 0
                                        ; implicit-def: $sgpr4
.LBB175_27:
	s_and_b64 vcc, exec, s[2:3]
	s_cbranch_vccz .LBB175_29
; %bb.28:
	s_mov_b64 s[0:1], -1
	s_mov_b32 s4, 0
.LBB175_29:
	s_andn2_b64 vcc, exec, s[0:1]
	s_cbranch_vccnz .LBB175_32
; %bb.30:
	v_add_co_u32_e32 v2, vcc, s4, v16
	v_addc_co_u32_e32 v3, vcc, 0, v17, vcc
	v_lshlrev_b64 v[2:3], 2, v[2:3]
	v_mov_b32_e32 v1, s35
	v_add_co_u32_e32 v2, vcc, s34, v2
	s_sub_i32 s0, s36, s4
	v_addc_co_u32_e32 v3, vcc, v1, v3, vcc
.LBB175_31:                             ; =>This Inner Loop Header: Depth=1
	global_load_dword v1, v[2:3], off
	s_add_i32 s0, s0, -1
	s_cmp_lg_u32 s0, 0
	s_waitcnt vmcnt(0)
	v_mul_f32_e32 v1, v0, v1
	global_store_dword v[2:3], v1, off
	v_add_co_u32_e32 v2, vcc, 4, v2
	v_addc_co_u32_e32 v3, vcc, 0, v3, vcc
	s_cbranch_scc1 .LBB175_31
.LBB175_32:
	s_endpgm
	.section	.rodata,"a",@progbits
	.p2align	6, 0x0
	.amdhsa_kernel _ZN4vllm3moe17topkGatingSoftmaxIDF16_Li16ELi64ELi8ELi32ELb0ELi8ELNS0_23SharedExpertScoringFuncE1EEEvPKT_PKbPfiPiS9_iiiiii
		.amdhsa_group_segment_fixed_size 0
		.amdhsa_private_segment_fixed_size 0
		.amdhsa_kernarg_size 72
		.amdhsa_user_sgpr_count 6
		.amdhsa_user_sgpr_private_segment_buffer 1
		.amdhsa_user_sgpr_dispatch_ptr 0
		.amdhsa_user_sgpr_queue_ptr 0
		.amdhsa_user_sgpr_kernarg_segment_ptr 1
		.amdhsa_user_sgpr_dispatch_id 0
		.amdhsa_user_sgpr_flat_scratch_init 0
		.amdhsa_user_sgpr_kernarg_preload_length 0
		.amdhsa_user_sgpr_kernarg_preload_offset 0
		.amdhsa_user_sgpr_private_segment_size 0
		.amdhsa_uses_dynamic_stack 0
		.amdhsa_system_sgpr_private_segment_wavefront_offset 0
		.amdhsa_system_sgpr_workgroup_id_x 1
		.amdhsa_system_sgpr_workgroup_id_y 0
		.amdhsa_system_sgpr_workgroup_id_z 0
		.amdhsa_system_sgpr_workgroup_info 0
		.amdhsa_system_vgpr_workitem_id 1
		.amdhsa_next_free_vgpr 49
		.amdhsa_next_free_sgpr 53
		.amdhsa_accum_offset 52
		.amdhsa_reserve_vcc 1
		.amdhsa_reserve_flat_scratch 0
		.amdhsa_float_round_mode_32 0
		.amdhsa_float_round_mode_16_64 0
		.amdhsa_float_denorm_mode_32 3
		.amdhsa_float_denorm_mode_16_64 3
		.amdhsa_dx10_clamp 1
		.amdhsa_ieee_mode 1
		.amdhsa_fp16_overflow 0
		.amdhsa_tg_split 0
		.amdhsa_exception_fp_ieee_invalid_op 0
		.amdhsa_exception_fp_denorm_src 0
		.amdhsa_exception_fp_ieee_div_zero 0
		.amdhsa_exception_fp_ieee_overflow 0
		.amdhsa_exception_fp_ieee_underflow 0
		.amdhsa_exception_fp_ieee_inexact 0
		.amdhsa_exception_int_div_zero 0
	.end_amdhsa_kernel
	.section	.text._ZN4vllm3moe17topkGatingSoftmaxIDF16_Li16ELi64ELi8ELi32ELb0ELi8ELNS0_23SharedExpertScoringFuncE1EEEvPKT_PKbPfiPiS9_iiiiii,"axG",@progbits,_ZN4vllm3moe17topkGatingSoftmaxIDF16_Li16ELi64ELi8ELi32ELb0ELi8ELNS0_23SharedExpertScoringFuncE1EEEvPKT_PKbPfiPiS9_iiiiii,comdat
.Lfunc_end175:
	.size	_ZN4vllm3moe17topkGatingSoftmaxIDF16_Li16ELi64ELi8ELi32ELb0ELi8ELNS0_23SharedExpertScoringFuncE1EEEvPKT_PKbPfiPiS9_iiiiii, .Lfunc_end175-_ZN4vllm3moe17topkGatingSoftmaxIDF16_Li16ELi64ELi8ELi32ELb0ELi8ELNS0_23SharedExpertScoringFuncE1EEEvPKT_PKbPfiPiS9_iiiiii
                                        ; -- End function
	.section	.AMDGPU.csdata,"",@progbits
; Kernel info:
; codeLenInByte = 4236
; NumSgprs: 57
; NumVgprs: 49
; NumAgprs: 0
; TotalNumVgprs: 49
; ScratchSize: 0
; MemoryBound: 0
; FloatMode: 240
; IeeeMode: 1
; LDSByteSize: 0 bytes/workgroup (compile time only)
; SGPRBlocks: 7
; VGPRBlocks: 6
; NumSGPRsForWavesPerEU: 57
; NumVGPRsForWavesPerEU: 49
; AccumOffset: 52
; Occupancy: 8
; WaveLimiterHint : 0
; COMPUTE_PGM_RSRC2:SCRATCH_EN: 0
; COMPUTE_PGM_RSRC2:USER_SGPR: 6
; COMPUTE_PGM_RSRC2:TRAP_HANDLER: 0
; COMPUTE_PGM_RSRC2:TGID_X_EN: 1
; COMPUTE_PGM_RSRC2:TGID_Y_EN: 0
; COMPUTE_PGM_RSRC2:TGID_Z_EN: 0
; COMPUTE_PGM_RSRC2:TIDIG_COMP_CNT: 1
; COMPUTE_PGM_RSRC3_GFX90A:ACCUM_OFFSET: 12
; COMPUTE_PGM_RSRC3_GFX90A:TG_SPLIT: 0
	.section	.text._ZN4vllm3moe17topkGatingSoftmaxIDF16_Li16ELi128ELi8ELi32ELb1ELi0ELNS0_23SharedExpertScoringFuncE0EEEvPKT_PKbPfiPiS9_iiiiii,"axG",@progbits,_ZN4vllm3moe17topkGatingSoftmaxIDF16_Li16ELi128ELi8ELi32ELb1ELi0ELNS0_23SharedExpertScoringFuncE0EEEvPKT_PKbPfiPiS9_iiiiii,comdat
	.protected	_ZN4vllm3moe17topkGatingSoftmaxIDF16_Li16ELi128ELi8ELi32ELb1ELi0ELNS0_23SharedExpertScoringFuncE0EEEvPKT_PKbPfiPiS9_iiiiii ; -- Begin function _ZN4vllm3moe17topkGatingSoftmaxIDF16_Li16ELi128ELi8ELi32ELb1ELi0ELNS0_23SharedExpertScoringFuncE0EEEvPKT_PKbPfiPiS9_iiiiii
	.globl	_ZN4vllm3moe17topkGatingSoftmaxIDF16_Li16ELi128ELi8ELi32ELb1ELi0ELNS0_23SharedExpertScoringFuncE0EEEvPKT_PKbPfiPiS9_iiiiii
	.p2align	8
	.type	_ZN4vllm3moe17topkGatingSoftmaxIDF16_Li16ELi128ELi8ELi32ELb1ELi0ELNS0_23SharedExpertScoringFuncE0EEEvPKT_PKbPfiPiS9_iiiiii,@function
_ZN4vllm3moe17topkGatingSoftmaxIDF16_Li16ELi128ELi8ELi32ELb1ELi0ELNS0_23SharedExpertScoringFuncE0EEEvPKT_PKbPfiPiS9_iiiiii: ; @_ZN4vllm3moe17topkGatingSoftmaxIDF16_Li16ELi128ELi8ELi32ELb1ELi0ELNS0_23SharedExpertScoringFuncE0EEEvPKT_PKbPfiPiS9_iiiiii
; %bb.0:
	s_load_dword s33, s[4:5], 0x18
	v_bfe_u32 v1, v0, 10, 10
	v_and_b32_e32 v0, 0x3ff, v0
	s_lshl_b32 s50, s6, 6
	v_lshlrev_b32_e32 v42, 3, v1
	v_lshrrev_b32_e32 v43, 3, v0
	v_add3_u32 v22, s50, v42, v43
	s_waitcnt lgkmcnt(0)
	v_cmp_gt_i32_e32 vcc, s33, v22
	s_and_saveexec_b64 s[0:1], vcc
	s_cbranch_execz .LBB176_27
; %bb.1:
	s_load_dwordx4 s[0:3], s[4:5], 0x0
	s_load_dwordx2 s[34:35], s[4:5], 0x10
	s_waitcnt lgkmcnt(0)
	s_cmp_eq_u64 s[2:3], 0
	s_cbranch_scc1 .LBB176_3
; %bb.2:
	v_ashrrev_i32_e32 v1, 31, v22
	v_mov_b32_e32 v3, s3
	v_add_co_u32_e32 v2, vcc, s2, v22
	v_addc_co_u32_e32 v3, vcc, v3, v1, vcc
	global_load_ubyte v1, v[2:3], off
	s_waitcnt vmcnt(0)
	v_and_b32_e32 v1, 1, v1
	v_cmp_eq_u32_e32 vcc, 1, v1
	s_xor_b64 s[2:3], vcc, -1
	s_orn2_b64 s[44:45], s[2:3], exec
	s_branch .LBB176_4
.LBB176_3:
	s_mov_b64 s[44:45], -1
.LBB176_4:
	s_load_dwordx2 s[8:9], s[4:5], 0x40
	s_load_dwordx4 s[36:39], s[4:5], 0x30
	v_mov_b32_e32 v1, s1
	v_and_b32_e32 v23, 7, v0
	v_lshlrev_b32_e32 v0, 5, v23
	s_waitcnt lgkmcnt(0)
	v_mul_lo_u32 v2, v22, s9
	v_ashrrev_i32_e32 v3, 31, v2
	v_lshlrev_b64 v[2:3], 1, v[2:3]
	v_add_co_u32_e32 v2, vcc, s0, v2
	v_addc_co_u32_e32 v1, vcc, v1, v3, vcc
	v_add_co_u32_e32 v8, vcc, v2, v0
	v_addc_co_u32_e32 v9, vcc, 0, v1, vcc
	global_load_dwordx4 v[4:7], v[8:9], off
	global_load_dwordx4 v[12:15], v[8:9], off offset:16
	v_lshlrev_b32_e32 v24, 4, v23
	v_or_b32_e32 v25, 1, v24
	v_or_b32_e32 v26, 2, v24
	;; [unrolled: 1-line block ×15, first 2 shown]
	v_mov_b32_e32 v40, 0
	s_waitcnt vmcnt(1)
	v_cvt_f32_f16_e32 v0, v4
	v_cvt_f32_f16_sdwa v1, v4 dst_sel:DWORD dst_unused:UNUSED_PAD src0_sel:WORD_1
	v_cvt_f32_f16_e32 v2, v5
	v_cmp_lt_f16_sdwa vcc, v4, v4 src0_sel:DWORD src1_sel:WORD_1
	v_cndmask_b32_e32 v3, v24, v25, vcc
	v_cndmask_b32_e32 v4, v0, v1, vcc
	v_cmp_lt_f32_e32 vcc, v4, v2
	v_cndmask_b32_e32 v10, v3, v26, vcc
	v_cvt_f32_f16_sdwa v3, v5 dst_sel:DWORD dst_unused:UNUSED_PAD src0_sel:WORD_1
	v_cndmask_b32_e32 v4, v4, v2, vcc
	s_waitcnt vmcnt(0)
	v_cvt_f32_f16_e32 v8, v12
	v_cvt_f32_f16_sdwa v9, v12 dst_sel:DWORD dst_unused:UNUSED_PAD src0_sel:WORD_1
	v_cmp_lt_f32_e32 vcc, v4, v3
	v_cndmask_b32_e32 v5, v10, v27, vcc
	v_cndmask_b32_e32 v10, v4, v3, vcc
	v_cvt_f32_f16_e32 v4, v6
	v_cmp_lt_f32_e32 vcc, v10, v4
	v_cndmask_b32_e32 v11, v5, v28, vcc
	v_cvt_f32_f16_sdwa v5, v6 dst_sel:DWORD dst_unused:UNUSED_PAD src0_sel:WORD_1
	v_cvt_f32_f16_e32 v6, v7
	v_cndmask_b32_e32 v10, v10, v4, vcc
	v_cvt_f32_f16_sdwa v7, v7 dst_sel:DWORD dst_unused:UNUSED_PAD src0_sel:WORD_1
	v_cmp_lt_f32_e32 vcc, v10, v5
	v_cndmask_b32_e32 v10, v10, v5, vcc
	v_cndmask_b32_e32 v11, v11, v29, vcc
	v_cmp_lt_f32_e32 vcc, v10, v6
	v_cndmask_b32_e32 v10, v10, v6, vcc
	v_cndmask_b32_e32 v11, v11, v30, vcc
	;; [unrolled: 3-line block ×4, first 2 shown]
	v_cmp_lt_f32_e32 vcc, v10, v9
	v_cndmask_b32_e32 v12, v10, v9, vcc
	v_cvt_f32_f16_e32 v10, v13
	v_cndmask_b32_e32 v11, v11, v33, vcc
	v_cmp_lt_f32_e32 vcc, v12, v10
	v_cndmask_b32_e32 v16, v11, v34, vcc
	v_cvt_f32_f16_sdwa v11, v13 dst_sel:DWORD dst_unused:UNUSED_PAD src0_sel:WORD_1
	v_cndmask_b32_e32 v12, v12, v10, vcc
	v_cmp_lt_f32_e32 vcc, v12, v11
	v_cndmask_b32_e32 v13, v16, v35, vcc
	v_cndmask_b32_e32 v16, v12, v11, vcc
	v_cvt_f32_f16_e32 v12, v14
	v_cmp_lt_f32_e32 vcc, v16, v12
	v_cndmask_b32_e32 v17, v13, v36, vcc
	v_cvt_f32_f16_sdwa v13, v14 dst_sel:DWORD dst_unused:UNUSED_PAD src0_sel:WORD_1
	v_cvt_f32_f16_e32 v14, v15
	v_cndmask_b32_e32 v16, v16, v12, vcc
	v_cvt_f32_f16_sdwa v15, v15 dst_sel:DWORD dst_unused:UNUSED_PAD src0_sel:WORD_1
	v_cmp_lt_f32_e32 vcc, v16, v13
	v_cndmask_b32_e32 v16, v16, v13, vcc
	v_cndmask_b32_e32 v17, v17, v37, vcc
	v_cmp_lt_f32_e32 vcc, v16, v14
	v_cndmask_b32_e32 v16, v16, v14, vcc
	v_cndmask_b32_e32 v17, v17, v38, vcc
	;; [unrolled: 3-line block ×3, first 2 shown]
	s_nop 0
	v_mov_b32_dpp v18, v17 quad_perm:[1,0,3,2] row_mask:0xf bank_mask:0xf
	v_mov_b32_dpp v19, v16 quad_perm:[1,0,3,2] row_mask:0xf bank_mask:0xf
	v_cmp_lt_i32_e32 vcc, v18, v17
	v_cmp_eq_f32_e64 s[2:3], v16, v19
	v_cmp_lt_f32_e64 s[0:1], v16, v19
	s_and_b64 s[2:3], s[2:3], vcc
	s_or_b64 vcc, s[0:1], s[2:3]
	v_cndmask_b32_e32 v16, v16, v19, vcc
	v_cndmask_b32_e32 v17, v17, v18, vcc
	s_nop 0
	v_mov_b32_dpp v18, v16 quad_perm:[2,3,0,1] row_mask:0xf bank_mask:0xf
	v_mov_b32_dpp v19, v17 quad_perm:[2,3,0,1] row_mask:0xf bank_mask:0xf
	v_cmp_eq_f32_e64 s[0:1], v16, v18
	v_cmp_lt_i32_e64 s[2:3], v19, v17
	v_cmp_lt_f32_e32 vcc, v16, v18
	s_and_b64 s[0:1], s[0:1], s[2:3]
	s_or_b64 vcc, vcc, s[0:1]
	v_cndmask_b32_e32 v16, v16, v18, vcc
	v_cndmask_b32_e32 v17, v17, v19, vcc
	s_cmp_gt_i32 s36, 0
	v_cmp_eq_u32_e32 vcc, 0, v23
	s_cselect_b64 s[46:47], -1, 0
	s_cmp_lt_i32 s36, 1
	v_mov_b32_dpp v18, v17 row_half_mirror row_mask:0xf bank_mask:0xf
	v_mov_b32_dpp v19, v16 row_half_mirror row_mask:0xf bank_mask:0xf
	s_cbranch_scc1 .LBB176_16
; %bb.5:
	s_load_dwordx4 s[40:43], s[4:5], 0x20
	v_cmp_eq_f32_e64 s[2:3], v16, v19
	v_cmp_lt_i32_e64 s[6:7], v18, v17
	v_cmp_lt_f32_e64 s[0:1], v16, v19
	s_and_b64 s[2:3], s[2:3], s[6:7]
	s_or_b64 s[0:1], s[0:1], s[2:3]
	v_cndmask_b32_e64 v44, v17, v18, s[0:1]
	v_cndmask_b32_e64 v41, v16, v19, s[0:1]
	v_mul_lo_u32 v20, v22, s39
	v_mul_lo_u32 v18, v22, s8
	;; [unrolled: 1-line block ×3, first 2 shown]
	v_mov_b32_e32 v40, 0
	s_and_saveexec_b64 s[4:5], vcc
	s_cbranch_execz .LBB176_7
; %bb.6:
	v_sub_f32_e32 v17, v41, v41
	v_mul_f32_e32 v19, 0x3fb8aa3b, v17
	s_mov_b32 s0, 0x3fb8aa3b
	v_rndne_f32_e32 v21, v19
	v_sub_f32_e32 v40, v19, v21
	v_fma_f32 v19, v17, s0, -v19
	v_fmac_f32_e32 v19, 0x32a5705f, v17
	v_add_f32_e32 v19, v40, v19
	v_exp_f32_e32 v19, v19
	v_cvt_i32_f32_e32 v21, v21
	v_cmp_le_i32_e64 s[0:1], s37, v44
	v_cmp_gt_i32_e64 s[2:3], s38, v44
	s_and_b64 s[2:3], s[0:1], s[2:3]
	s_mov_b32 s0, 0xc2ce8ed0
	v_ldexp_f32 v19, v19, v21
	v_cmp_ngt_f32_e64 s[0:1], s0, v17
	v_cndmask_b32_e64 v19, 0, v19, s[0:1]
	s_mov_b32 s0, 0x42b17218
	v_mov_b32_e32 v21, 0x7f800000
	v_cmp_nlt_f32_e64 s[0:1], s0, v17
	v_cndmask_b32_e64 v40, v21, v19, s[0:1]
	v_ashrrev_i32_e32 v21, 31, v20
	v_lshlrev_b64 v[46:47], 2, v[20:21]
	v_mov_b32_e32 v17, s35
	v_add_co_u32_e64 v46, s[0:1], s34, v46
	v_addc_co_u32_e64 v47, s[0:1], v17, v47, s[0:1]
	v_subrev_u32_e32 v17, s37, v44
	v_mov_b32_e32 v19, 0x80
	s_and_b64 s[0:1], s[44:45], s[2:3]
	v_cndmask_b32_e64 v17, v19, v17, s[0:1]
	v_ashrrev_i32_e32 v19, 31, v18
	global_store_dword v[46:47], v40, off
	v_lshlrev_b64 v[46:47], 2, v[18:19]
	s_waitcnt lgkmcnt(0)
	v_mov_b32_e32 v19, s41
	v_add_co_u32_e64 v46, s[0:1], s40, v46
	v_addc_co_u32_e64 v47, s[0:1], v19, v47, s[0:1]
	global_store_dword v[46:47], v17, off
	v_ashrrev_i32_e32 v17, 31, v16
	v_lshlrev_b64 v[46:47], 2, v[16:17]
	v_mov_b32_e32 v17, s43
	v_add_co_u32_e64 v46, s[0:1], s42, v46
	v_addc_co_u32_e64 v47, s[0:1], v17, v47, s[0:1]
	global_store_dword v[46:47], v22, off
.LBB176_7:
	s_or_b64 exec, exec, s[4:5]
	v_ashrrev_i32_e32 v19, 31, v44
	v_lshrrev_b32_e32 v17, 28, v19
	v_add_u32_e32 v17, v44, v17
	v_ashrrev_i32_e32 v17, 4, v17
	v_lshrrev_b32_e32 v21, 29, v17
	v_add_u32_e32 v21, v17, v21
	v_and_b32_e32 v21, -8, v21
	v_sub_u32_e32 v21, v17, v21
	v_cmp_eq_u32_e64 s[0:1], v23, v21
	s_and_saveexec_b64 s[48:49], s[0:1]
	s_cbranch_execz .LBB176_9
; %bb.8:
	v_lshrrev_b32_e32 v19, 25, v19
	v_add_u32_e32 v19, v44, v19
	v_lshlrev_b32_e32 v17, 4, v17
	v_sub_u32_e32 v17, v44, v17
	v_ashrrev_i32_e32 v19, 7, v19
	v_lshl_add_u32 v17, v19, 4, v17
	v_mov_b32_e32 v19, 0xff800000
	v_cmp_ne_u32_e64 s[0:1], 14, v17
	v_cmp_ne_u32_e64 s[2:3], 13, v17
	;; [unrolled: 1-line block ×16, first 2 shown]
	v_cndmask_b32_e64 v15, v19, v15, s[30:31]
	v_cndmask_b32_e64 v14, v19, v14, s[0:1]
	v_cndmask_b32_e64 v13, v19, v13, s[2:3]
	v_cndmask_b32_e64 v12, v19, v12, s[4:5]
	v_cndmask_b32_e64 v11, v19, v11, s[6:7]
	v_cndmask_b32_e64 v10, v19, v10, s[8:9]
	v_cndmask_b32_e64 v9, v19, v9, s[10:11]
	v_cndmask_b32_e64 v8, v19, v8, s[12:13]
	v_cndmask_b32_e64 v7, v19, v7, s[14:15]
	v_cndmask_b32_e64 v6, v19, v6, s[16:17]
	v_cndmask_b32_e64 v5, v19, v5, s[18:19]
	v_cndmask_b32_e64 v4, v19, v4, s[20:21]
	v_cndmask_b32_e64 v3, v19, v3, s[22:23]
	v_cndmask_b32_e64 v2, v19, v2, s[24:25]
	v_cndmask_b32_e64 v1, v19, v1, s[26:27]
	v_cndmask_b32_e64 v0, v19, v0, s[28:29]
.LBB176_9:
	s_or_b64 exec, exec, s[48:49]
	s_cmp_eq_u32 s36, 1
	s_cbranch_scc1 .LBB176_16
; %bb.10:
	s_add_i32 s50, s50, s33
	s_add_i32 s51, s36, -1
	v_add3_u32 v42, s50, v43, v42
	v_add_u32_e32 v16, 1, v16
	v_add_u32_e32 v18, 1, v18
	;; [unrolled: 1-line block ×3, first 2 shown]
	s_mov_b32 s50, 0x3fb8aa3b
	s_mov_b32 s52, 0xc2ce8ed0
	;; [unrolled: 1-line block ×3, first 2 shown]
	v_mov_b32_e32 v43, 0x7f800000
	v_mov_b32_e32 v44, 0x80
	v_mov_b32_e32 v45, 0xff800000
	s_branch .LBB176_12
.LBB176_11:                             ;   in Loop: Header=BB176_12 Depth=1
	s_or_b64 exec, exec, s[48:49]
	s_add_i32 s51, s51, -1
	v_add_u32_e32 v42, s33, v42
	v_add_u32_e32 v16, 1, v16
	;; [unrolled: 1-line block ×3, first 2 shown]
	s_cmp_eq_u32 s51, 0
	v_add_u32_e32 v20, 1, v20
	s_cbranch_scc1 .LBB176_16
.LBB176_12:                             ; =>This Inner Loop Header: Depth=1
	v_cmp_gt_f32_e64 s[0:1], v1, v0
	v_cndmask_b32_e64 v19, v0, v1, s[0:1]
	v_cndmask_b32_e64 v17, v24, v25, s[0:1]
	v_cmp_gt_f32_e64 s[0:1], v2, v19
	v_cndmask_b32_e64 v19, v19, v2, s[0:1]
	v_cndmask_b32_e64 v17, v17, v26, s[0:1]
	v_cmp_gt_f32_e64 s[0:1], v3, v19
	v_cndmask_b32_e64 v19, v19, v3, s[0:1]
	v_cndmask_b32_e64 v17, v17, v27, s[0:1]
	v_cmp_gt_f32_e64 s[0:1], v4, v19
	v_cndmask_b32_e64 v19, v19, v4, s[0:1]
	v_cndmask_b32_e64 v17, v17, v28, s[0:1]
	v_cmp_gt_f32_e64 s[0:1], v5, v19
	v_cndmask_b32_e64 v19, v19, v5, s[0:1]
	v_cndmask_b32_e64 v17, v17, v29, s[0:1]
	v_cmp_gt_f32_e64 s[0:1], v6, v19
	v_cndmask_b32_e64 v19, v19, v6, s[0:1]
	v_cndmask_b32_e64 v17, v17, v30, s[0:1]
	v_cmp_gt_f32_e64 s[0:1], v7, v19
	v_cndmask_b32_e64 v19, v19, v7, s[0:1]
	v_cndmask_b32_e64 v17, v17, v31, s[0:1]
	v_cmp_gt_f32_e64 s[0:1], v8, v19
	v_cndmask_b32_e64 v19, v19, v8, s[0:1]
	v_cndmask_b32_e64 v17, v17, v32, s[0:1]
	v_cmp_gt_f32_e64 s[0:1], v9, v19
	v_cndmask_b32_e64 v19, v19, v9, s[0:1]
	v_cndmask_b32_e64 v17, v17, v33, s[0:1]
	v_cmp_gt_f32_e64 s[0:1], v10, v19
	v_cndmask_b32_e64 v19, v19, v10, s[0:1]
	v_cndmask_b32_e64 v17, v17, v34, s[0:1]
	v_cmp_gt_f32_e64 s[0:1], v11, v19
	v_cndmask_b32_e64 v19, v19, v11, s[0:1]
	v_cndmask_b32_e64 v17, v17, v35, s[0:1]
	v_cmp_gt_f32_e64 s[0:1], v12, v19
	v_cndmask_b32_e64 v19, v19, v12, s[0:1]
	v_cndmask_b32_e64 v17, v17, v36, s[0:1]
	v_cmp_gt_f32_e64 s[0:1], v13, v19
	v_cndmask_b32_e64 v19, v19, v13, s[0:1]
	v_cndmask_b32_e64 v17, v17, v37, s[0:1]
	v_cmp_gt_f32_e64 s[0:1], v14, v19
	v_cndmask_b32_e64 v19, v19, v14, s[0:1]
	v_cndmask_b32_e64 v17, v17, v38, s[0:1]
	v_cmp_gt_f32_e64 s[0:1], v15, v19
	v_cndmask_b32_e64 v17, v17, v39, s[0:1]
	v_cndmask_b32_e64 v19, v19, v15, s[0:1]
	s_nop 0
	v_mov_b32_dpp v46, v17 quad_perm:[1,0,3,2] row_mask:0xf bank_mask:0xf
	v_mov_b32_dpp v21, v19 quad_perm:[1,0,3,2] row_mask:0xf bank_mask:0xf
	v_cmp_eq_f32_e64 s[2:3], v19, v21
	v_cmp_lt_i32_e64 s[4:5], v46, v17
	v_cmp_lt_f32_e64 s[0:1], v19, v21
	s_and_b64 s[2:3], s[2:3], s[4:5]
	s_or_b64 s[0:1], s[0:1], s[2:3]
	v_cndmask_b32_e64 v19, v19, v21, s[0:1]
	v_cndmask_b32_e64 v21, v17, v46, s[0:1]
	s_nop 0
	v_mov_b32_dpp v17, v19 quad_perm:[2,3,0,1] row_mask:0xf bank_mask:0xf
	v_mov_b32_dpp v46, v21 quad_perm:[2,3,0,1] row_mask:0xf bank_mask:0xf
	v_cmp_eq_f32_e64 s[2:3], v19, v17
	v_cmp_lt_i32_e64 s[4:5], v46, v21
	v_cmp_lt_f32_e64 s[0:1], v19, v17
	s_and_b64 s[2:3], s[2:3], s[4:5]
	s_or_b64 s[0:1], s[0:1], s[2:3]
	v_cndmask_b32_e64 v17, v19, v17, s[0:1]
	v_cndmask_b32_e64 v21, v21, v46, s[0:1]
	s_nop 0
	v_mov_b32_dpp v19, v17 row_half_mirror row_mask:0xf bank_mask:0xf
	v_mov_b32_dpp v46, v21 row_half_mirror row_mask:0xf bank_mask:0xf
	v_cmp_eq_f32_e64 s[2:3], v17, v19
	v_cmp_lt_i32_e64 s[4:5], v46, v21
	v_cmp_lt_f32_e64 s[0:1], v17, v19
	s_and_b64 s[2:3], s[2:3], s[4:5]
	s_or_b64 s[0:1], s[0:1], s[2:3]
	v_cndmask_b32_e64 v46, v21, v46, s[0:1]
	s_and_saveexec_b64 s[4:5], vcc
	s_cbranch_execz .LBB176_14
; %bb.13:                               ;   in Loop: Header=BB176_12 Depth=1
	v_cndmask_b32_e64 v17, v17, v19, s[0:1]
	v_sub_f32_e32 v17, v17, v41
	v_mul_f32_e32 v19, 0x3fb8aa3b, v17
	v_fma_f32 v21, v17, s50, -v19
	v_rndne_f32_e32 v47, v19
	v_fmac_f32_e32 v21, 0x32a5705f, v17
	v_sub_f32_e32 v19, v19, v47
	v_add_f32_e32 v19, v19, v21
	v_exp_f32_e32 v19, v19
	v_cvt_i32_f32_e32 v21, v47
	v_cmp_le_i32_e64 s[0:1], s37, v46
	v_cmp_gt_i32_e64 s[2:3], s38, v46
	s_and_b64 s[2:3], s[0:1], s[2:3]
	v_ldexp_f32 v19, v19, v21
	v_cmp_ngt_f32_e64 s[0:1], s52, v17
	v_ashrrev_i32_e32 v21, 31, v20
	v_cndmask_b32_e64 v19, 0, v19, s[0:1]
	v_cmp_nlt_f32_e64 s[0:1], s53, v17
	v_lshlrev_b64 v[48:49], 2, v[20:21]
	v_cndmask_b32_e64 v47, v43, v19, s[0:1]
	v_mov_b32_e32 v17, s35
	v_add_co_u32_e64 v48, s[0:1], s34, v48
	v_addc_co_u32_e64 v49, s[0:1], v17, v49, s[0:1]
	v_ashrrev_i32_e32 v19, 31, v18
	global_store_dword v[48:49], v47, off
	v_subrev_u32_e32 v17, s37, v46
	s_and_b64 s[0:1], s[44:45], s[2:3]
	v_lshlrev_b64 v[48:49], 2, v[18:19]
	v_cndmask_b32_e64 v17, v44, v17, s[0:1]
	s_waitcnt lgkmcnt(0)
	v_mov_b32_e32 v19, s41
	v_add_co_u32_e64 v48, s[0:1], s40, v48
	v_addc_co_u32_e64 v49, s[0:1], v19, v49, s[0:1]
	global_store_dword v[48:49], v17, off
	v_ashrrev_i32_e32 v17, 31, v16
	v_lshlrev_b64 v[48:49], 2, v[16:17]
	v_mov_b32_e32 v17, s43
	v_add_co_u32_e64 v48, s[0:1], s42, v48
	v_addc_co_u32_e64 v49, s[0:1], v17, v49, s[0:1]
	v_add_f32_e32 v40, v40, v47
	global_store_dword v[48:49], v42, off
.LBB176_14:                             ;   in Loop: Header=BB176_12 Depth=1
	s_or_b64 exec, exec, s[4:5]
	v_ashrrev_i32_e32 v19, 31, v46
	v_lshrrev_b32_e32 v17, 28, v19
	v_add_u32_e32 v17, v46, v17
	v_ashrrev_i32_e32 v17, 4, v17
	v_lshrrev_b32_e32 v21, 29, v17
	v_add_u32_e32 v21, v17, v21
	v_and_b32_e32 v21, -8, v21
	v_sub_u32_e32 v21, v17, v21
	v_cmp_eq_u32_e64 s[0:1], v23, v21
	s_and_saveexec_b64 s[48:49], s[0:1]
	s_cbranch_execz .LBB176_11
; %bb.15:                               ;   in Loop: Header=BB176_12 Depth=1
	v_lshrrev_b32_e32 v19, 25, v19
	v_add_u32_e32 v19, v46, v19
	v_lshlrev_b32_e32 v17, 4, v17
	v_sub_u32_e32 v17, v46, v17
	v_ashrrev_i32_e32 v19, 7, v19
	v_lshl_add_u32 v17, v19, 4, v17
	v_cmp_ne_u32_e64 s[0:1], 14, v17
	v_cmp_ne_u32_e64 s[2:3], 13, v17
	;; [unrolled: 1-line block ×16, first 2 shown]
	v_cndmask_b32_e64 v15, v45, v15, s[30:31]
	v_cndmask_b32_e64 v14, v45, v14, s[0:1]
	v_cndmask_b32_e64 v13, v45, v13, s[2:3]
	v_cndmask_b32_e64 v12, v45, v12, s[4:5]
	v_cndmask_b32_e64 v11, v45, v11, s[6:7]
	v_cndmask_b32_e64 v10, v45, v10, s[8:9]
	v_cndmask_b32_e64 v9, v45, v9, s[10:11]
	v_cndmask_b32_e64 v8, v45, v8, s[12:13]
	v_cndmask_b32_e64 v7, v45, v7, s[14:15]
	v_cndmask_b32_e64 v6, v45, v6, s[16:17]
	v_cndmask_b32_e64 v5, v45, v5, s[18:19]
	v_cndmask_b32_e64 v4, v45, v4, s[20:21]
	v_cndmask_b32_e64 v3, v45, v3, s[22:23]
	v_cndmask_b32_e64 v2, v45, v2, s[24:25]
	v_cndmask_b32_e64 v1, v45, v1, s[26:27]
	v_cndmask_b32_e64 v0, v45, v0, s[28:29]
	s_branch .LBB176_11
.LBB176_16:
	v_cmp_eq_u32_e32 vcc, 0, v23
	v_cmp_neq_f32_e64 s[0:1], 0, v40
	s_and_b64 s[0:1], vcc, s[0:1]
	s_and_b64 exec, exec, s[0:1]
	s_cbranch_execz .LBB176_27
; %bb.17:
	s_andn2_b64 vcc, exec, s[46:47]
	s_cbranch_vccnz .LBB176_27
; %bb.18:
	v_div_scale_f32 v0, s[0:1], v40, v40, 1.0
	v_rcp_f32_e32 v1, v0
	v_div_scale_f32 v2, vcc, 1.0, v40, 1.0
	s_cmp_gt_u32 s36, 3
	v_fma_f32 v3, -v0, v1, 1.0
	v_fmac_f32_e32 v1, v3, v1
	v_mul_f32_e32 v3, v2, v1
	v_fma_f32 v4, -v0, v3, v2
	v_fmac_f32_e32 v3, v4, v1
	v_fma_f32 v0, -v0, v3, v2
	v_div_fmas_f32 v0, v0, v1, v3
	v_mul_lo_u32 v2, v22, s39
	v_div_fixup_f32 v0, v0, v40, 1.0
	v_ashrrev_i32_e32 v3, 31, v2
	s_cbranch_scc0 .LBB176_22
; %bb.19:
	v_lshlrev_b64 v[4:5], 2, v[2:3]
	v_mov_b32_e32 v6, s35
	v_add_co_u32_e32 v4, vcc, s34, v4
	v_addc_co_u32_e32 v5, vcc, v5, v6, vcc
	s_and_b32 s4, s36, 0x7ffffffc
	v_add_co_u32_e32 v4, vcc, 8, v4
	v_mov_b32_e32 v1, v0
	v_addc_co_u32_e32 v5, vcc, 0, v5, vcc
	s_mov_b32 s0, s4
.LBB176_20:                             ; =>This Inner Loop Header: Depth=1
	global_load_dwordx4 v[6:9], v[4:5], off offset:-8
	s_add_i32 s0, s0, -4
	s_cmp_lg_u32 s0, 0
	s_waitcnt vmcnt(0)
	v_pk_mul_f32 v[6:7], v[0:1], v[6:7]
	v_pk_mul_f32 v[8:9], v[0:1], v[8:9]
	global_store_dwordx4 v[4:5], v[6:9], off offset:-8
	v_add_co_u32_e32 v4, vcc, 16, v4
	v_addc_co_u32_e32 v5, vcc, 0, v5, vcc
	s_cbranch_scc1 .LBB176_20
; %bb.21:
	s_cmp_lg_u32 s4, s36
	s_cselect_b64 s[0:1], -1, 0
	s_branch .LBB176_24
.LBB176_22:
	s_mov_b64 s[0:1], 0
                                        ; implicit-def: $sgpr4
	s_cbranch_execz .LBB176_24
; %bb.23:
	s_mov_b64 s[0:1], -1
	s_mov_b32 s4, 0
.LBB176_24:
	s_andn2_b64 vcc, exec, s[0:1]
	s_cbranch_vccnz .LBB176_27
; %bb.25:
	v_add_co_u32_e32 v2, vcc, s4, v2
	v_addc_co_u32_e32 v3, vcc, 0, v3, vcc
	v_lshlrev_b64 v[2:3], 2, v[2:3]
	v_mov_b32_e32 v1, s35
	v_add_co_u32_e32 v2, vcc, s34, v2
	s_sub_i32 s0, s36, s4
	v_addc_co_u32_e32 v3, vcc, v1, v3, vcc
.LBB176_26:                             ; =>This Inner Loop Header: Depth=1
	global_load_dword v1, v[2:3], off
	s_add_i32 s0, s0, -1
	s_cmp_lg_u32 s0, 0
	s_waitcnt vmcnt(0)
	v_mul_f32_e32 v1, v0, v1
	global_store_dword v[2:3], v1, off
	v_add_co_u32_e32 v2, vcc, 4, v2
	v_addc_co_u32_e32 v3, vcc, 0, v3, vcc
	s_cbranch_scc1 .LBB176_26
.LBB176_27:
	s_endpgm
	.section	.rodata,"a",@progbits
	.p2align	6, 0x0
	.amdhsa_kernel _ZN4vllm3moe17topkGatingSoftmaxIDF16_Li16ELi128ELi8ELi32ELb1ELi0ELNS0_23SharedExpertScoringFuncE0EEEvPKT_PKbPfiPiS9_iiiiii
		.amdhsa_group_segment_fixed_size 0
		.amdhsa_private_segment_fixed_size 0
		.amdhsa_kernarg_size 72
		.amdhsa_user_sgpr_count 6
		.amdhsa_user_sgpr_private_segment_buffer 1
		.amdhsa_user_sgpr_dispatch_ptr 0
		.amdhsa_user_sgpr_queue_ptr 0
		.amdhsa_user_sgpr_kernarg_segment_ptr 1
		.amdhsa_user_sgpr_dispatch_id 0
		.amdhsa_user_sgpr_flat_scratch_init 0
		.amdhsa_user_sgpr_kernarg_preload_length 0
		.amdhsa_user_sgpr_kernarg_preload_offset 0
		.amdhsa_user_sgpr_private_segment_size 0
		.amdhsa_uses_dynamic_stack 0
		.amdhsa_system_sgpr_private_segment_wavefront_offset 0
		.amdhsa_system_sgpr_workgroup_id_x 1
		.amdhsa_system_sgpr_workgroup_id_y 0
		.amdhsa_system_sgpr_workgroup_id_z 0
		.amdhsa_system_sgpr_workgroup_info 0
		.amdhsa_system_vgpr_workitem_id 1
		.amdhsa_next_free_vgpr 50
		.amdhsa_next_free_sgpr 54
		.amdhsa_accum_offset 52
		.amdhsa_reserve_vcc 1
		.amdhsa_reserve_flat_scratch 0
		.amdhsa_float_round_mode_32 0
		.amdhsa_float_round_mode_16_64 0
		.amdhsa_float_denorm_mode_32 3
		.amdhsa_float_denorm_mode_16_64 3
		.amdhsa_dx10_clamp 1
		.amdhsa_ieee_mode 1
		.amdhsa_fp16_overflow 0
		.amdhsa_tg_split 0
		.amdhsa_exception_fp_ieee_invalid_op 0
		.amdhsa_exception_fp_denorm_src 0
		.amdhsa_exception_fp_ieee_div_zero 0
		.amdhsa_exception_fp_ieee_overflow 0
		.amdhsa_exception_fp_ieee_underflow 0
		.amdhsa_exception_fp_ieee_inexact 0
		.amdhsa_exception_int_div_zero 0
	.end_amdhsa_kernel
	.section	.text._ZN4vllm3moe17topkGatingSoftmaxIDF16_Li16ELi128ELi8ELi32ELb1ELi0ELNS0_23SharedExpertScoringFuncE0EEEvPKT_PKbPfiPiS9_iiiiii,"axG",@progbits,_ZN4vllm3moe17topkGatingSoftmaxIDF16_Li16ELi128ELi8ELi32ELb1ELi0ELNS0_23SharedExpertScoringFuncE0EEEvPKT_PKbPfiPiS9_iiiiii,comdat
.Lfunc_end176:
	.size	_ZN4vllm3moe17topkGatingSoftmaxIDF16_Li16ELi128ELi8ELi32ELb1ELi0ELNS0_23SharedExpertScoringFuncE0EEEvPKT_PKbPfiPiS9_iiiiii, .Lfunc_end176-_ZN4vllm3moe17topkGatingSoftmaxIDF16_Li16ELi128ELi8ELi32ELb1ELi0ELNS0_23SharedExpertScoringFuncE0EEEvPKT_PKbPfiPiS9_iiiiii
                                        ; -- End function
	.section	.AMDGPU.csdata,"",@progbits
; Kernel info:
; codeLenInByte = 3080
; NumSgprs: 58
; NumVgprs: 50
; NumAgprs: 0
; TotalNumVgprs: 50
; ScratchSize: 0
; MemoryBound: 0
; FloatMode: 240
; IeeeMode: 1
; LDSByteSize: 0 bytes/workgroup (compile time only)
; SGPRBlocks: 7
; VGPRBlocks: 6
; NumSGPRsForWavesPerEU: 58
; NumVGPRsForWavesPerEU: 50
; AccumOffset: 52
; Occupancy: 8
; WaveLimiterHint : 0
; COMPUTE_PGM_RSRC2:SCRATCH_EN: 0
; COMPUTE_PGM_RSRC2:USER_SGPR: 6
; COMPUTE_PGM_RSRC2:TRAP_HANDLER: 0
; COMPUTE_PGM_RSRC2:TGID_X_EN: 1
; COMPUTE_PGM_RSRC2:TGID_Y_EN: 0
; COMPUTE_PGM_RSRC2:TGID_Z_EN: 0
; COMPUTE_PGM_RSRC2:TIDIG_COMP_CNT: 1
; COMPUTE_PGM_RSRC3_GFX90A:ACCUM_OFFSET: 12
; COMPUTE_PGM_RSRC3_GFX90A:TG_SPLIT: 0
	.section	.text._ZN4vllm3moe17topkGatingSoftmaxIDF16_Li16ELi128ELi8ELi32ELb0ELi0ELNS0_23SharedExpertScoringFuncE0EEEvPKT_PKbPfiPiS9_iiiiii,"axG",@progbits,_ZN4vllm3moe17topkGatingSoftmaxIDF16_Li16ELi128ELi8ELi32ELb0ELi0ELNS0_23SharedExpertScoringFuncE0EEEvPKT_PKbPfiPiS9_iiiiii,comdat
	.protected	_ZN4vllm3moe17topkGatingSoftmaxIDF16_Li16ELi128ELi8ELi32ELb0ELi0ELNS0_23SharedExpertScoringFuncE0EEEvPKT_PKbPfiPiS9_iiiiii ; -- Begin function _ZN4vllm3moe17topkGatingSoftmaxIDF16_Li16ELi128ELi8ELi32ELb0ELi0ELNS0_23SharedExpertScoringFuncE0EEEvPKT_PKbPfiPiS9_iiiiii
	.globl	_ZN4vllm3moe17topkGatingSoftmaxIDF16_Li16ELi128ELi8ELi32ELb0ELi0ELNS0_23SharedExpertScoringFuncE0EEEvPKT_PKbPfiPiS9_iiiiii
	.p2align	8
	.type	_ZN4vllm3moe17topkGatingSoftmaxIDF16_Li16ELi128ELi8ELi32ELb0ELi0ELNS0_23SharedExpertScoringFuncE0EEEvPKT_PKbPfiPiS9_iiiiii,@function
_ZN4vllm3moe17topkGatingSoftmaxIDF16_Li16ELi128ELi8ELi32ELb0ELi0ELNS0_23SharedExpertScoringFuncE0EEEvPKT_PKbPfiPiS9_iiiiii: ; @_ZN4vllm3moe17topkGatingSoftmaxIDF16_Li16ELi128ELi8ELi32ELb0ELi0ELNS0_23SharedExpertScoringFuncE0EEEvPKT_PKbPfiPiS9_iiiiii
; %bb.0:
	s_load_dword s33, s[4:5], 0x18
	v_bfe_u32 v1, v0, 10, 10
	v_and_b32_e32 v0, 0x3ff, v0
	s_lshl_b32 s50, s6, 6
	v_lshlrev_b32_e32 v42, 3, v1
	v_lshrrev_b32_e32 v43, 3, v0
	v_add3_u32 v22, s50, v42, v43
	s_waitcnt lgkmcnt(0)
	v_cmp_gt_i32_e32 vcc, s33, v22
	s_and_saveexec_b64 s[0:1], vcc
	s_cbranch_execz .LBB177_29
; %bb.1:
	s_load_dwordx4 s[0:3], s[4:5], 0x0
	s_load_dwordx2 s[34:35], s[4:5], 0x10
	s_waitcnt lgkmcnt(0)
	s_cmp_eq_u64 s[2:3], 0
	s_cbranch_scc1 .LBB177_3
; %bb.2:
	v_ashrrev_i32_e32 v1, 31, v22
	v_mov_b32_e32 v3, s3
	v_add_co_u32_e32 v2, vcc, s2, v22
	v_addc_co_u32_e32 v3, vcc, v3, v1, vcc
	global_load_ubyte v1, v[2:3], off
	s_waitcnt vmcnt(0)
	v_and_b32_e32 v1, 1, v1
	v_cmp_eq_u32_e32 vcc, 1, v1
	s_xor_b64 s[2:3], vcc, -1
	s_orn2_b64 s[46:47], s[2:3], exec
	s_branch .LBB177_4
.LBB177_3:
	s_mov_b64 s[46:47], -1
.LBB177_4:
	s_load_dwordx2 s[6:7], s[4:5], 0x40
	s_load_dwordx4 s[36:39], s[4:5], 0x30
	v_mov_b32_e32 v1, s1
	v_and_b32_e32 v23, 7, v0
	v_lshlrev_b32_e32 v0, 5, v23
	s_waitcnt lgkmcnt(0)
	v_mul_lo_u32 v2, v22, s7
	v_ashrrev_i32_e32 v3, 31, v2
	v_lshlrev_b64 v[2:3], 1, v[2:3]
	v_add_co_u32_e32 v2, vcc, s0, v2
	v_addc_co_u32_e32 v1, vcc, v1, v3, vcc
	v_add_co_u32_e32 v8, vcc, v2, v0
	v_addc_co_u32_e32 v9, vcc, 0, v1, vcc
	global_load_dwordx4 v[4:7], v[8:9], off
	global_load_dwordx4 v[12:15], v[8:9], off offset:16
	v_lshlrev_b32_e32 v26, 4, v23
	v_or_b32_e32 v27, 1, v26
	v_or_b32_e32 v28, 2, v26
	;; [unrolled: 1-line block ×15, first 2 shown]
	v_mov_b32_e32 v25, 0
	s_waitcnt vmcnt(1)
	v_cvt_f32_f16_e32 v0, v4
	v_cvt_f32_f16_sdwa v1, v4 dst_sel:DWORD dst_unused:UNUSED_PAD src0_sel:WORD_1
	v_cvt_f32_f16_e32 v2, v5
	v_cmp_lt_f16_sdwa vcc, v4, v4 src0_sel:DWORD src1_sel:WORD_1
	v_cndmask_b32_e32 v3, v26, v27, vcc
	v_cndmask_b32_e32 v4, v0, v1, vcc
	v_cmp_lt_f32_e32 vcc, v4, v2
	v_cndmask_b32_e32 v10, v3, v28, vcc
	v_cvt_f32_f16_sdwa v3, v5 dst_sel:DWORD dst_unused:UNUSED_PAD src0_sel:WORD_1
	v_cndmask_b32_e32 v4, v4, v2, vcc
	s_waitcnt vmcnt(0)
	v_cvt_f32_f16_e32 v8, v12
	v_cvt_f32_f16_sdwa v9, v12 dst_sel:DWORD dst_unused:UNUSED_PAD src0_sel:WORD_1
	v_cmp_lt_f32_e32 vcc, v4, v3
	v_cndmask_b32_e32 v5, v10, v29, vcc
	v_cndmask_b32_e32 v10, v4, v3, vcc
	v_cvt_f32_f16_e32 v4, v6
	v_cmp_lt_f32_e32 vcc, v10, v4
	v_cndmask_b32_e32 v11, v5, v30, vcc
	v_cvt_f32_f16_sdwa v5, v6 dst_sel:DWORD dst_unused:UNUSED_PAD src0_sel:WORD_1
	v_cvt_f32_f16_e32 v6, v7
	v_cndmask_b32_e32 v10, v10, v4, vcc
	v_cvt_f32_f16_sdwa v7, v7 dst_sel:DWORD dst_unused:UNUSED_PAD src0_sel:WORD_1
	v_cmp_lt_f32_e32 vcc, v10, v5
	v_cndmask_b32_e32 v10, v10, v5, vcc
	v_cndmask_b32_e32 v11, v11, v31, vcc
	v_cmp_lt_f32_e32 vcc, v10, v6
	v_cndmask_b32_e32 v10, v10, v6, vcc
	v_cndmask_b32_e32 v11, v11, v32, vcc
	;; [unrolled: 3-line block ×4, first 2 shown]
	v_cmp_lt_f32_e32 vcc, v10, v9
	v_cndmask_b32_e32 v12, v10, v9, vcc
	v_cvt_f32_f16_e32 v10, v13
	v_cndmask_b32_e32 v11, v11, v35, vcc
	v_cmp_lt_f32_e32 vcc, v12, v10
	v_cndmask_b32_e32 v16, v11, v36, vcc
	v_cvt_f32_f16_sdwa v11, v13 dst_sel:DWORD dst_unused:UNUSED_PAD src0_sel:WORD_1
	v_cndmask_b32_e32 v12, v12, v10, vcc
	v_cmp_lt_f32_e32 vcc, v12, v11
	v_cndmask_b32_e32 v13, v16, v37, vcc
	v_cndmask_b32_e32 v16, v12, v11, vcc
	v_cvt_f32_f16_e32 v12, v14
	v_cmp_lt_f32_e32 vcc, v16, v12
	v_cndmask_b32_e32 v17, v13, v38, vcc
	v_cvt_f32_f16_sdwa v13, v14 dst_sel:DWORD dst_unused:UNUSED_PAD src0_sel:WORD_1
	v_cvt_f32_f16_e32 v14, v15
	v_cndmask_b32_e32 v16, v16, v12, vcc
	v_cvt_f32_f16_sdwa v15, v15 dst_sel:DWORD dst_unused:UNUSED_PAD src0_sel:WORD_1
	v_cmp_lt_f32_e32 vcc, v16, v13
	v_cndmask_b32_e32 v16, v16, v13, vcc
	v_cndmask_b32_e32 v17, v17, v39, vcc
	v_cmp_lt_f32_e32 vcc, v16, v14
	v_cndmask_b32_e32 v16, v16, v14, vcc
	v_cndmask_b32_e32 v17, v17, v40, vcc
	;; [unrolled: 3-line block ×3, first 2 shown]
	s_nop 0
	v_mov_b32_dpp v18, v17 quad_perm:[1,0,3,2] row_mask:0xf bank_mask:0xf
	v_mov_b32_dpp v19, v16 quad_perm:[1,0,3,2] row_mask:0xf bank_mask:0xf
	v_cmp_lt_i32_e32 vcc, v18, v17
	v_cmp_eq_f32_e64 s[2:3], v16, v19
	v_cmp_lt_f32_e64 s[0:1], v16, v19
	s_and_b64 s[2:3], s[2:3], vcc
	s_or_b64 vcc, s[0:1], s[2:3]
	v_cndmask_b32_e32 v16, v16, v19, vcc
	v_cndmask_b32_e32 v17, v17, v18, vcc
	s_nop 0
	v_mov_b32_dpp v18, v16 quad_perm:[2,3,0,1] row_mask:0xf bank_mask:0xf
	v_mov_b32_dpp v19, v17 quad_perm:[2,3,0,1] row_mask:0xf bank_mask:0xf
	v_cmp_eq_f32_e64 s[0:1], v16, v18
	v_cmp_lt_i32_e64 s[2:3], v19, v17
	v_cmp_lt_f32_e32 vcc, v16, v18
	s_and_b64 s[0:1], s[0:1], s[2:3]
	s_or_b64 vcc, vcc, s[0:1]
	v_cndmask_b32_e32 v18, v16, v18, vcc
	v_cndmask_b32_e32 v16, v17, v19, vcc
	s_nop 0
	v_mov_b32_dpp v19, v18 row_half_mirror row_mask:0xf bank_mask:0xf
	v_mov_b32_dpp v17, v16 row_half_mirror row_mask:0xf bank_mask:0xf
	v_cmp_eq_f32_e64 s[0:1], v18, v19
	v_cmp_lt_i32_e64 s[2:3], v17, v16
	v_cmp_lt_f32_e32 vcc, v18, v19
	s_and_b64 s[0:1], s[0:1], s[2:3]
	s_or_b64 s[0:1], vcc, s[0:1]
	s_cmp_gt_i32 s36, 0
	v_cndmask_b32_e64 v24, v18, v19, s[0:1]
	s_cselect_b64 s[44:45], -1, 0
	s_cmp_lt_i32 s36, 1
	v_cmp_eq_u32_e32 vcc, 0, v23
	s_cbranch_scc1 .LBB177_16
; %bb.5:
	s_load_dwordx4 s[40:43], s[4:5], 0x20
	v_cndmask_b32_e64 v44, v16, v17, s[0:1]
	v_mul_lo_u32 v20, v22, s39
	v_mul_lo_u32 v18, v22, s6
	;; [unrolled: 1-line block ×3, first 2 shown]
	v_mov_b32_e32 v25, 0
	s_and_saveexec_b64 s[4:5], vcc
	s_cbranch_execz .LBB177_7
; %bb.6:
	v_sub_f32_e32 v17, v24, v24
	v_mul_f32_e32 v19, 0x3fb8aa3b, v17
	s_mov_b32 s0, 0x3fb8aa3b
	v_rndne_f32_e32 v21, v19
	v_sub_f32_e32 v25, v19, v21
	v_fma_f32 v19, v17, s0, -v19
	v_fmac_f32_e32 v19, 0x32a5705f, v17
	v_add_f32_e32 v19, v25, v19
	v_exp_f32_e32 v19, v19
	v_cvt_i32_f32_e32 v21, v21
	v_cmp_le_i32_e64 s[0:1], s37, v44
	v_cmp_gt_i32_e64 s[2:3], s38, v44
	s_and_b64 s[2:3], s[0:1], s[2:3]
	s_mov_b32 s0, 0xc2ce8ed0
	v_ldexp_f32 v19, v19, v21
	v_cmp_ngt_f32_e64 s[0:1], s0, v17
	v_cndmask_b32_e64 v19, 0, v19, s[0:1]
	s_mov_b32 s0, 0x42b17218
	v_mov_b32_e32 v21, 0x7f800000
	v_cmp_nlt_f32_e64 s[0:1], s0, v17
	v_cndmask_b32_e64 v25, v21, v19, s[0:1]
	v_ashrrev_i32_e32 v21, 31, v20
	v_lshlrev_b64 v[46:47], 2, v[20:21]
	v_mov_b32_e32 v17, s35
	v_add_co_u32_e64 v46, s[0:1], s34, v46
	v_addc_co_u32_e64 v47, s[0:1], v17, v47, s[0:1]
	v_subrev_u32_e32 v17, s37, v44
	v_mov_b32_e32 v19, 0x80
	s_and_b64 s[0:1], s[46:47], s[2:3]
	v_cndmask_b32_e64 v17, v19, v17, s[0:1]
	v_ashrrev_i32_e32 v19, 31, v18
	global_store_dword v[46:47], v25, off
	v_lshlrev_b64 v[46:47], 2, v[18:19]
	s_waitcnt lgkmcnt(0)
	v_mov_b32_e32 v19, s41
	v_add_co_u32_e64 v46, s[0:1], s40, v46
	v_addc_co_u32_e64 v47, s[0:1], v19, v47, s[0:1]
	global_store_dword v[46:47], v17, off
	v_ashrrev_i32_e32 v17, 31, v16
	v_lshlrev_b64 v[46:47], 2, v[16:17]
	v_mov_b32_e32 v17, s43
	v_add_co_u32_e64 v46, s[0:1], s42, v46
	v_addc_co_u32_e64 v47, s[0:1], v17, v47, s[0:1]
	global_store_dword v[46:47], v22, off
.LBB177_7:
	s_or_b64 exec, exec, s[4:5]
	v_ashrrev_i32_e32 v19, 31, v44
	v_lshrrev_b32_e32 v17, 28, v19
	v_add_u32_e32 v17, v44, v17
	v_ashrrev_i32_e32 v17, 4, v17
	v_lshrrev_b32_e32 v21, 29, v17
	v_add_u32_e32 v21, v17, v21
	v_and_b32_e32 v21, -8, v21
	v_sub_u32_e32 v21, v17, v21
	v_cmp_eq_u32_e64 s[0:1], v23, v21
	s_and_saveexec_b64 s[48:49], s[0:1]
	s_cbranch_execz .LBB177_9
; %bb.8:
	v_lshrrev_b32_e32 v19, 25, v19
	v_add_u32_e32 v19, v44, v19
	v_lshlrev_b32_e32 v17, 4, v17
	v_sub_u32_e32 v17, v44, v17
	v_ashrrev_i32_e32 v19, 7, v19
	v_lshl_add_u32 v17, v19, 4, v17
	v_mov_b32_e32 v19, 0xff800000
	v_cmp_ne_u32_e64 s[0:1], 14, v17
	v_cmp_ne_u32_e64 s[2:3], 13, v17
	;; [unrolled: 1-line block ×16, first 2 shown]
	v_cndmask_b32_e64 v15, v19, v15, s[30:31]
	v_cndmask_b32_e64 v14, v19, v14, s[0:1]
	;; [unrolled: 1-line block ×16, first 2 shown]
.LBB177_9:
	s_or_b64 exec, exec, s[48:49]
	s_cmp_eq_u32 s36, 1
	s_cbranch_scc1 .LBB177_16
; %bb.10:
	s_add_i32 s50, s50, s33
	s_add_i32 s51, s36, -1
	v_add3_u32 v42, s50, v43, v42
	v_add_u32_e32 v16, 1, v16
	v_add_u32_e32 v18, 1, v18
	;; [unrolled: 1-line block ×3, first 2 shown]
	s_mov_b32 s50, 0x3fb8aa3b
	s_mov_b32 s52, 0xc2ce8ed0
	;; [unrolled: 1-line block ×3, first 2 shown]
	v_mov_b32_e32 v43, 0x7f800000
	v_mov_b32_e32 v44, 0x80
	;; [unrolled: 1-line block ×3, first 2 shown]
	s_branch .LBB177_12
.LBB177_11:                             ;   in Loop: Header=BB177_12 Depth=1
	s_or_b64 exec, exec, s[48:49]
	s_add_i32 s51, s51, -1
	v_add_u32_e32 v42, s33, v42
	v_add_u32_e32 v16, 1, v16
	;; [unrolled: 1-line block ×3, first 2 shown]
	s_cmp_eq_u32 s51, 0
	v_add_u32_e32 v20, 1, v20
	s_cbranch_scc1 .LBB177_16
.LBB177_12:                             ; =>This Inner Loop Header: Depth=1
	v_cmp_gt_f32_e64 s[0:1], v1, v0
	v_cndmask_b32_e64 v19, v0, v1, s[0:1]
	v_cndmask_b32_e64 v17, v26, v27, s[0:1]
	v_cmp_gt_f32_e64 s[0:1], v2, v19
	v_cndmask_b32_e64 v19, v19, v2, s[0:1]
	v_cndmask_b32_e64 v17, v17, v28, s[0:1]
	;; [unrolled: 3-line block ×15, first 2 shown]
	s_nop 0
	v_mov_b32_dpp v46, v17 quad_perm:[1,0,3,2] row_mask:0xf bank_mask:0xf
	v_mov_b32_dpp v21, v19 quad_perm:[1,0,3,2] row_mask:0xf bank_mask:0xf
	v_cmp_eq_f32_e64 s[2:3], v19, v21
	v_cmp_lt_i32_e64 s[4:5], v46, v17
	v_cmp_lt_f32_e64 s[0:1], v19, v21
	s_and_b64 s[2:3], s[2:3], s[4:5]
	s_or_b64 s[0:1], s[0:1], s[2:3]
	v_cndmask_b32_e64 v19, v19, v21, s[0:1]
	v_cndmask_b32_e64 v21, v17, v46, s[0:1]
	s_nop 0
	v_mov_b32_dpp v17, v19 quad_perm:[2,3,0,1] row_mask:0xf bank_mask:0xf
	v_mov_b32_dpp v46, v21 quad_perm:[2,3,0,1] row_mask:0xf bank_mask:0xf
	v_cmp_eq_f32_e64 s[2:3], v19, v17
	v_cmp_lt_i32_e64 s[4:5], v46, v21
	v_cmp_lt_f32_e64 s[0:1], v19, v17
	s_and_b64 s[2:3], s[2:3], s[4:5]
	s_or_b64 s[0:1], s[0:1], s[2:3]
	v_cndmask_b32_e64 v17, v19, v17, s[0:1]
	v_cndmask_b32_e64 v21, v21, v46, s[0:1]
	s_nop 0
	v_mov_b32_dpp v19, v17 row_half_mirror row_mask:0xf bank_mask:0xf
	v_mov_b32_dpp v46, v21 row_half_mirror row_mask:0xf bank_mask:0xf
	v_cmp_eq_f32_e64 s[2:3], v17, v19
	v_cmp_lt_i32_e64 s[4:5], v46, v21
	v_cmp_lt_f32_e64 s[0:1], v17, v19
	s_and_b64 s[2:3], s[2:3], s[4:5]
	s_or_b64 s[0:1], s[0:1], s[2:3]
	v_cndmask_b32_e64 v46, v21, v46, s[0:1]
	s_and_saveexec_b64 s[4:5], vcc
	s_cbranch_execz .LBB177_14
; %bb.13:                               ;   in Loop: Header=BB177_12 Depth=1
	v_cndmask_b32_e64 v17, v17, v19, s[0:1]
	v_sub_f32_e32 v17, v17, v24
	v_mul_f32_e32 v19, 0x3fb8aa3b, v17
	v_fma_f32 v21, v17, s50, -v19
	v_rndne_f32_e32 v47, v19
	v_fmac_f32_e32 v21, 0x32a5705f, v17
	v_sub_f32_e32 v19, v19, v47
	v_add_f32_e32 v19, v19, v21
	v_exp_f32_e32 v19, v19
	v_cvt_i32_f32_e32 v21, v47
	v_cmp_le_i32_e64 s[0:1], s37, v46
	v_cmp_gt_i32_e64 s[2:3], s38, v46
	s_and_b64 s[2:3], s[0:1], s[2:3]
	v_ldexp_f32 v19, v19, v21
	v_cmp_ngt_f32_e64 s[0:1], s52, v17
	v_ashrrev_i32_e32 v21, 31, v20
	v_cndmask_b32_e64 v19, 0, v19, s[0:1]
	v_cmp_nlt_f32_e64 s[0:1], s53, v17
	v_lshlrev_b64 v[48:49], 2, v[20:21]
	v_cndmask_b32_e64 v47, v43, v19, s[0:1]
	v_mov_b32_e32 v17, s35
	v_add_co_u32_e64 v48, s[0:1], s34, v48
	v_addc_co_u32_e64 v49, s[0:1], v17, v49, s[0:1]
	v_ashrrev_i32_e32 v19, 31, v18
	global_store_dword v[48:49], v47, off
	v_subrev_u32_e32 v17, s37, v46
	s_and_b64 s[0:1], s[46:47], s[2:3]
	v_lshlrev_b64 v[48:49], 2, v[18:19]
	v_cndmask_b32_e64 v17, v44, v17, s[0:1]
	s_waitcnt lgkmcnt(0)
	v_mov_b32_e32 v19, s41
	v_add_co_u32_e64 v48, s[0:1], s40, v48
	v_addc_co_u32_e64 v49, s[0:1], v19, v49, s[0:1]
	global_store_dword v[48:49], v17, off
	v_ashrrev_i32_e32 v17, 31, v16
	v_lshlrev_b64 v[48:49], 2, v[16:17]
	v_mov_b32_e32 v17, s43
	v_add_co_u32_e64 v48, s[0:1], s42, v48
	v_addc_co_u32_e64 v49, s[0:1], v17, v49, s[0:1]
	v_add_f32_e32 v25, v25, v47
	global_store_dword v[48:49], v42, off
.LBB177_14:                             ;   in Loop: Header=BB177_12 Depth=1
	s_or_b64 exec, exec, s[4:5]
	v_ashrrev_i32_e32 v19, 31, v46
	v_lshrrev_b32_e32 v17, 28, v19
	v_add_u32_e32 v17, v46, v17
	v_ashrrev_i32_e32 v17, 4, v17
	v_lshrrev_b32_e32 v21, 29, v17
	v_add_u32_e32 v21, v17, v21
	v_and_b32_e32 v21, -8, v21
	v_sub_u32_e32 v21, v17, v21
	v_cmp_eq_u32_e64 s[0:1], v23, v21
	s_and_saveexec_b64 s[48:49], s[0:1]
	s_cbranch_execz .LBB177_11
; %bb.15:                               ;   in Loop: Header=BB177_12 Depth=1
	v_lshrrev_b32_e32 v19, 25, v19
	v_add_u32_e32 v19, v46, v19
	v_lshlrev_b32_e32 v17, 4, v17
	v_sub_u32_e32 v17, v46, v17
	v_ashrrev_i32_e32 v19, 7, v19
	v_lshl_add_u32 v17, v19, 4, v17
	v_cmp_ne_u32_e64 s[0:1], 14, v17
	v_cmp_ne_u32_e64 s[2:3], 13, v17
	;; [unrolled: 1-line block ×16, first 2 shown]
	v_cndmask_b32_e64 v15, v45, v15, s[30:31]
	v_cndmask_b32_e64 v14, v45, v14, s[0:1]
	;; [unrolled: 1-line block ×16, first 2 shown]
	s_branch .LBB177_11
.LBB177_16:
	v_sub_f32_e32 v0, v0, v24
	s_mov_b32 s2, 0x3fb8aa3b
	v_mul_f32_e32 v16, 0x3fb8aa3b, v0
	v_fma_f32 v17, v0, s2, -v16
	v_rndne_f32_e32 v18, v16
	v_fmac_f32_e32 v17, 0x32a5705f, v0
	v_sub_f32_e32 v16, v16, v18
	v_add_f32_e32 v16, v16, v17
	v_exp_f32_e32 v16, v16
	v_cvt_i32_f32_e32 v17, v18
	v_sub_f32_e32 v1, v1, v24
	s_mov_b32 s4, 0xc2ce8ed0
	s_mov_b32 s3, 0x42b17218
	v_ldexp_f32 v16, v16, v17
	v_mul_f32_e32 v17, 0x3fb8aa3b, v1
	v_fma_f32 v18, v1, s2, -v17
	v_rndne_f32_e32 v19, v17
	v_fmac_f32_e32 v18, 0x32a5705f, v1
	v_sub_f32_e32 v17, v17, v19
	v_add_f32_e32 v17, v17, v18
	v_exp_f32_e32 v17, v17
	v_cvt_i32_f32_e32 v18, v19
	v_cmp_ngt_f32_e32 vcc, s4, v1
	v_cmp_ngt_f32_e64 s[0:1], s4, v0
	v_sub_f32_e32 v2, v2, v24
	v_ldexp_f32 v17, v17, v18
	v_cndmask_b32_e32 v17, 0, v17, vcc
	v_mov_b32_e32 v18, 0x7f800000
	v_cmp_nlt_f32_e32 vcc, s3, v1
	v_cndmask_b32_e64 v1, 0, v16, s[0:1]
	v_cmp_nlt_f32_e64 s[0:1], s3, v0
	v_cndmask_b32_e64 v0, v18, v1, s[0:1]
	v_cndmask_b32_e32 v1, v18, v17, vcc
	v_add_f32_e32 v0, v0, v1
	v_mul_f32_e32 v1, 0x3fb8aa3b, v2
	v_fma_f32 v16, v2, s2, -v1
	v_rndne_f32_e32 v17, v1
	v_fmac_f32_e32 v16, 0x32a5705f, v2
	v_sub_f32_e32 v1, v1, v17
	v_add_f32_e32 v1, v1, v16
	v_exp_f32_e32 v1, v1
	v_cvt_i32_f32_e32 v16, v17
	v_cmp_ngt_f32_e32 vcc, s4, v2
	v_sub_f32_e32 v3, v3, v24
	v_sub_f32_e32 v4, v4, v24
	v_ldexp_f32 v1, v1, v16
	v_cndmask_b32_e32 v1, 0, v1, vcc
	v_cmp_nlt_f32_e32 vcc, s3, v2
	v_cndmask_b32_e32 v1, v18, v1, vcc
	v_add_f32_e32 v0, v0, v1
	v_mul_f32_e32 v1, 0x3fb8aa3b, v3
	v_fma_f32 v2, v3, s2, -v1
	v_rndne_f32_e32 v16, v1
	v_fmac_f32_e32 v2, 0x32a5705f, v3
	v_sub_f32_e32 v1, v1, v16
	v_add_f32_e32 v1, v1, v2
	v_exp_f32_e32 v1, v1
	v_cvt_i32_f32_e32 v2, v16
	v_cmp_ngt_f32_e32 vcc, s4, v3
	v_sub_f32_e32 v5, v5, v24
	v_sub_f32_e32 v6, v6, v24
	v_ldexp_f32 v1, v1, v2
	v_cndmask_b32_e32 v1, 0, v1, vcc
	v_cmp_nlt_f32_e32 vcc, s3, v3
	;; [unrolled: 16-line block ×5, first 2 shown]
	v_cndmask_b32_e32 v1, v18, v1, vcc
	v_add_f32_e32 v0, v0, v1
	v_mul_f32_e32 v1, 0x3fb8aa3b, v7
	v_fma_f32 v2, v7, s2, -v1
	v_rndne_f32_e32 v3, v1
	v_fmac_f32_e32 v2, 0x32a5705f, v7
	v_sub_f32_e32 v1, v1, v3
	v_add_f32_e32 v1, v1, v2
	v_exp_f32_e32 v1, v1
	v_cvt_i32_f32_e32 v2, v3
	v_cmp_ngt_f32_e32 vcc, s4, v7
	v_ldexp_f32 v1, v1, v2
	v_mul_f32_e32 v2, 0x3fb8aa3b, v8
	v_fma_f32 v3, v8, s2, -v2
	v_rndne_f32_e32 v4, v2
	v_fmac_f32_e32 v3, 0x32a5705f, v8
	v_sub_f32_e32 v2, v2, v4
	v_add_f32_e32 v2, v2, v3
	v_exp_f32_e32 v2, v2
	v_cvt_i32_f32_e32 v3, v4
	v_cndmask_b32_e32 v1, 0, v1, vcc
	v_cmp_nlt_f32_e32 vcc, s3, v7
	v_cndmask_b32_e32 v1, v18, v1, vcc
	v_add_f32_e32 v0, v0, v1
	v_ldexp_f32 v1, v2, v3
	v_mul_f32_e32 v2, 0x3fb8aa3b, v9
	v_fma_f32 v3, v9, s2, -v2
	v_rndne_f32_e32 v4, v2
	v_fmac_f32_e32 v3, 0x32a5705f, v9
	v_sub_f32_e32 v2, v2, v4
	v_add_f32_e32 v2, v2, v3
	v_exp_f32_e32 v2, v2
	v_cvt_i32_f32_e32 v3, v4
	v_cmp_ngt_f32_e32 vcc, s4, v8
	v_cndmask_b32_e32 v1, 0, v1, vcc
	v_cmp_nlt_f32_e32 vcc, s3, v8
	v_cndmask_b32_e32 v1, v18, v1, vcc
	v_add_f32_e32 v0, v0, v1
	v_ldexp_f32 v1, v2, v3
	v_mul_f32_e32 v2, 0x3fb8aa3b, v10
	v_fma_f32 v3, v10, s2, -v2
	v_rndne_f32_e32 v4, v2
	v_fmac_f32_e32 v3, 0x32a5705f, v10
	v_sub_f32_e32 v2, v2, v4
	v_add_f32_e32 v2, v2, v3
	v_exp_f32_e32 v2, v2
	v_cvt_i32_f32_e32 v3, v4
	v_cmp_ngt_f32_e32 vcc, s4, v9
	;; [unrolled: 14-line block ×4, first 2 shown]
	v_cndmask_b32_e32 v1, 0, v1, vcc
	v_cmp_nlt_f32_e32 vcc, s3, v11
	v_cndmask_b32_e32 v1, v18, v1, vcc
	v_add_f32_e32 v0, v0, v1
	v_ldexp_f32 v1, v2, v3
	v_sub_f32_e32 v2, v13, v24
	v_mul_f32_e32 v3, 0x3fb8aa3b, v2
	v_fma_f32 v4, v2, s2, -v3
	v_rndne_f32_e32 v5, v3
	v_fmac_f32_e32 v4, 0x32a5705f, v2
	v_sub_f32_e32 v3, v3, v5
	v_add_f32_e32 v3, v3, v4
	v_exp_f32_e32 v3, v3
	v_cvt_i32_f32_e32 v4, v5
	v_cmp_ngt_f32_e32 vcc, s4, v12
	v_cndmask_b32_e32 v1, 0, v1, vcc
	v_cmp_nlt_f32_e32 vcc, s3, v12
	v_cndmask_b32_e32 v1, v18, v1, vcc
	v_add_f32_e32 v0, v0, v1
	v_ldexp_f32 v1, v3, v4
	v_sub_f32_e32 v3, v14, v24
	v_mul_f32_e32 v4, 0x3fb8aa3b, v3
	v_fma_f32 v5, v3, s2, -v4
	v_rndne_f32_e32 v6, v4
	v_fmac_f32_e32 v5, 0x32a5705f, v3
	v_sub_f32_e32 v4, v4, v6
	v_add_f32_e32 v4, v4, v5
	v_exp_f32_e32 v4, v4
	v_cvt_i32_f32_e32 v5, v6
	v_cmp_ngt_f32_e32 vcc, s4, v2
	v_cndmask_b32_e32 v1, 0, v1, vcc
	v_cmp_nlt_f32_e32 vcc, s3, v2
	v_cndmask_b32_e32 v1, v18, v1, vcc
	v_sub_f32_e32 v2, v15, v24
	v_add_f32_e32 v0, v0, v1
	v_ldexp_f32 v1, v4, v5
	v_mul_f32_e32 v4, 0x3fb8aa3b, v2
	v_fma_f32 v5, v2, s2, -v4
	v_rndne_f32_e32 v6, v4
	v_fmac_f32_e32 v5, 0x32a5705f, v2
	v_sub_f32_e32 v4, v4, v6
	v_add_f32_e32 v4, v4, v5
	v_exp_f32_e32 v4, v4
	v_cvt_i32_f32_e32 v5, v6
	v_cmp_ngt_f32_e32 vcc, s4, v3
	v_cndmask_b32_e32 v1, 0, v1, vcc
	v_cmp_nlt_f32_e32 vcc, s3, v3
	v_cndmask_b32_e32 v1, v18, v1, vcc
	v_add_f32_e32 v0, v0, v1
	v_ldexp_f32 v1, v4, v5
	v_cmp_ngt_f32_e32 vcc, s4, v2
	v_cndmask_b32_e32 v1, 0, v1, vcc
	v_cmp_nlt_f32_e32 vcc, s3, v2
	v_cndmask_b32_e32 v1, v18, v1, vcc
	v_add_f32_e32 v0, v0, v1
	v_cmp_eq_u32_e32 vcc, 0, v23
	s_nop 0
	v_mov_b32_dpp v1, v0 quad_perm:[1,0,3,2] row_mask:0xf bank_mask:0xf
	v_add_f32_e32 v0, v0, v1
	s_nop 1
	v_mov_b32_dpp v1, v0 quad_perm:[2,3,0,1] row_mask:0xf bank_mask:0xf
	v_add_f32_e32 v0, v0, v1
	s_nop 1
	v_mov_b32_dpp v1, v0 row_half_mirror row_mask:0xf bank_mask:0xf
	s_and_b64 exec, exec, vcc
	s_cbranch_execz .LBB177_29
; %bb.17:
	v_add_f32_e32 v0, v0, v1
	v_add_f32_e32 v0, v25, v0
	v_cmp_neq_f32_e32 vcc, 0, v0
	s_and_b64 exec, exec, vcc
	s_cbranch_execz .LBB177_29
; %bb.18:
	s_andn2_b64 vcc, exec, s[44:45]
	s_cbranch_vccnz .LBB177_29
; %bb.19:
	v_div_scale_f32 v1, s[0:1], v0, v0, 1.0
	v_rcp_f32_e32 v2, v1
	v_div_scale_f32 v3, vcc, 1.0, v0, 1.0
	s_cmp_gt_u32 s36, 3
	v_fma_f32 v4, -v1, v2, 1.0
	v_fmac_f32_e32 v2, v4, v2
	v_mul_f32_e32 v4, v3, v2
	v_fma_f32 v5, -v1, v4, v3
	v_fmac_f32_e32 v4, v5, v2
	v_fma_f32 v1, -v1, v4, v3
	v_div_fmas_f32 v1, v1, v2, v4
	v_mul_lo_u32 v2, v22, s39
	v_div_fixup_f32 v0, v1, v0, 1.0
	v_ashrrev_i32_e32 v3, 31, v2
	s_cbranch_scc0 .LBB177_23
; %bb.20:
	v_lshlrev_b64 v[4:5], 2, v[2:3]
	v_mov_b32_e32 v6, s35
	v_add_co_u32_e32 v4, vcc, s34, v4
	v_addc_co_u32_e32 v5, vcc, v5, v6, vcc
	s_and_b32 s4, s36, 0x7ffffffc
	v_add_co_u32_e32 v4, vcc, 8, v4
	v_mov_b32_e32 v1, v0
	v_addc_co_u32_e32 v5, vcc, 0, v5, vcc
	s_mov_b32 s0, s4
.LBB177_21:                             ; =>This Inner Loop Header: Depth=1
	global_load_dwordx4 v[6:9], v[4:5], off offset:-8
	s_add_i32 s0, s0, -4
	s_cmp_lg_u32 s0, 0
	s_waitcnt vmcnt(0)
	v_pk_mul_f32 v[6:7], v[0:1], v[6:7]
	v_pk_mul_f32 v[8:9], v[0:1], v[8:9]
	global_store_dwordx4 v[4:5], v[6:9], off offset:-8
	v_add_co_u32_e32 v4, vcc, 16, v4
	v_addc_co_u32_e32 v5, vcc, 0, v5, vcc
	s_cbranch_scc1 .LBB177_21
; %bb.22:
	s_cmp_lg_u32 s4, s36
	s_mov_b64 s[2:3], 0
	s_cselect_b64 s[0:1], -1, 0
	s_branch .LBB177_24
.LBB177_23:
	s_mov_b64 s[2:3], -1
	s_mov_b64 s[0:1], 0
                                        ; implicit-def: $sgpr4
.LBB177_24:
	s_and_b64 vcc, exec, s[2:3]
	s_cbranch_vccz .LBB177_26
; %bb.25:
	s_mov_b64 s[0:1], -1
	s_mov_b32 s4, 0
.LBB177_26:
	s_andn2_b64 vcc, exec, s[0:1]
	s_cbranch_vccnz .LBB177_29
; %bb.27:
	v_add_co_u32_e32 v2, vcc, s4, v2
	v_addc_co_u32_e32 v3, vcc, 0, v3, vcc
	v_lshlrev_b64 v[2:3], 2, v[2:3]
	v_mov_b32_e32 v1, s35
	v_add_co_u32_e32 v2, vcc, s34, v2
	s_sub_i32 s0, s36, s4
	v_addc_co_u32_e32 v3, vcc, v1, v3, vcc
.LBB177_28:                             ; =>This Inner Loop Header: Depth=1
	global_load_dword v1, v[2:3], off
	s_add_i32 s0, s0, -1
	s_cmp_lg_u32 s0, 0
	s_waitcnt vmcnt(0)
	v_mul_f32_e32 v1, v0, v1
	global_store_dword v[2:3], v1, off
	v_add_co_u32_e32 v2, vcc, 4, v2
	v_addc_co_u32_e32 v3, vcc, 0, v3, vcc
	s_cbranch_scc1 .LBB177_28
.LBB177_29:
	s_endpgm
	.section	.rodata,"a",@progbits
	.p2align	6, 0x0
	.amdhsa_kernel _ZN4vllm3moe17topkGatingSoftmaxIDF16_Li16ELi128ELi8ELi32ELb0ELi0ELNS0_23SharedExpertScoringFuncE0EEEvPKT_PKbPfiPiS9_iiiiii
		.amdhsa_group_segment_fixed_size 0
		.amdhsa_private_segment_fixed_size 0
		.amdhsa_kernarg_size 72
		.amdhsa_user_sgpr_count 6
		.amdhsa_user_sgpr_private_segment_buffer 1
		.amdhsa_user_sgpr_dispatch_ptr 0
		.amdhsa_user_sgpr_queue_ptr 0
		.amdhsa_user_sgpr_kernarg_segment_ptr 1
		.amdhsa_user_sgpr_dispatch_id 0
		.amdhsa_user_sgpr_flat_scratch_init 0
		.amdhsa_user_sgpr_kernarg_preload_length 0
		.amdhsa_user_sgpr_kernarg_preload_offset 0
		.amdhsa_user_sgpr_private_segment_size 0
		.amdhsa_uses_dynamic_stack 0
		.amdhsa_system_sgpr_private_segment_wavefront_offset 0
		.amdhsa_system_sgpr_workgroup_id_x 1
		.amdhsa_system_sgpr_workgroup_id_y 0
		.amdhsa_system_sgpr_workgroup_id_z 0
		.amdhsa_system_sgpr_workgroup_info 0
		.amdhsa_system_vgpr_workitem_id 1
		.amdhsa_next_free_vgpr 50
		.amdhsa_next_free_sgpr 54
		.amdhsa_accum_offset 52
		.amdhsa_reserve_vcc 1
		.amdhsa_reserve_flat_scratch 0
		.amdhsa_float_round_mode_32 0
		.amdhsa_float_round_mode_16_64 0
		.amdhsa_float_denorm_mode_32 3
		.amdhsa_float_denorm_mode_16_64 3
		.amdhsa_dx10_clamp 1
		.amdhsa_ieee_mode 1
		.amdhsa_fp16_overflow 0
		.amdhsa_tg_split 0
		.amdhsa_exception_fp_ieee_invalid_op 0
		.amdhsa_exception_fp_denorm_src 0
		.amdhsa_exception_fp_ieee_div_zero 0
		.amdhsa_exception_fp_ieee_overflow 0
		.amdhsa_exception_fp_ieee_underflow 0
		.amdhsa_exception_fp_ieee_inexact 0
		.amdhsa_exception_int_div_zero 0
	.end_amdhsa_kernel
	.section	.text._ZN4vllm3moe17topkGatingSoftmaxIDF16_Li16ELi128ELi8ELi32ELb0ELi0ELNS0_23SharedExpertScoringFuncE0EEEvPKT_PKbPfiPiS9_iiiiii,"axG",@progbits,_ZN4vllm3moe17topkGatingSoftmaxIDF16_Li16ELi128ELi8ELi32ELb0ELi0ELNS0_23SharedExpertScoringFuncE0EEEvPKT_PKbPfiPiS9_iiiiii,comdat
.Lfunc_end177:
	.size	_ZN4vllm3moe17topkGatingSoftmaxIDF16_Li16ELi128ELi8ELi32ELb0ELi0ELNS0_23SharedExpertScoringFuncE0EEEvPKT_PKbPfiPiS9_iiiiii, .Lfunc_end177-_ZN4vllm3moe17topkGatingSoftmaxIDF16_Li16ELi128ELi8ELi32ELb0ELi0ELNS0_23SharedExpertScoringFuncE0EEEvPKT_PKbPfiPiS9_iiiiii
                                        ; -- End function
	.section	.AMDGPU.csdata,"",@progbits
; Kernel info:
; codeLenInByte = 4404
; NumSgprs: 58
; NumVgprs: 50
; NumAgprs: 0
; TotalNumVgprs: 50
; ScratchSize: 0
; MemoryBound: 0
; FloatMode: 240
; IeeeMode: 1
; LDSByteSize: 0 bytes/workgroup (compile time only)
; SGPRBlocks: 7
; VGPRBlocks: 6
; NumSGPRsForWavesPerEU: 58
; NumVGPRsForWavesPerEU: 50
; AccumOffset: 52
; Occupancy: 8
; WaveLimiterHint : 0
; COMPUTE_PGM_RSRC2:SCRATCH_EN: 0
; COMPUTE_PGM_RSRC2:USER_SGPR: 6
; COMPUTE_PGM_RSRC2:TRAP_HANDLER: 0
; COMPUTE_PGM_RSRC2:TGID_X_EN: 1
; COMPUTE_PGM_RSRC2:TGID_Y_EN: 0
; COMPUTE_PGM_RSRC2:TGID_Z_EN: 0
; COMPUTE_PGM_RSRC2:TIDIG_COMP_CNT: 1
; COMPUTE_PGM_RSRC3_GFX90A:ACCUM_OFFSET: 12
; COMPUTE_PGM_RSRC3_GFX90A:TG_SPLIT: 0
	.section	.text._ZN4vllm3moe17topkGatingSoftmaxIDF16_Li16ELi128ELi8ELi32ELb1ELi1ELNS0_23SharedExpertScoringFuncE1EEEvPKT_PKbPfiPiS9_iiiiii,"axG",@progbits,_ZN4vllm3moe17topkGatingSoftmaxIDF16_Li16ELi128ELi8ELi32ELb1ELi1ELNS0_23SharedExpertScoringFuncE1EEEvPKT_PKbPfiPiS9_iiiiii,comdat
	.protected	_ZN4vllm3moe17topkGatingSoftmaxIDF16_Li16ELi128ELi8ELi32ELb1ELi1ELNS0_23SharedExpertScoringFuncE1EEEvPKT_PKbPfiPiS9_iiiiii ; -- Begin function _ZN4vllm3moe17topkGatingSoftmaxIDF16_Li16ELi128ELi8ELi32ELb1ELi1ELNS0_23SharedExpertScoringFuncE1EEEvPKT_PKbPfiPiS9_iiiiii
	.globl	_ZN4vllm3moe17topkGatingSoftmaxIDF16_Li16ELi128ELi8ELi32ELb1ELi1ELNS0_23SharedExpertScoringFuncE1EEEvPKT_PKbPfiPiS9_iiiiii
	.p2align	8
	.type	_ZN4vllm3moe17topkGatingSoftmaxIDF16_Li16ELi128ELi8ELi32ELb1ELi1ELNS0_23SharedExpertScoringFuncE1EEEvPKT_PKbPfiPiS9_iiiiii,@function
_ZN4vllm3moe17topkGatingSoftmaxIDF16_Li16ELi128ELi8ELi32ELb1ELi1ELNS0_23SharedExpertScoringFuncE1EEEvPKT_PKbPfiPiS9_iiiiii: ; @_ZN4vllm3moe17topkGatingSoftmaxIDF16_Li16ELi128ELi8ELi32ELb1ELi1ELNS0_23SharedExpertScoringFuncE1EEEvPKT_PKbPfiPiS9_iiiiii
; %bb.0:
	s_load_dword s33, s[4:5], 0x18
	v_bfe_u32 v1, v0, 10, 10
	v_and_b32_e32 v2, 0x3ff, v0
	s_lshl_b32 s50, s6, 6
	v_lshlrev_b32_e32 v41, 3, v1
	v_lshrrev_b32_e32 v42, 3, v2
	v_add3_u32 v22, s50, v41, v42
	s_waitcnt lgkmcnt(0)
	v_cmp_gt_i32_e32 vcc, s33, v22
	s_and_saveexec_b64 s[0:1], vcc
	s_cbranch_execz .LBB178_29
; %bb.1:
	s_load_dwordx4 s[0:3], s[4:5], 0x0
	s_load_dwordx2 s[34:35], s[4:5], 0x10
	s_waitcnt lgkmcnt(0)
	s_cmp_eq_u64 s[2:3], 0
	s_cbranch_scc1 .LBB178_3
; %bb.2:
	v_ashrrev_i32_e32 v1, 31, v22
	v_mov_b32_e32 v3, s3
	v_add_co_u32_e32 v0, vcc, s2, v22
	v_addc_co_u32_e32 v1, vcc, v3, v1, vcc
	global_load_ubyte v0, v[0:1], off
	s_waitcnt vmcnt(0)
	v_and_b32_e32 v0, 1, v0
	v_cmp_eq_u32_e32 vcc, 1, v0
	s_xor_b64 s[2:3], vcc, -1
	s_orn2_b64 s[44:45], s[2:3], exec
	s_branch .LBB178_4
.LBB178_3:
	s_mov_b64 s[44:45], -1
.LBB178_4:
	s_load_dwordx2 s[8:9], s[4:5], 0x40
	s_load_dwordx4 s[36:39], s[4:5], 0x30
	v_mov_b32_e32 v3, s1
	v_and_b32_e32 v23, 7, v2
	v_lshlrev_b32_e32 v2, 5, v23
	s_waitcnt lgkmcnt(0)
	v_mul_lo_u32 v0, v22, s9
	v_ashrrev_i32_e32 v1, 31, v0
	v_lshlrev_b64 v[0:1], 1, v[0:1]
	v_add_co_u32_e32 v0, vcc, s0, v0
	v_addc_co_u32_e32 v1, vcc, v3, v1, vcc
	v_add_co_u32_e32 v2, vcc, v0, v2
	v_addc_co_u32_e32 v3, vcc, 0, v1, vcc
	global_load_dwordx4 v[12:15], v[2:3], off offset:16
	global_load_dwordx4 v[4:7], v[2:3], off
	v_lshlrev_b32_e32 v25, 4, v23
	v_mov_b32_e32 v24, 0
	v_cmp_eq_u32_e64 s[0:1], 0, v23
	s_and_saveexec_b64 s[2:3], s[0:1]
	s_cbranch_execz .LBB178_6
; %bb.5:
	global_load_ushort v0, v[0:1], off offset:256
	s_mov_b32 s6, 0x3fb8aa3b
	s_mov_b32 s7, 0x32a5705f
	;; [unrolled: 1-line block ×4, first 2 shown]
	v_mov_b32_e32 v3, 0x7f800000
	v_mul_lo_u32 v1, v22, s39
	s_waitcnt vmcnt(0)
	v_cvt_f32_f16_e64 v2, -v0
	v_mul_f32_e32 v8, 0x3fb8aa3b, v2
	v_rndne_f32_e32 v9, v8
	v_fma_mix_f32 v10, -v0, s6, -v8 op_sel_hi:[1,0,0]
	v_sub_f32_e32 v8, v8, v9
	v_fma_mix_f32 v0, -v0, s7, v10 op_sel_hi:[1,0,0]
	v_add_f32_e32 v0, v8, v0
	v_cvt_i32_f32_e32 v9, v9
	v_exp_f32_e32 v8, v0
	v_cmp_ngt_f32_e32 vcc, s9, v2
	v_add_u32_e32 v0, s36, v1
	v_ashrrev_i32_e32 v1, 31, v0
	v_ldexp_f32 v8, v8, v9
	v_cndmask_b32_e32 v8, 0, v8, vcc
	v_cmp_nlt_f32_e32 vcc, s10, v2
	v_cndmask_b32_e32 v2, v3, v8, vcc
	v_add_f32_e32 v2, 1.0, v2
	v_div_scale_f32 v3, s[6:7], v2, v2, 1.0
	v_rcp_f32_e32 v8, v3
	v_div_scale_f32 v9, vcc, 1.0, v2, 1.0
	v_lshlrev_b64 v[0:1], 2, v[0:1]
	v_fma_f32 v11, -v3, v8, 1.0
	v_fmac_f32_e32 v8, v11, v8
	v_mul_f32_e32 v11, v9, v8
	v_fma_f32 v16, -v3, v11, v9
	v_fmac_f32_e32 v11, v16, v8
	v_fma_f32 v3, -v3, v11, v9
	v_mov_b32_e32 v10, s35
	v_div_fmas_f32 v3, v3, v8, v11
	v_add_co_u32_e32 v0, vcc, s34, v0
	v_div_fixup_f32 v2, v3, v2, 1.0
	v_addc_co_u32_e32 v1, vcc, v10, v1, vcc
	global_store_dword v[0:1], v2, off
.LBB178_6:
	s_or_b64 exec, exec, s[2:3]
	s_waitcnt vmcnt(0)
	v_cvt_f32_f16_e32 v0, v4
	v_cvt_f32_f16_sdwa v1, v4 dst_sel:DWORD dst_unused:UNUSED_PAD src0_sel:WORD_1
	v_cvt_f32_f16_e32 v2, v5
	v_cmp_lt_f16_sdwa vcc, v4, v4 src0_sel:DWORD src1_sel:WORD_1
	v_or_b32_e32 v26, 1, v25
	v_cndmask_b32_e32 v4, v0, v1, vcc
	v_cndmask_b32_e32 v3, v25, v26, vcc
	v_or_b32_e32 v27, 2, v25
	v_cmp_lt_f32_e32 vcc, v4, v2
	v_cndmask_b32_e32 v8, v3, v27, vcc
	v_cvt_f32_f16_sdwa v3, v5 dst_sel:DWORD dst_unused:UNUSED_PAD src0_sel:WORD_1
	v_cndmask_b32_e32 v4, v4, v2, vcc
	v_or_b32_e32 v28, 3, v25
	v_or_b32_e32 v29, 4, v25
	v_cmp_lt_f32_e32 vcc, v4, v3
	v_cndmask_b32_e32 v5, v8, v28, vcc
	v_cndmask_b32_e32 v8, v4, v3, vcc
	v_cvt_f32_f16_e32 v4, v6
	v_or_b32_e32 v30, 5, v25
	v_or_b32_e32 v31, 6, v25
	;; [unrolled: 1-line block ×3, first 2 shown]
	v_cmp_lt_f32_e32 vcc, v8, v4
	v_cndmask_b32_e32 v9, v5, v29, vcc
	v_cvt_f32_f16_sdwa v5, v6 dst_sel:DWORD dst_unused:UNUSED_PAD src0_sel:WORD_1
	v_cvt_f32_f16_e32 v6, v7
	v_cndmask_b32_e32 v8, v8, v4, vcc
	v_cvt_f32_f16_sdwa v7, v7 dst_sel:DWORD dst_unused:UNUSED_PAD src0_sel:WORD_1
	v_cmp_lt_f32_e32 vcc, v8, v5
	v_cndmask_b32_e32 v8, v8, v5, vcc
	v_cndmask_b32_e32 v9, v9, v30, vcc
	v_cmp_lt_f32_e32 vcc, v8, v6
	v_cndmask_b32_e32 v8, v8, v6, vcc
	v_cndmask_b32_e32 v9, v9, v31, vcc
	v_cmp_lt_f32_e32 vcc, v8, v7
	v_cndmask_b32_e32 v10, v8, v7, vcc
	v_cvt_f32_f16_e32 v8, v12
	v_cndmask_b32_e32 v9, v9, v32, vcc
	v_or_b32_e32 v33, 8, v25
	v_or_b32_e32 v34, 9, v25
	v_cmp_lt_f32_e32 vcc, v10, v8
	v_cndmask_b32_e32 v11, v9, v33, vcc
	v_cvt_f32_f16_sdwa v9, v12 dst_sel:DWORD dst_unused:UNUSED_PAD src0_sel:WORD_1
	v_cndmask_b32_e32 v10, v10, v8, vcc
	v_or_b32_e32 v35, 10, v25
	v_or_b32_e32 v36, 11, v25
	v_cmp_lt_f32_e32 vcc, v10, v9
	v_cndmask_b32_e32 v12, v10, v9, vcc
	v_cvt_f32_f16_e32 v10, v13
	v_cndmask_b32_e32 v11, v11, v34, vcc
	v_or_b32_e32 v37, 12, v25
	v_or_b32_e32 v38, 13, v25
	v_cmp_lt_f32_e32 vcc, v12, v10
	v_cndmask_b32_e32 v16, v11, v35, vcc
	v_cvt_f32_f16_sdwa v11, v13 dst_sel:DWORD dst_unused:UNUSED_PAD src0_sel:WORD_1
	v_cndmask_b32_e32 v12, v12, v10, vcc
	v_or_b32_e32 v39, 14, v25
	v_or_b32_e32 v40, 15, v25
	v_cmp_lt_f32_e32 vcc, v12, v11
	v_cndmask_b32_e32 v13, v16, v36, vcc
	v_cndmask_b32_e32 v16, v12, v11, vcc
	v_cvt_f32_f16_e32 v12, v14
	v_cmp_lt_f32_e32 vcc, v16, v12
	v_cndmask_b32_e32 v17, v13, v37, vcc
	v_cvt_f32_f16_sdwa v13, v14 dst_sel:DWORD dst_unused:UNUSED_PAD src0_sel:WORD_1
	v_cvt_f32_f16_e32 v14, v15
	v_cndmask_b32_e32 v16, v16, v12, vcc
	v_cvt_f32_f16_sdwa v15, v15 dst_sel:DWORD dst_unused:UNUSED_PAD src0_sel:WORD_1
	v_cmp_lt_f32_e32 vcc, v16, v13
	v_cndmask_b32_e32 v16, v16, v13, vcc
	v_cndmask_b32_e32 v17, v17, v38, vcc
	v_cmp_lt_f32_e32 vcc, v16, v14
	v_cndmask_b32_e32 v16, v16, v14, vcc
	v_cndmask_b32_e32 v17, v17, v39, vcc
	;; [unrolled: 3-line block ×3, first 2 shown]
	s_nop 0
	v_mov_b32_dpp v19, v17 quad_perm:[1,0,3,2] row_mask:0xf bank_mask:0xf
	v_mov_b32_dpp v18, v16 quad_perm:[1,0,3,2] row_mask:0xf bank_mask:0xf
	v_cmp_eq_f32_e64 s[2:3], v16, v18
	v_cmp_lt_i32_e64 s[6:7], v19, v17
	v_cmp_lt_f32_e32 vcc, v16, v18
	s_and_b64 s[2:3], s[2:3], s[6:7]
	s_or_b64 vcc, vcc, s[2:3]
	v_cndmask_b32_e32 v16, v16, v18, vcc
	v_cndmask_b32_e32 v17, v17, v19, vcc
	s_nop 0
	v_mov_b32_dpp v18, v16 quad_perm:[2,3,0,1] row_mask:0xf bank_mask:0xf
	v_mov_b32_dpp v19, v17 quad_perm:[2,3,0,1] row_mask:0xf bank_mask:0xf
	v_cmp_eq_f32_e64 s[2:3], v16, v18
	v_cmp_lt_i32_e64 s[6:7], v19, v17
	v_cmp_lt_f32_e32 vcc, v16, v18
	s_and_b64 s[2:3], s[2:3], s[6:7]
	s_or_b64 vcc, vcc, s[2:3]
	s_cmp_gt_i32 s36, 0
	v_cndmask_b32_e32 v16, v16, v18, vcc
	v_cndmask_b32_e32 v17, v17, v19, vcc
	s_cselect_b64 s[46:47], -1, 0
	s_and_b64 vcc, exec, s[46:47]
	v_mov_b32_dpp v18, v17 row_half_mirror row_mask:0xf bank_mask:0xf
	v_mov_b32_dpp v19, v16 row_half_mirror row_mask:0xf bank_mask:0xf
	s_cbranch_vccz .LBB178_18
; %bb.7:
	s_load_dwordx4 s[40:43], s[4:5], 0x20
	v_cmp_eq_f32_e64 s[2:3], v16, v19
	v_cmp_lt_i32_e64 s[6:7], v18, v17
	v_cmp_lt_f32_e32 vcc, v16, v19
	s_and_b64 s[2:3], s[2:3], s[6:7]
	s_or_b64 vcc, vcc, s[2:3]
	v_cndmask_b32_e32 v44, v17, v18, vcc
	v_cndmask_b32_e32 v43, v16, v19, vcc
	v_mul_lo_u32 v20, v22, s39
	v_mul_lo_u32 v18, v22, s8
	;; [unrolled: 1-line block ×3, first 2 shown]
	v_mov_b32_e32 v24, 0
	s_and_saveexec_b64 s[4:5], s[0:1]
	s_cbranch_execz .LBB178_9
; %bb.8:
	v_sub_f32_e32 v17, v43, v43
	v_mul_f32_e32 v19, 0x3fb8aa3b, v17
	s_mov_b32 s2, 0x3fb8aa3b
	v_rndne_f32_e32 v21, v19
	v_sub_f32_e32 v24, v19, v21
	v_fma_f32 v19, v17, s2, -v19
	v_fmac_f32_e32 v19, 0x32a5705f, v17
	v_add_f32_e32 v19, v24, v19
	v_exp_f32_e32 v19, v19
	v_cvt_i32_f32_e32 v21, v21
	v_cmp_le_i32_e32 vcc, s37, v44
	v_cmp_gt_i32_e64 s[2:3], s38, v44
	s_mov_b32 s6, 0xc2ce8ed0
	s_and_b64 s[2:3], vcc, s[2:3]
	v_ldexp_f32 v19, v19, v21
	v_cmp_ngt_f32_e32 vcc, s6, v17
	s_mov_b32 s6, 0x42b17218
	v_cndmask_b32_e32 v19, 0, v19, vcc
	v_mov_b32_e32 v21, 0x7f800000
	v_cmp_nlt_f32_e32 vcc, s6, v17
	v_cndmask_b32_e32 v24, v21, v19, vcc
	v_ashrrev_i32_e32 v21, 31, v20
	v_lshlrev_b64 v[46:47], 2, v[20:21]
	v_mov_b32_e32 v17, s35
	v_add_co_u32_e32 v46, vcc, s34, v46
	v_addc_co_u32_e32 v47, vcc, v17, v47, vcc
	v_subrev_u32_e32 v17, s37, v44
	v_mov_b32_e32 v19, 0x80
	s_and_b64 vcc, s[44:45], s[2:3]
	v_cndmask_b32_e32 v17, v19, v17, vcc
	v_ashrrev_i32_e32 v19, 31, v18
	global_store_dword v[46:47], v24, off
	v_lshlrev_b64 v[46:47], 2, v[18:19]
	s_waitcnt lgkmcnt(0)
	v_mov_b32_e32 v19, s41
	v_add_co_u32_e32 v46, vcc, s40, v46
	v_addc_co_u32_e32 v47, vcc, v19, v47, vcc
	global_store_dword v[46:47], v17, off
	v_ashrrev_i32_e32 v17, 31, v16
	v_lshlrev_b64 v[46:47], 2, v[16:17]
	v_mov_b32_e32 v17, s43
	v_add_co_u32_e32 v46, vcc, s42, v46
	v_addc_co_u32_e32 v47, vcc, v17, v47, vcc
	global_store_dword v[46:47], v22, off
.LBB178_9:
	s_or_b64 exec, exec, s[4:5]
	v_ashrrev_i32_e32 v19, 31, v44
	v_lshrrev_b32_e32 v17, 28, v19
	v_add_u32_e32 v17, v44, v17
	v_ashrrev_i32_e32 v17, 4, v17
	v_lshrrev_b32_e32 v21, 29, v17
	v_add_u32_e32 v21, v17, v21
	v_and_b32_e32 v21, -8, v21
	v_sub_u32_e32 v21, v17, v21
	v_cmp_eq_u32_e32 vcc, v23, v21
	s_and_saveexec_b64 s[48:49], vcc
	s_cbranch_execz .LBB178_11
; %bb.10:
	v_lshrrev_b32_e32 v19, 25, v19
	v_add_u32_e32 v19, v44, v19
	v_lshlrev_b32_e32 v17, 4, v17
	v_sub_u32_e32 v17, v44, v17
	v_ashrrev_i32_e32 v19, 7, v19
	v_lshl_add_u32 v17, v19, 4, v17
	v_mov_b32_e32 v19, 0xff800000
	v_cmp_ne_u32_e32 vcc, 14, v17
	v_cmp_ne_u32_e64 s[2:3], 13, v17
	v_cmp_ne_u32_e64 s[4:5], 12, v17
	;; [unrolled: 1-line block ×15, first 2 shown]
	v_cndmask_b32_e64 v15, v19, v15, s[30:31]
	v_cndmask_b32_e32 v14, v19, v14, vcc
	v_cndmask_b32_e64 v13, v19, v13, s[2:3]
	v_cndmask_b32_e64 v12, v19, v12, s[4:5]
	;; [unrolled: 1-line block ×14, first 2 shown]
.LBB178_11:
	s_or_b64 exec, exec, s[48:49]
	s_cmp_eq_u32 s36, 1
	s_cbranch_scc1 .LBB178_18
; %bb.12:
	s_add_i32 s50, s50, s33
	s_add_i32 s51, s36, -1
	v_add3_u32 v41, s50, v42, v41
	v_add_u32_e32 v16, 1, v16
	v_add_u32_e32 v18, 1, v18
	;; [unrolled: 1-line block ×3, first 2 shown]
	s_mov_b32 s50, 0x3fb8aa3b
	s_mov_b32 s52, 0xc2ce8ed0
	;; [unrolled: 1-line block ×3, first 2 shown]
	v_mov_b32_e32 v42, 0x7f800000
	v_mov_b32_e32 v44, 0x80
	;; [unrolled: 1-line block ×3, first 2 shown]
	s_branch .LBB178_14
.LBB178_13:                             ;   in Loop: Header=BB178_14 Depth=1
	s_or_b64 exec, exec, s[48:49]
	s_add_i32 s51, s51, -1
	v_add_u32_e32 v41, s33, v41
	v_add_u32_e32 v16, 1, v16
	;; [unrolled: 1-line block ×3, first 2 shown]
	s_cmp_eq_u32 s51, 0
	v_add_u32_e32 v20, 1, v20
	s_cbranch_scc1 .LBB178_18
.LBB178_14:                             ; =>This Inner Loop Header: Depth=1
	v_cmp_gt_f32_e32 vcc, v1, v0
	v_cndmask_b32_e32 v19, v0, v1, vcc
	v_cndmask_b32_e32 v17, v25, v26, vcc
	v_cmp_gt_f32_e32 vcc, v2, v19
	v_cndmask_b32_e32 v19, v19, v2, vcc
	v_cndmask_b32_e32 v17, v17, v27, vcc
	;; [unrolled: 3-line block ×15, first 2 shown]
	s_nop 0
	v_mov_b32_dpp v46, v17 quad_perm:[1,0,3,2] row_mask:0xf bank_mask:0xf
	v_mov_b32_dpp v21, v19 quad_perm:[1,0,3,2] row_mask:0xf bank_mask:0xf
	v_cmp_eq_f32_e64 s[2:3], v19, v21
	v_cmp_lt_i32_e64 s[4:5], v46, v17
	v_cmp_lt_f32_e32 vcc, v19, v21
	s_and_b64 s[2:3], s[2:3], s[4:5]
	s_or_b64 vcc, vcc, s[2:3]
	v_cndmask_b32_e32 v19, v19, v21, vcc
	v_cndmask_b32_e32 v21, v17, v46, vcc
	s_nop 0
	v_mov_b32_dpp v17, v19 quad_perm:[2,3,0,1] row_mask:0xf bank_mask:0xf
	v_mov_b32_dpp v46, v21 quad_perm:[2,3,0,1] row_mask:0xf bank_mask:0xf
	v_cmp_eq_f32_e64 s[2:3], v19, v17
	v_cmp_lt_i32_e64 s[4:5], v46, v21
	v_cmp_lt_f32_e32 vcc, v19, v17
	s_and_b64 s[2:3], s[2:3], s[4:5]
	s_or_b64 vcc, vcc, s[2:3]
	v_cndmask_b32_e32 v17, v19, v17, vcc
	v_cndmask_b32_e32 v21, v21, v46, vcc
	s_nop 0
	v_mov_b32_dpp v19, v17 row_half_mirror row_mask:0xf bank_mask:0xf
	v_mov_b32_dpp v46, v21 row_half_mirror row_mask:0xf bank_mask:0xf
	v_cmp_eq_f32_e64 s[2:3], v17, v19
	v_cmp_lt_i32_e64 s[4:5], v46, v21
	v_cmp_lt_f32_e32 vcc, v17, v19
	s_and_b64 s[2:3], s[2:3], s[4:5]
	s_or_b64 vcc, vcc, s[2:3]
	v_cndmask_b32_e32 v46, v21, v46, vcc
	s_and_saveexec_b64 s[4:5], s[0:1]
	s_cbranch_execz .LBB178_16
; %bb.15:                               ;   in Loop: Header=BB178_14 Depth=1
	v_cndmask_b32_e32 v17, v17, v19, vcc
	v_sub_f32_e32 v17, v17, v43
	v_mul_f32_e32 v19, 0x3fb8aa3b, v17
	v_fma_f32 v21, v17, s50, -v19
	v_rndne_f32_e32 v47, v19
	v_fmac_f32_e32 v21, 0x32a5705f, v17
	v_sub_f32_e32 v19, v19, v47
	v_add_f32_e32 v19, v19, v21
	v_exp_f32_e32 v19, v19
	v_cvt_i32_f32_e32 v21, v47
	v_cmp_le_i32_e32 vcc, s37, v46
	v_cmp_gt_i32_e64 s[2:3], s38, v46
	s_and_b64 s[2:3], vcc, s[2:3]
	v_ldexp_f32 v19, v19, v21
	v_cmp_ngt_f32_e32 vcc, s52, v17
	v_ashrrev_i32_e32 v21, 31, v20
	v_cndmask_b32_e32 v19, 0, v19, vcc
	v_cmp_nlt_f32_e32 vcc, s53, v17
	v_lshlrev_b64 v[48:49], 2, v[20:21]
	v_cndmask_b32_e32 v47, v42, v19, vcc
	v_mov_b32_e32 v17, s35
	v_add_co_u32_e32 v48, vcc, s34, v48
	v_addc_co_u32_e32 v49, vcc, v17, v49, vcc
	v_ashrrev_i32_e32 v19, 31, v18
	global_store_dword v[48:49], v47, off
	v_subrev_u32_e32 v17, s37, v46
	s_and_b64 vcc, s[44:45], s[2:3]
	v_lshlrev_b64 v[48:49], 2, v[18:19]
	v_cndmask_b32_e32 v17, v44, v17, vcc
	s_waitcnt lgkmcnt(0)
	v_mov_b32_e32 v19, s41
	v_add_co_u32_e32 v48, vcc, s40, v48
	v_addc_co_u32_e32 v49, vcc, v19, v49, vcc
	global_store_dword v[48:49], v17, off
	v_ashrrev_i32_e32 v17, 31, v16
	v_lshlrev_b64 v[48:49], 2, v[16:17]
	v_mov_b32_e32 v17, s43
	v_add_co_u32_e32 v48, vcc, s42, v48
	v_addc_co_u32_e32 v49, vcc, v17, v49, vcc
	v_add_f32_e32 v24, v24, v47
	global_store_dword v[48:49], v41, off
.LBB178_16:                             ;   in Loop: Header=BB178_14 Depth=1
	s_or_b64 exec, exec, s[4:5]
	v_ashrrev_i32_e32 v19, 31, v46
	v_lshrrev_b32_e32 v17, 28, v19
	v_add_u32_e32 v17, v46, v17
	v_ashrrev_i32_e32 v17, 4, v17
	v_lshrrev_b32_e32 v21, 29, v17
	v_add_u32_e32 v21, v17, v21
	v_and_b32_e32 v21, -8, v21
	v_sub_u32_e32 v21, v17, v21
	v_cmp_eq_u32_e32 vcc, v23, v21
	s_and_saveexec_b64 s[48:49], vcc
	s_cbranch_execz .LBB178_13
; %bb.17:                               ;   in Loop: Header=BB178_14 Depth=1
	v_lshrrev_b32_e32 v19, 25, v19
	v_add_u32_e32 v19, v46, v19
	v_lshlrev_b32_e32 v17, 4, v17
	v_sub_u32_e32 v17, v46, v17
	v_ashrrev_i32_e32 v19, 7, v19
	v_lshl_add_u32 v17, v19, 4, v17
	v_cmp_ne_u32_e32 vcc, 14, v17
	v_cmp_ne_u32_e64 s[2:3], 13, v17
	v_cmp_ne_u32_e64 s[4:5], 12, v17
	;; [unrolled: 1-line block ×15, first 2 shown]
	v_cndmask_b32_e64 v15, v45, v15, s[30:31]
	v_cndmask_b32_e32 v14, v45, v14, vcc
	v_cndmask_b32_e64 v13, v45, v13, s[2:3]
	v_cndmask_b32_e64 v12, v45, v12, s[4:5]
	;; [unrolled: 1-line block ×14, first 2 shown]
	s_branch .LBB178_13
.LBB178_18:
	v_cmp_neq_f32_e32 vcc, 0, v24
	s_and_b64 s[0:1], s[0:1], vcc
	s_and_b64 exec, exec, s[0:1]
	s_cbranch_execz .LBB178_29
; %bb.19:
	s_andn2_b64 vcc, exec, s[46:47]
	s_cbranch_vccnz .LBB178_29
; %bb.20:
	v_div_scale_f32 v0, s[0:1], v24, v24, 1.0
	v_rcp_f32_e32 v1, v0
	v_div_scale_f32 v2, vcc, 1.0, v24, 1.0
	s_cmp_gt_u32 s36, 3
	v_fma_f32 v3, -v0, v1, 1.0
	v_fmac_f32_e32 v1, v3, v1
	v_mul_f32_e32 v3, v2, v1
	v_fma_f32 v4, -v0, v3, v2
	v_fmac_f32_e32 v3, v4, v1
	v_fma_f32 v0, -v0, v3, v2
	v_div_fmas_f32 v0, v0, v1, v3
	v_mul_lo_u32 v2, v22, s39
	v_div_fixup_f32 v0, v0, v24, 1.0
	v_ashrrev_i32_e32 v3, 31, v2
	s_cbranch_scc0 .LBB178_24
; %bb.21:
	v_lshlrev_b64 v[4:5], 2, v[2:3]
	v_mov_b32_e32 v6, s35
	v_add_co_u32_e32 v4, vcc, s34, v4
	v_addc_co_u32_e32 v5, vcc, v5, v6, vcc
	s_and_b32 s4, s36, 0x7ffffffc
	v_add_co_u32_e32 v4, vcc, 8, v4
	v_mov_b32_e32 v1, v0
	v_addc_co_u32_e32 v5, vcc, 0, v5, vcc
	s_mov_b32 s0, s4
.LBB178_22:                             ; =>This Inner Loop Header: Depth=1
	global_load_dwordx4 v[6:9], v[4:5], off offset:-8
	s_add_i32 s0, s0, -4
	s_cmp_lg_u32 s0, 0
	s_waitcnt vmcnt(0)
	v_pk_mul_f32 v[6:7], v[0:1], v[6:7]
	v_pk_mul_f32 v[8:9], v[0:1], v[8:9]
	global_store_dwordx4 v[4:5], v[6:9], off offset:-8
	v_add_co_u32_e32 v4, vcc, 16, v4
	v_addc_co_u32_e32 v5, vcc, 0, v5, vcc
	s_cbranch_scc1 .LBB178_22
; %bb.23:
	s_cmp_lg_u32 s4, s36
	s_cselect_b64 s[0:1], -1, 0
	s_branch .LBB178_26
.LBB178_24:
	s_mov_b64 s[0:1], 0
                                        ; implicit-def: $sgpr4
	s_cbranch_execz .LBB178_26
; %bb.25:
	s_mov_b64 s[0:1], -1
	s_mov_b32 s4, 0
.LBB178_26:
	s_andn2_b64 vcc, exec, s[0:1]
	s_cbranch_vccnz .LBB178_29
; %bb.27:
	v_add_co_u32_e32 v2, vcc, s4, v2
	v_addc_co_u32_e32 v3, vcc, 0, v3, vcc
	v_lshlrev_b64 v[2:3], 2, v[2:3]
	v_mov_b32_e32 v1, s35
	v_add_co_u32_e32 v2, vcc, s34, v2
	s_sub_i32 s0, s36, s4
	v_addc_co_u32_e32 v3, vcc, v1, v3, vcc
.LBB178_28:                             ; =>This Inner Loop Header: Depth=1
	global_load_dword v1, v[2:3], off
	s_add_i32 s0, s0, -1
	s_cmp_lg_u32 s0, 0
	s_waitcnt vmcnt(0)
	v_mul_f32_e32 v1, v0, v1
	global_store_dword v[2:3], v1, off
	v_add_co_u32_e32 v2, vcc, 4, v2
	v_addc_co_u32_e32 v3, vcc, 0, v3, vcc
	s_cbranch_scc1 .LBB178_28
.LBB178_29:
	s_endpgm
	.section	.rodata,"a",@progbits
	.p2align	6, 0x0
	.amdhsa_kernel _ZN4vllm3moe17topkGatingSoftmaxIDF16_Li16ELi128ELi8ELi32ELb1ELi1ELNS0_23SharedExpertScoringFuncE1EEEvPKT_PKbPfiPiS9_iiiiii
		.amdhsa_group_segment_fixed_size 0
		.amdhsa_private_segment_fixed_size 0
		.amdhsa_kernarg_size 72
		.amdhsa_user_sgpr_count 6
		.amdhsa_user_sgpr_private_segment_buffer 1
		.amdhsa_user_sgpr_dispatch_ptr 0
		.amdhsa_user_sgpr_queue_ptr 0
		.amdhsa_user_sgpr_kernarg_segment_ptr 1
		.amdhsa_user_sgpr_dispatch_id 0
		.amdhsa_user_sgpr_flat_scratch_init 0
		.amdhsa_user_sgpr_kernarg_preload_length 0
		.amdhsa_user_sgpr_kernarg_preload_offset 0
		.amdhsa_user_sgpr_private_segment_size 0
		.amdhsa_uses_dynamic_stack 0
		.amdhsa_system_sgpr_private_segment_wavefront_offset 0
		.amdhsa_system_sgpr_workgroup_id_x 1
		.amdhsa_system_sgpr_workgroup_id_y 0
		.amdhsa_system_sgpr_workgroup_id_z 0
		.amdhsa_system_sgpr_workgroup_info 0
		.amdhsa_system_vgpr_workitem_id 1
		.amdhsa_next_free_vgpr 50
		.amdhsa_next_free_sgpr 54
		.amdhsa_accum_offset 52
		.amdhsa_reserve_vcc 1
		.amdhsa_reserve_flat_scratch 0
		.amdhsa_float_round_mode_32 0
		.amdhsa_float_round_mode_16_64 0
		.amdhsa_float_denorm_mode_32 3
		.amdhsa_float_denorm_mode_16_64 3
		.amdhsa_dx10_clamp 1
		.amdhsa_ieee_mode 1
		.amdhsa_fp16_overflow 0
		.amdhsa_tg_split 0
		.amdhsa_exception_fp_ieee_invalid_op 0
		.amdhsa_exception_fp_denorm_src 0
		.amdhsa_exception_fp_ieee_div_zero 0
		.amdhsa_exception_fp_ieee_overflow 0
		.amdhsa_exception_fp_ieee_underflow 0
		.amdhsa_exception_fp_ieee_inexact 0
		.amdhsa_exception_int_div_zero 0
	.end_amdhsa_kernel
	.section	.text._ZN4vllm3moe17topkGatingSoftmaxIDF16_Li16ELi128ELi8ELi32ELb1ELi1ELNS0_23SharedExpertScoringFuncE1EEEvPKT_PKbPfiPiS9_iiiiii,"axG",@progbits,_ZN4vllm3moe17topkGatingSoftmaxIDF16_Li16ELi128ELi8ELi32ELb1ELi1ELNS0_23SharedExpertScoringFuncE1EEEvPKT_PKbPfiPiS9_iiiiii,comdat
.Lfunc_end178:
	.size	_ZN4vllm3moe17topkGatingSoftmaxIDF16_Li16ELi128ELi8ELi32ELb1ELi1ELNS0_23SharedExpertScoringFuncE1EEEvPKT_PKbPfiPiS9_iiiiii, .Lfunc_end178-_ZN4vllm3moe17topkGatingSoftmaxIDF16_Li16ELi128ELi8ELi32ELb1ELi1ELNS0_23SharedExpertScoringFuncE1EEEvPKT_PKbPfiPiS9_iiiiii
                                        ; -- End function
	.section	.AMDGPU.csdata,"",@progbits
; Kernel info:
; codeLenInByte = 2984
; NumSgprs: 58
; NumVgprs: 50
; NumAgprs: 0
; TotalNumVgprs: 50
; ScratchSize: 0
; MemoryBound: 0
; FloatMode: 240
; IeeeMode: 1
; LDSByteSize: 0 bytes/workgroup (compile time only)
; SGPRBlocks: 7
; VGPRBlocks: 6
; NumSGPRsForWavesPerEU: 58
; NumVGPRsForWavesPerEU: 50
; AccumOffset: 52
; Occupancy: 8
; WaveLimiterHint : 0
; COMPUTE_PGM_RSRC2:SCRATCH_EN: 0
; COMPUTE_PGM_RSRC2:USER_SGPR: 6
; COMPUTE_PGM_RSRC2:TRAP_HANDLER: 0
; COMPUTE_PGM_RSRC2:TGID_X_EN: 1
; COMPUTE_PGM_RSRC2:TGID_Y_EN: 0
; COMPUTE_PGM_RSRC2:TGID_Z_EN: 0
; COMPUTE_PGM_RSRC2:TIDIG_COMP_CNT: 1
; COMPUTE_PGM_RSRC3_GFX90A:ACCUM_OFFSET: 12
; COMPUTE_PGM_RSRC3_GFX90A:TG_SPLIT: 0
	.section	.text._ZN4vllm3moe17topkGatingSoftmaxIDF16_Li16ELi128ELi8ELi32ELb0ELi1ELNS0_23SharedExpertScoringFuncE1EEEvPKT_PKbPfiPiS9_iiiiii,"axG",@progbits,_ZN4vllm3moe17topkGatingSoftmaxIDF16_Li16ELi128ELi8ELi32ELb0ELi1ELNS0_23SharedExpertScoringFuncE1EEEvPKT_PKbPfiPiS9_iiiiii,comdat
	.protected	_ZN4vllm3moe17topkGatingSoftmaxIDF16_Li16ELi128ELi8ELi32ELb0ELi1ELNS0_23SharedExpertScoringFuncE1EEEvPKT_PKbPfiPiS9_iiiiii ; -- Begin function _ZN4vllm3moe17topkGatingSoftmaxIDF16_Li16ELi128ELi8ELi32ELb0ELi1ELNS0_23SharedExpertScoringFuncE1EEEvPKT_PKbPfiPiS9_iiiiii
	.globl	_ZN4vllm3moe17topkGatingSoftmaxIDF16_Li16ELi128ELi8ELi32ELb0ELi1ELNS0_23SharedExpertScoringFuncE1EEEvPKT_PKbPfiPiS9_iiiiii
	.p2align	8
	.type	_ZN4vllm3moe17topkGatingSoftmaxIDF16_Li16ELi128ELi8ELi32ELb0ELi1ELNS0_23SharedExpertScoringFuncE1EEEvPKT_PKbPfiPiS9_iiiiii,@function
_ZN4vllm3moe17topkGatingSoftmaxIDF16_Li16ELi128ELi8ELi32ELb0ELi1ELNS0_23SharedExpertScoringFuncE1EEEvPKT_PKbPfiPiS9_iiiiii: ; @_ZN4vllm3moe17topkGatingSoftmaxIDF16_Li16ELi128ELi8ELi32ELb0ELi1ELNS0_23SharedExpertScoringFuncE1EEEvPKT_PKbPfiPiS9_iiiiii
; %bb.0:
	s_load_dword s33, s[4:5], 0x18
	v_bfe_u32 v1, v0, 10, 10
	v_and_b32_e32 v2, 0x3ff, v0
	s_lshl_b32 s50, s6, 6
	v_lshlrev_b32_e32 v42, 3, v1
	v_lshrrev_b32_e32 v43, 3, v2
	v_add3_u32 v22, s50, v42, v43
	s_waitcnt lgkmcnt(0)
	v_cmp_gt_i32_e32 vcc, s33, v22
	s_and_saveexec_b64 s[0:1], vcc
	s_cbranch_execz .LBB179_31
; %bb.1:
	s_load_dwordx4 s[0:3], s[4:5], 0x0
	s_load_dwordx2 s[34:35], s[4:5], 0x10
	s_waitcnt lgkmcnt(0)
	s_cmp_eq_u64 s[2:3], 0
	s_cbranch_scc1 .LBB179_3
; %bb.2:
	v_ashrrev_i32_e32 v1, 31, v22
	v_mov_b32_e32 v3, s3
	v_add_co_u32_e32 v0, vcc, s2, v22
	v_addc_co_u32_e32 v1, vcc, v3, v1, vcc
	global_load_ubyte v0, v[0:1], off
	s_waitcnt vmcnt(0)
	v_and_b32_e32 v0, 1, v0
	v_cmp_eq_u32_e32 vcc, 1, v0
	s_xor_b64 s[2:3], vcc, -1
	s_orn2_b64 s[46:47], s[2:3], exec
	s_branch .LBB179_4
.LBB179_3:
	s_mov_b64 s[46:47], -1
.LBB179_4:
	s_load_dwordx2 s[8:9], s[4:5], 0x40
	s_load_dwordx4 s[36:39], s[4:5], 0x30
	v_mov_b32_e32 v3, s1
	v_and_b32_e32 v25, 7, v2
	v_lshlrev_b32_e32 v2, 5, v25
	s_waitcnt lgkmcnt(0)
	v_mul_lo_u32 v0, v22, s9
	v_ashrrev_i32_e32 v1, 31, v0
	v_lshlrev_b64 v[0:1], 1, v[0:1]
	v_add_co_u32_e32 v0, vcc, s0, v0
	v_addc_co_u32_e32 v1, vcc, v3, v1, vcc
	v_add_co_u32_e32 v2, vcc, v0, v2
	v_addc_co_u32_e32 v3, vcc, 0, v1, vcc
	global_load_dwordx4 v[12:15], v[2:3], off offset:16
	global_load_dwordx4 v[4:7], v[2:3], off
	v_lshlrev_b32_e32 v26, 4, v25
	v_mov_b32_e32 v23, 0
	v_cmp_eq_u32_e64 s[0:1], 0, v25
	s_and_saveexec_b64 s[2:3], s[0:1]
	s_cbranch_execz .LBB179_6
; %bb.5:
	global_load_ushort v0, v[0:1], off offset:256
	s_mov_b32 s6, 0x3fb8aa3b
	s_mov_b32 s7, 0x32a5705f
	;; [unrolled: 1-line block ×4, first 2 shown]
	v_mov_b32_e32 v3, 0x7f800000
	v_mul_lo_u32 v1, v22, s39
	s_waitcnt vmcnt(0)
	v_cvt_f32_f16_e64 v2, -v0
	v_mul_f32_e32 v8, 0x3fb8aa3b, v2
	v_rndne_f32_e32 v9, v8
	v_fma_mix_f32 v10, -v0, s6, -v8 op_sel_hi:[1,0,0]
	v_sub_f32_e32 v8, v8, v9
	v_fma_mix_f32 v0, -v0, s7, v10 op_sel_hi:[1,0,0]
	v_add_f32_e32 v0, v8, v0
	v_cvt_i32_f32_e32 v9, v9
	v_exp_f32_e32 v8, v0
	v_cmp_ngt_f32_e32 vcc, s9, v2
	v_add_u32_e32 v0, s36, v1
	v_ashrrev_i32_e32 v1, 31, v0
	v_ldexp_f32 v8, v8, v9
	v_cndmask_b32_e32 v8, 0, v8, vcc
	v_cmp_nlt_f32_e32 vcc, s10, v2
	v_cndmask_b32_e32 v2, v3, v8, vcc
	v_add_f32_e32 v2, 1.0, v2
	v_div_scale_f32 v3, s[6:7], v2, v2, 1.0
	v_rcp_f32_e32 v8, v3
	v_div_scale_f32 v9, vcc, 1.0, v2, 1.0
	v_lshlrev_b64 v[0:1], 2, v[0:1]
	v_fma_f32 v11, -v3, v8, 1.0
	v_fmac_f32_e32 v8, v11, v8
	v_mul_f32_e32 v11, v9, v8
	v_fma_f32 v16, -v3, v11, v9
	v_fmac_f32_e32 v11, v16, v8
	v_fma_f32 v3, -v3, v11, v9
	v_mov_b32_e32 v10, s35
	v_div_fmas_f32 v3, v3, v8, v11
	v_add_co_u32_e32 v0, vcc, s34, v0
	v_div_fixup_f32 v2, v3, v2, 1.0
	v_addc_co_u32_e32 v1, vcc, v10, v1, vcc
	global_store_dword v[0:1], v2, off
.LBB179_6:
	s_or_b64 exec, exec, s[2:3]
	s_waitcnt vmcnt(0)
	v_cvt_f32_f16_e32 v0, v4
	v_cvt_f32_f16_sdwa v1, v4 dst_sel:DWORD dst_unused:UNUSED_PAD src0_sel:WORD_1
	v_cvt_f32_f16_e32 v2, v5
	v_cmp_lt_f16_sdwa vcc, v4, v4 src0_sel:DWORD src1_sel:WORD_1
	v_or_b32_e32 v27, 1, v26
	v_cndmask_b32_e32 v4, v0, v1, vcc
	v_cndmask_b32_e32 v3, v26, v27, vcc
	v_or_b32_e32 v28, 2, v26
	v_cmp_lt_f32_e32 vcc, v4, v2
	v_cndmask_b32_e32 v8, v3, v28, vcc
	v_cvt_f32_f16_sdwa v3, v5 dst_sel:DWORD dst_unused:UNUSED_PAD src0_sel:WORD_1
	v_cndmask_b32_e32 v4, v4, v2, vcc
	v_or_b32_e32 v29, 3, v26
	v_or_b32_e32 v30, 4, v26
	v_cmp_lt_f32_e32 vcc, v4, v3
	v_cndmask_b32_e32 v5, v8, v29, vcc
	v_cndmask_b32_e32 v8, v4, v3, vcc
	v_cvt_f32_f16_e32 v4, v6
	v_or_b32_e32 v31, 5, v26
	v_or_b32_e32 v32, 6, v26
	;; [unrolled: 1-line block ×3, first 2 shown]
	v_cmp_lt_f32_e32 vcc, v8, v4
	v_cndmask_b32_e32 v9, v5, v30, vcc
	v_cvt_f32_f16_sdwa v5, v6 dst_sel:DWORD dst_unused:UNUSED_PAD src0_sel:WORD_1
	v_cvt_f32_f16_e32 v6, v7
	v_cndmask_b32_e32 v8, v8, v4, vcc
	v_cvt_f32_f16_sdwa v7, v7 dst_sel:DWORD dst_unused:UNUSED_PAD src0_sel:WORD_1
	v_cmp_lt_f32_e32 vcc, v8, v5
	v_cndmask_b32_e32 v8, v8, v5, vcc
	v_cndmask_b32_e32 v9, v9, v31, vcc
	v_cmp_lt_f32_e32 vcc, v8, v6
	v_cndmask_b32_e32 v8, v8, v6, vcc
	v_cndmask_b32_e32 v9, v9, v32, vcc
	v_cmp_lt_f32_e32 vcc, v8, v7
	v_cndmask_b32_e32 v10, v8, v7, vcc
	v_cvt_f32_f16_e32 v8, v12
	v_cndmask_b32_e32 v9, v9, v33, vcc
	v_or_b32_e32 v34, 8, v26
	v_or_b32_e32 v35, 9, v26
	v_cmp_lt_f32_e32 vcc, v10, v8
	v_cndmask_b32_e32 v11, v9, v34, vcc
	v_cvt_f32_f16_sdwa v9, v12 dst_sel:DWORD dst_unused:UNUSED_PAD src0_sel:WORD_1
	v_cndmask_b32_e32 v10, v10, v8, vcc
	v_or_b32_e32 v36, 10, v26
	v_or_b32_e32 v37, 11, v26
	v_cmp_lt_f32_e32 vcc, v10, v9
	v_cndmask_b32_e32 v12, v10, v9, vcc
	v_cvt_f32_f16_e32 v10, v13
	v_cndmask_b32_e32 v11, v11, v35, vcc
	v_or_b32_e32 v38, 12, v26
	v_or_b32_e32 v39, 13, v26
	v_cmp_lt_f32_e32 vcc, v12, v10
	v_cndmask_b32_e32 v16, v11, v36, vcc
	v_cvt_f32_f16_sdwa v11, v13 dst_sel:DWORD dst_unused:UNUSED_PAD src0_sel:WORD_1
	v_cndmask_b32_e32 v12, v12, v10, vcc
	v_or_b32_e32 v40, 14, v26
	v_or_b32_e32 v41, 15, v26
	v_cmp_lt_f32_e32 vcc, v12, v11
	v_cndmask_b32_e32 v13, v16, v37, vcc
	v_cndmask_b32_e32 v16, v12, v11, vcc
	v_cvt_f32_f16_e32 v12, v14
	v_cmp_lt_f32_e32 vcc, v16, v12
	v_cndmask_b32_e32 v17, v13, v38, vcc
	v_cvt_f32_f16_sdwa v13, v14 dst_sel:DWORD dst_unused:UNUSED_PAD src0_sel:WORD_1
	v_cvt_f32_f16_e32 v14, v15
	v_cndmask_b32_e32 v16, v16, v12, vcc
	v_cvt_f32_f16_sdwa v15, v15 dst_sel:DWORD dst_unused:UNUSED_PAD src0_sel:WORD_1
	v_cmp_lt_f32_e32 vcc, v16, v13
	v_cndmask_b32_e32 v16, v16, v13, vcc
	v_cndmask_b32_e32 v17, v17, v39, vcc
	v_cmp_lt_f32_e32 vcc, v16, v14
	v_cndmask_b32_e32 v16, v16, v14, vcc
	v_cndmask_b32_e32 v17, v17, v40, vcc
	;; [unrolled: 3-line block ×3, first 2 shown]
	s_nop 0
	v_mov_b32_dpp v19, v17 quad_perm:[1,0,3,2] row_mask:0xf bank_mask:0xf
	v_mov_b32_dpp v18, v16 quad_perm:[1,0,3,2] row_mask:0xf bank_mask:0xf
	v_cmp_eq_f32_e64 s[2:3], v16, v18
	v_cmp_lt_i32_e64 s[6:7], v19, v17
	v_cmp_lt_f32_e32 vcc, v16, v18
	s_and_b64 s[2:3], s[2:3], s[6:7]
	s_or_b64 vcc, vcc, s[2:3]
	v_cndmask_b32_e32 v16, v16, v18, vcc
	v_cndmask_b32_e32 v17, v17, v19, vcc
	s_nop 0
	v_mov_b32_dpp v18, v16 quad_perm:[2,3,0,1] row_mask:0xf bank_mask:0xf
	v_mov_b32_dpp v19, v17 quad_perm:[2,3,0,1] row_mask:0xf bank_mask:0xf
	v_cmp_eq_f32_e64 s[2:3], v16, v18
	v_cmp_lt_i32_e64 s[6:7], v19, v17
	v_cmp_lt_f32_e32 vcc, v16, v18
	s_and_b64 s[2:3], s[2:3], s[6:7]
	s_or_b64 vcc, vcc, s[2:3]
	v_cndmask_b32_e32 v18, v16, v18, vcc
	v_cndmask_b32_e32 v16, v17, v19, vcc
	s_nop 0
	v_mov_b32_dpp v19, v18 row_half_mirror row_mask:0xf bank_mask:0xf
	v_mov_b32_dpp v17, v16 row_half_mirror row_mask:0xf bank_mask:0xf
	v_cmp_eq_f32_e64 s[2:3], v18, v19
	v_cmp_lt_i32_e64 s[6:7], v17, v16
	v_cmp_lt_f32_e32 vcc, v18, v19
	s_and_b64 s[2:3], s[2:3], s[6:7]
	s_or_b64 s[2:3], vcc, s[2:3]
	s_cmp_gt_i32 s36, 0
	s_cselect_b64 s[44:45], -1, 0
	v_cndmask_b32_e64 v24, v18, v19, s[2:3]
	s_and_b64 vcc, exec, s[44:45]
	s_cbranch_vccz .LBB179_18
; %bb.7:
	s_load_dwordx4 s[40:43], s[4:5], 0x20
	v_cndmask_b32_e64 v44, v16, v17, s[2:3]
	v_mul_lo_u32 v20, v22, s39
	v_mul_lo_u32 v18, v22, s8
	;; [unrolled: 1-line block ×3, first 2 shown]
	v_mov_b32_e32 v23, 0
	s_and_saveexec_b64 s[4:5], s[0:1]
	s_cbranch_execz .LBB179_9
; %bb.8:
	v_sub_f32_e32 v17, v24, v24
	v_mul_f32_e32 v19, 0x3fb8aa3b, v17
	s_mov_b32 s2, 0x3fb8aa3b
	v_rndne_f32_e32 v21, v19
	v_sub_f32_e32 v23, v19, v21
	v_fma_f32 v19, v17, s2, -v19
	v_fmac_f32_e32 v19, 0x32a5705f, v17
	v_add_f32_e32 v19, v23, v19
	v_exp_f32_e32 v19, v19
	v_cvt_i32_f32_e32 v21, v21
	v_cmp_le_i32_e32 vcc, s37, v44
	v_cmp_gt_i32_e64 s[2:3], s38, v44
	s_mov_b32 s6, 0xc2ce8ed0
	s_and_b64 s[2:3], vcc, s[2:3]
	v_ldexp_f32 v19, v19, v21
	v_cmp_ngt_f32_e32 vcc, s6, v17
	s_mov_b32 s6, 0x42b17218
	v_cndmask_b32_e32 v19, 0, v19, vcc
	v_mov_b32_e32 v21, 0x7f800000
	v_cmp_nlt_f32_e32 vcc, s6, v17
	v_cndmask_b32_e32 v23, v21, v19, vcc
	v_ashrrev_i32_e32 v21, 31, v20
	v_lshlrev_b64 v[46:47], 2, v[20:21]
	v_mov_b32_e32 v17, s35
	v_add_co_u32_e32 v46, vcc, s34, v46
	v_addc_co_u32_e32 v47, vcc, v17, v47, vcc
	v_subrev_u32_e32 v17, s37, v44
	v_mov_b32_e32 v19, 0x80
	s_and_b64 vcc, s[46:47], s[2:3]
	v_cndmask_b32_e32 v17, v19, v17, vcc
	v_ashrrev_i32_e32 v19, 31, v18
	global_store_dword v[46:47], v23, off
	v_lshlrev_b64 v[46:47], 2, v[18:19]
	s_waitcnt lgkmcnt(0)
	v_mov_b32_e32 v19, s41
	v_add_co_u32_e32 v46, vcc, s40, v46
	v_addc_co_u32_e32 v47, vcc, v19, v47, vcc
	global_store_dword v[46:47], v17, off
	v_ashrrev_i32_e32 v17, 31, v16
	v_lshlrev_b64 v[46:47], 2, v[16:17]
	v_mov_b32_e32 v17, s43
	v_add_co_u32_e32 v46, vcc, s42, v46
	v_addc_co_u32_e32 v47, vcc, v17, v47, vcc
	global_store_dword v[46:47], v22, off
.LBB179_9:
	s_or_b64 exec, exec, s[4:5]
	v_ashrrev_i32_e32 v19, 31, v44
	v_lshrrev_b32_e32 v17, 28, v19
	v_add_u32_e32 v17, v44, v17
	v_ashrrev_i32_e32 v17, 4, v17
	v_lshrrev_b32_e32 v21, 29, v17
	v_add_u32_e32 v21, v17, v21
	v_and_b32_e32 v21, -8, v21
	v_sub_u32_e32 v21, v17, v21
	v_cmp_eq_u32_e32 vcc, v25, v21
	s_and_saveexec_b64 s[48:49], vcc
	s_cbranch_execz .LBB179_11
; %bb.10:
	v_lshrrev_b32_e32 v19, 25, v19
	v_add_u32_e32 v19, v44, v19
	v_lshlrev_b32_e32 v17, 4, v17
	v_sub_u32_e32 v17, v44, v17
	v_ashrrev_i32_e32 v19, 7, v19
	v_lshl_add_u32 v17, v19, 4, v17
	v_mov_b32_e32 v19, 0xff800000
	v_cmp_ne_u32_e32 vcc, 14, v17
	v_cmp_ne_u32_e64 s[2:3], 13, v17
	v_cmp_ne_u32_e64 s[4:5], 12, v17
	;; [unrolled: 1-line block ×15, first 2 shown]
	v_cndmask_b32_e64 v15, v19, v15, s[30:31]
	v_cndmask_b32_e32 v14, v19, v14, vcc
	v_cndmask_b32_e64 v13, v19, v13, s[2:3]
	v_cndmask_b32_e64 v12, v19, v12, s[4:5]
	;; [unrolled: 1-line block ×14, first 2 shown]
.LBB179_11:
	s_or_b64 exec, exec, s[48:49]
	s_cmp_eq_u32 s36, 1
	s_cbranch_scc1 .LBB179_18
; %bb.12:
	s_add_i32 s50, s50, s33
	s_add_i32 s51, s36, -1
	v_add3_u32 v42, s50, v43, v42
	v_add_u32_e32 v16, 1, v16
	v_add_u32_e32 v18, 1, v18
	;; [unrolled: 1-line block ×3, first 2 shown]
	s_mov_b32 s50, 0x3fb8aa3b
	s_mov_b32 s52, 0xc2ce8ed0
	;; [unrolled: 1-line block ×3, first 2 shown]
	v_mov_b32_e32 v43, 0x7f800000
	v_mov_b32_e32 v44, 0x80
	;; [unrolled: 1-line block ×3, first 2 shown]
	s_branch .LBB179_14
.LBB179_13:                             ;   in Loop: Header=BB179_14 Depth=1
	s_or_b64 exec, exec, s[48:49]
	s_add_i32 s51, s51, -1
	v_add_u32_e32 v42, s33, v42
	v_add_u32_e32 v16, 1, v16
	v_add_u32_e32 v18, 1, v18
	s_cmp_eq_u32 s51, 0
	v_add_u32_e32 v20, 1, v20
	s_cbranch_scc1 .LBB179_18
.LBB179_14:                             ; =>This Inner Loop Header: Depth=1
	v_cmp_gt_f32_e32 vcc, v1, v0
	v_cndmask_b32_e32 v19, v0, v1, vcc
	v_cndmask_b32_e32 v17, v26, v27, vcc
	v_cmp_gt_f32_e32 vcc, v2, v19
	v_cndmask_b32_e32 v19, v19, v2, vcc
	v_cndmask_b32_e32 v17, v17, v28, vcc
	;; [unrolled: 3-line block ×15, first 2 shown]
	s_nop 0
	v_mov_b32_dpp v46, v17 quad_perm:[1,0,3,2] row_mask:0xf bank_mask:0xf
	v_mov_b32_dpp v21, v19 quad_perm:[1,0,3,2] row_mask:0xf bank_mask:0xf
	v_cmp_eq_f32_e64 s[2:3], v19, v21
	v_cmp_lt_i32_e64 s[4:5], v46, v17
	v_cmp_lt_f32_e32 vcc, v19, v21
	s_and_b64 s[2:3], s[2:3], s[4:5]
	s_or_b64 vcc, vcc, s[2:3]
	v_cndmask_b32_e32 v19, v19, v21, vcc
	v_cndmask_b32_e32 v21, v17, v46, vcc
	s_nop 0
	v_mov_b32_dpp v17, v19 quad_perm:[2,3,0,1] row_mask:0xf bank_mask:0xf
	v_mov_b32_dpp v46, v21 quad_perm:[2,3,0,1] row_mask:0xf bank_mask:0xf
	v_cmp_eq_f32_e64 s[2:3], v19, v17
	v_cmp_lt_i32_e64 s[4:5], v46, v21
	v_cmp_lt_f32_e32 vcc, v19, v17
	s_and_b64 s[2:3], s[2:3], s[4:5]
	s_or_b64 vcc, vcc, s[2:3]
	v_cndmask_b32_e32 v17, v19, v17, vcc
	v_cndmask_b32_e32 v21, v21, v46, vcc
	s_nop 0
	v_mov_b32_dpp v19, v17 row_half_mirror row_mask:0xf bank_mask:0xf
	v_mov_b32_dpp v46, v21 row_half_mirror row_mask:0xf bank_mask:0xf
	v_cmp_eq_f32_e64 s[2:3], v17, v19
	v_cmp_lt_i32_e64 s[4:5], v46, v21
	v_cmp_lt_f32_e32 vcc, v17, v19
	s_and_b64 s[2:3], s[2:3], s[4:5]
	s_or_b64 vcc, vcc, s[2:3]
	v_cndmask_b32_e32 v46, v21, v46, vcc
	s_and_saveexec_b64 s[4:5], s[0:1]
	s_cbranch_execz .LBB179_16
; %bb.15:                               ;   in Loop: Header=BB179_14 Depth=1
	v_cndmask_b32_e32 v17, v17, v19, vcc
	v_sub_f32_e32 v17, v17, v24
	v_mul_f32_e32 v19, 0x3fb8aa3b, v17
	v_fma_f32 v21, v17, s50, -v19
	v_rndne_f32_e32 v47, v19
	v_fmac_f32_e32 v21, 0x32a5705f, v17
	v_sub_f32_e32 v19, v19, v47
	v_add_f32_e32 v19, v19, v21
	v_exp_f32_e32 v19, v19
	v_cvt_i32_f32_e32 v21, v47
	v_cmp_le_i32_e32 vcc, s37, v46
	v_cmp_gt_i32_e64 s[2:3], s38, v46
	s_and_b64 s[2:3], vcc, s[2:3]
	v_ldexp_f32 v19, v19, v21
	v_cmp_ngt_f32_e32 vcc, s52, v17
	v_ashrrev_i32_e32 v21, 31, v20
	v_cndmask_b32_e32 v19, 0, v19, vcc
	v_cmp_nlt_f32_e32 vcc, s53, v17
	v_lshlrev_b64 v[48:49], 2, v[20:21]
	v_cndmask_b32_e32 v47, v43, v19, vcc
	v_mov_b32_e32 v17, s35
	v_add_co_u32_e32 v48, vcc, s34, v48
	v_addc_co_u32_e32 v49, vcc, v17, v49, vcc
	v_ashrrev_i32_e32 v19, 31, v18
	global_store_dword v[48:49], v47, off
	v_subrev_u32_e32 v17, s37, v46
	s_and_b64 vcc, s[46:47], s[2:3]
	v_lshlrev_b64 v[48:49], 2, v[18:19]
	v_cndmask_b32_e32 v17, v44, v17, vcc
	s_waitcnt lgkmcnt(0)
	v_mov_b32_e32 v19, s41
	v_add_co_u32_e32 v48, vcc, s40, v48
	v_addc_co_u32_e32 v49, vcc, v19, v49, vcc
	global_store_dword v[48:49], v17, off
	v_ashrrev_i32_e32 v17, 31, v16
	v_lshlrev_b64 v[48:49], 2, v[16:17]
	v_mov_b32_e32 v17, s43
	v_add_co_u32_e32 v48, vcc, s42, v48
	v_addc_co_u32_e32 v49, vcc, v17, v49, vcc
	v_add_f32_e32 v23, v23, v47
	global_store_dword v[48:49], v42, off
.LBB179_16:                             ;   in Loop: Header=BB179_14 Depth=1
	s_or_b64 exec, exec, s[4:5]
	v_ashrrev_i32_e32 v19, 31, v46
	v_lshrrev_b32_e32 v17, 28, v19
	v_add_u32_e32 v17, v46, v17
	v_ashrrev_i32_e32 v17, 4, v17
	v_lshrrev_b32_e32 v21, 29, v17
	v_add_u32_e32 v21, v17, v21
	v_and_b32_e32 v21, -8, v21
	v_sub_u32_e32 v21, v17, v21
	v_cmp_eq_u32_e32 vcc, v25, v21
	s_and_saveexec_b64 s[48:49], vcc
	s_cbranch_execz .LBB179_13
; %bb.17:                               ;   in Loop: Header=BB179_14 Depth=1
	v_lshrrev_b32_e32 v19, 25, v19
	v_add_u32_e32 v19, v46, v19
	v_lshlrev_b32_e32 v17, 4, v17
	v_sub_u32_e32 v17, v46, v17
	v_ashrrev_i32_e32 v19, 7, v19
	v_lshl_add_u32 v17, v19, 4, v17
	v_cmp_ne_u32_e32 vcc, 14, v17
	v_cmp_ne_u32_e64 s[2:3], 13, v17
	v_cmp_ne_u32_e64 s[4:5], 12, v17
	;; [unrolled: 1-line block ×15, first 2 shown]
	v_cndmask_b32_e64 v15, v45, v15, s[30:31]
	v_cndmask_b32_e32 v14, v45, v14, vcc
	v_cndmask_b32_e64 v13, v45, v13, s[2:3]
	v_cndmask_b32_e64 v12, v45, v12, s[4:5]
	;; [unrolled: 1-line block ×14, first 2 shown]
	s_branch .LBB179_13
.LBB179_18:
	v_sub_f32_e32 v0, v0, v24
	s_mov_b32 s4, 0x3fb8aa3b
	v_mul_f32_e32 v16, 0x3fb8aa3b, v0
	v_fma_f32 v17, v0, s4, -v16
	v_rndne_f32_e32 v18, v16
	v_fmac_f32_e32 v17, 0x32a5705f, v0
	v_sub_f32_e32 v16, v16, v18
	v_add_f32_e32 v16, v16, v17
	v_exp_f32_e32 v16, v16
	v_cvt_i32_f32_e32 v17, v18
	v_sub_f32_e32 v1, v1, v24
	s_mov_b32 s6, 0xc2ce8ed0
	s_mov_b32 s5, 0x42b17218
	v_ldexp_f32 v16, v16, v17
	v_mul_f32_e32 v17, 0x3fb8aa3b, v1
	v_fma_f32 v18, v1, s4, -v17
	v_rndne_f32_e32 v19, v17
	v_fmac_f32_e32 v18, 0x32a5705f, v1
	v_sub_f32_e32 v17, v17, v19
	v_add_f32_e32 v17, v17, v18
	v_exp_f32_e32 v17, v17
	v_cvt_i32_f32_e32 v18, v19
	v_cmp_ngt_f32_e32 vcc, s6, v1
	v_cmp_ngt_f32_e64 s[2:3], s6, v0
	v_sub_f32_e32 v2, v2, v24
	v_ldexp_f32 v17, v17, v18
	v_cndmask_b32_e32 v17, 0, v17, vcc
	v_mov_b32_e32 v18, 0x7f800000
	v_cmp_nlt_f32_e32 vcc, s5, v1
	v_cndmask_b32_e64 v1, 0, v16, s[2:3]
	v_cmp_nlt_f32_e64 s[2:3], s5, v0
	v_cndmask_b32_e64 v0, v18, v1, s[2:3]
	v_cndmask_b32_e32 v1, v18, v17, vcc
	v_add_f32_e32 v0, v0, v1
	v_mul_f32_e32 v1, 0x3fb8aa3b, v2
	v_fma_f32 v16, v2, s4, -v1
	v_rndne_f32_e32 v17, v1
	v_fmac_f32_e32 v16, 0x32a5705f, v2
	v_sub_f32_e32 v1, v1, v17
	v_add_f32_e32 v1, v1, v16
	v_exp_f32_e32 v1, v1
	v_cvt_i32_f32_e32 v16, v17
	v_cmp_ngt_f32_e32 vcc, s6, v2
	v_sub_f32_e32 v3, v3, v24
	v_sub_f32_e32 v4, v4, v24
	v_ldexp_f32 v1, v1, v16
	v_cndmask_b32_e32 v1, 0, v1, vcc
	v_cmp_nlt_f32_e32 vcc, s5, v2
	v_cndmask_b32_e32 v1, v18, v1, vcc
	v_add_f32_e32 v0, v0, v1
	v_mul_f32_e32 v1, 0x3fb8aa3b, v3
	v_fma_f32 v2, v3, s4, -v1
	v_rndne_f32_e32 v16, v1
	v_fmac_f32_e32 v2, 0x32a5705f, v3
	v_sub_f32_e32 v1, v1, v16
	v_add_f32_e32 v1, v1, v2
	v_exp_f32_e32 v1, v1
	v_cvt_i32_f32_e32 v2, v16
	v_cmp_ngt_f32_e32 vcc, s6, v3
	v_sub_f32_e32 v5, v5, v24
	v_sub_f32_e32 v6, v6, v24
	v_ldexp_f32 v1, v1, v2
	v_cndmask_b32_e32 v1, 0, v1, vcc
	v_cmp_nlt_f32_e32 vcc, s5, v3
	;; [unrolled: 16-line block ×4, first 2 shown]
	v_cndmask_b32_e32 v1, v18, v1, vcc
	v_add_f32_e32 v0, v0, v1
	v_mul_f32_e32 v1, 0x3fb8aa3b, v6
	v_fma_f32 v2, v6, s4, -v1
	v_rndne_f32_e32 v3, v1
	v_fmac_f32_e32 v2, 0x32a5705f, v6
	v_sub_f32_e32 v1, v1, v3
	v_add_f32_e32 v1, v1, v2
	v_exp_f32_e32 v1, v1
	v_cvt_i32_f32_e32 v2, v3
	v_cmp_ngt_f32_e32 vcc, s6, v6
	v_sub_f32_e32 v11, v11, v24
	v_sub_f32_e32 v12, v12, v24
	v_ldexp_f32 v1, v1, v2
	v_mul_f32_e32 v2, 0x3fb8aa3b, v7
	v_fma_f32 v3, v7, s4, -v2
	v_rndne_f32_e32 v4, v2
	v_fmac_f32_e32 v3, 0x32a5705f, v7
	v_sub_f32_e32 v2, v2, v4
	v_add_f32_e32 v2, v2, v3
	v_exp_f32_e32 v2, v2
	v_cvt_i32_f32_e32 v3, v4
	v_cndmask_b32_e32 v1, 0, v1, vcc
	v_cmp_nlt_f32_e32 vcc, s5, v6
	v_cndmask_b32_e32 v1, v18, v1, vcc
	v_add_f32_e32 v0, v0, v1
	v_ldexp_f32 v1, v2, v3
	v_mul_f32_e32 v2, 0x3fb8aa3b, v8
	v_fma_f32 v3, v8, s4, -v2
	v_rndne_f32_e32 v4, v2
	v_fmac_f32_e32 v3, 0x32a5705f, v8
	v_sub_f32_e32 v2, v2, v4
	v_add_f32_e32 v2, v2, v3
	v_exp_f32_e32 v2, v2
	v_cvt_i32_f32_e32 v3, v4
	v_cmp_ngt_f32_e32 vcc, s6, v7
	v_cndmask_b32_e32 v1, 0, v1, vcc
	v_cmp_nlt_f32_e32 vcc, s5, v7
	v_cndmask_b32_e32 v1, v18, v1, vcc
	v_add_f32_e32 v0, v0, v1
	v_ldexp_f32 v1, v2, v3
	v_mul_f32_e32 v2, 0x3fb8aa3b, v9
	v_fma_f32 v3, v9, s4, -v2
	v_rndne_f32_e32 v4, v2
	v_fmac_f32_e32 v3, 0x32a5705f, v9
	v_sub_f32_e32 v2, v2, v4
	v_add_f32_e32 v2, v2, v3
	v_exp_f32_e32 v2, v2
	v_cvt_i32_f32_e32 v3, v4
	v_cmp_ngt_f32_e32 vcc, s6, v8
	;; [unrolled: 14-line block ×5, first 2 shown]
	v_cndmask_b32_e32 v1, 0, v1, vcc
	v_cmp_nlt_f32_e32 vcc, s5, v11
	v_cndmask_b32_e32 v1, v18, v1, vcc
	v_add_f32_e32 v0, v0, v1
	v_ldexp_f32 v1, v2, v3
	v_sub_f32_e32 v2, v13, v24
	v_mul_f32_e32 v3, 0x3fb8aa3b, v2
	v_fma_f32 v4, v2, s4, -v3
	v_rndne_f32_e32 v5, v3
	v_fmac_f32_e32 v4, 0x32a5705f, v2
	v_sub_f32_e32 v3, v3, v5
	v_add_f32_e32 v3, v3, v4
	v_exp_f32_e32 v3, v3
	v_cvt_i32_f32_e32 v4, v5
	v_cmp_ngt_f32_e32 vcc, s6, v12
	v_cndmask_b32_e32 v1, 0, v1, vcc
	v_cmp_nlt_f32_e32 vcc, s5, v12
	v_cndmask_b32_e32 v1, v18, v1, vcc
	v_add_f32_e32 v0, v0, v1
	v_ldexp_f32 v1, v3, v4
	v_sub_f32_e32 v3, v14, v24
	v_mul_f32_e32 v4, 0x3fb8aa3b, v3
	v_fma_f32 v5, v3, s4, -v4
	v_rndne_f32_e32 v6, v4
	v_fmac_f32_e32 v5, 0x32a5705f, v3
	v_sub_f32_e32 v4, v4, v6
	v_add_f32_e32 v4, v4, v5
	v_exp_f32_e32 v4, v4
	v_cvt_i32_f32_e32 v5, v6
	v_cmp_ngt_f32_e32 vcc, s6, v2
	v_cndmask_b32_e32 v1, 0, v1, vcc
	v_cmp_nlt_f32_e32 vcc, s5, v2
	v_cndmask_b32_e32 v1, v18, v1, vcc
	v_sub_f32_e32 v2, v15, v24
	v_add_f32_e32 v0, v0, v1
	v_ldexp_f32 v1, v4, v5
	v_mul_f32_e32 v4, 0x3fb8aa3b, v2
	v_fma_f32 v5, v2, s4, -v4
	v_rndne_f32_e32 v6, v4
	v_fmac_f32_e32 v5, 0x32a5705f, v2
	v_sub_f32_e32 v4, v4, v6
	v_add_f32_e32 v4, v4, v5
	v_exp_f32_e32 v4, v4
	v_cvt_i32_f32_e32 v5, v6
	v_cmp_ngt_f32_e32 vcc, s6, v3
	v_cndmask_b32_e32 v1, 0, v1, vcc
	v_cmp_nlt_f32_e32 vcc, s5, v3
	v_cndmask_b32_e32 v1, v18, v1, vcc
	v_add_f32_e32 v0, v0, v1
	v_ldexp_f32 v1, v4, v5
	v_cmp_ngt_f32_e32 vcc, s6, v2
	v_cndmask_b32_e32 v1, 0, v1, vcc
	v_cmp_nlt_f32_e32 vcc, s5, v2
	v_cndmask_b32_e32 v1, v18, v1, vcc
	v_add_f32_e32 v0, v0, v1
	s_nop 1
	v_mov_b32_dpp v1, v0 quad_perm:[1,0,3,2] row_mask:0xf bank_mask:0xf
	v_add_f32_e32 v0, v0, v1
	s_nop 1
	v_mov_b32_dpp v1, v0 quad_perm:[2,3,0,1] row_mask:0xf bank_mask:0xf
	v_add_f32_e32 v0, v0, v1
	s_nop 1
	v_mov_b32_dpp v1, v0 row_half_mirror row_mask:0xf bank_mask:0xf
	s_and_b64 exec, exec, s[0:1]
	s_cbranch_execz .LBB179_31
; %bb.19:
	v_add_f32_e32 v0, v0, v1
	v_add_f32_e32 v0, v23, v0
	v_cmp_neq_f32_e32 vcc, 0, v0
	s_and_b64 exec, exec, vcc
	s_cbranch_execz .LBB179_31
; %bb.20:
	s_andn2_b64 vcc, exec, s[44:45]
	s_cbranch_vccnz .LBB179_31
; %bb.21:
	v_div_scale_f32 v1, s[0:1], v0, v0, 1.0
	v_rcp_f32_e32 v2, v1
	v_div_scale_f32 v3, vcc, 1.0, v0, 1.0
	s_cmp_gt_u32 s36, 3
	v_fma_f32 v4, -v1, v2, 1.0
	v_fmac_f32_e32 v2, v4, v2
	v_mul_f32_e32 v4, v3, v2
	v_fma_f32 v5, -v1, v4, v3
	v_fmac_f32_e32 v4, v5, v2
	v_fma_f32 v1, -v1, v4, v3
	v_div_fmas_f32 v1, v1, v2, v4
	v_mul_lo_u32 v2, v22, s39
	v_div_fixup_f32 v0, v1, v0, 1.0
	v_ashrrev_i32_e32 v3, 31, v2
	s_cbranch_scc0 .LBB179_25
; %bb.22:
	v_lshlrev_b64 v[4:5], 2, v[2:3]
	v_mov_b32_e32 v6, s35
	v_add_co_u32_e32 v4, vcc, s34, v4
	v_addc_co_u32_e32 v5, vcc, v5, v6, vcc
	s_and_b32 s4, s36, 0x7ffffffc
	v_add_co_u32_e32 v4, vcc, 8, v4
	v_mov_b32_e32 v1, v0
	v_addc_co_u32_e32 v5, vcc, 0, v5, vcc
	s_mov_b32 s0, s4
.LBB179_23:                             ; =>This Inner Loop Header: Depth=1
	global_load_dwordx4 v[6:9], v[4:5], off offset:-8
	s_add_i32 s0, s0, -4
	s_cmp_lg_u32 s0, 0
	s_waitcnt vmcnt(0)
	v_pk_mul_f32 v[6:7], v[0:1], v[6:7]
	v_pk_mul_f32 v[8:9], v[0:1], v[8:9]
	global_store_dwordx4 v[4:5], v[6:9], off offset:-8
	v_add_co_u32_e32 v4, vcc, 16, v4
	v_addc_co_u32_e32 v5, vcc, 0, v5, vcc
	s_cbranch_scc1 .LBB179_23
; %bb.24:
	s_cmp_lg_u32 s4, s36
	s_mov_b64 s[2:3], 0
	s_cselect_b64 s[0:1], -1, 0
	s_branch .LBB179_26
.LBB179_25:
	s_mov_b64 s[2:3], -1
	s_mov_b64 s[0:1], 0
                                        ; implicit-def: $sgpr4
.LBB179_26:
	s_and_b64 vcc, exec, s[2:3]
	s_cbranch_vccz .LBB179_28
; %bb.27:
	s_mov_b64 s[0:1], -1
	s_mov_b32 s4, 0
.LBB179_28:
	s_andn2_b64 vcc, exec, s[0:1]
	s_cbranch_vccnz .LBB179_31
; %bb.29:
	v_add_co_u32_e32 v2, vcc, s4, v2
	v_addc_co_u32_e32 v3, vcc, 0, v3, vcc
	v_lshlrev_b64 v[2:3], 2, v[2:3]
	v_mov_b32_e32 v1, s35
	v_add_co_u32_e32 v2, vcc, s34, v2
	s_sub_i32 s0, s36, s4
	v_addc_co_u32_e32 v3, vcc, v1, v3, vcc
.LBB179_30:                             ; =>This Inner Loop Header: Depth=1
	global_load_dword v1, v[2:3], off
	s_add_i32 s0, s0, -1
	s_cmp_lg_u32 s0, 0
	s_waitcnt vmcnt(0)
	v_mul_f32_e32 v1, v0, v1
	global_store_dword v[2:3], v1, off
	v_add_co_u32_e32 v2, vcc, 4, v2
	v_addc_co_u32_e32 v3, vcc, 0, v3, vcc
	s_cbranch_scc1 .LBB179_30
.LBB179_31:
	s_endpgm
	.section	.rodata,"a",@progbits
	.p2align	6, 0x0
	.amdhsa_kernel _ZN4vllm3moe17topkGatingSoftmaxIDF16_Li16ELi128ELi8ELi32ELb0ELi1ELNS0_23SharedExpertScoringFuncE1EEEvPKT_PKbPfiPiS9_iiiiii
		.amdhsa_group_segment_fixed_size 0
		.amdhsa_private_segment_fixed_size 0
		.amdhsa_kernarg_size 72
		.amdhsa_user_sgpr_count 6
		.amdhsa_user_sgpr_private_segment_buffer 1
		.amdhsa_user_sgpr_dispatch_ptr 0
		.amdhsa_user_sgpr_queue_ptr 0
		.amdhsa_user_sgpr_kernarg_segment_ptr 1
		.amdhsa_user_sgpr_dispatch_id 0
		.amdhsa_user_sgpr_flat_scratch_init 0
		.amdhsa_user_sgpr_kernarg_preload_length 0
		.amdhsa_user_sgpr_kernarg_preload_offset 0
		.amdhsa_user_sgpr_private_segment_size 0
		.amdhsa_uses_dynamic_stack 0
		.amdhsa_system_sgpr_private_segment_wavefront_offset 0
		.amdhsa_system_sgpr_workgroup_id_x 1
		.amdhsa_system_sgpr_workgroup_id_y 0
		.amdhsa_system_sgpr_workgroup_id_z 0
		.amdhsa_system_sgpr_workgroup_info 0
		.amdhsa_system_vgpr_workitem_id 1
		.amdhsa_next_free_vgpr 50
		.amdhsa_next_free_sgpr 54
		.amdhsa_accum_offset 52
		.amdhsa_reserve_vcc 1
		.amdhsa_reserve_flat_scratch 0
		.amdhsa_float_round_mode_32 0
		.amdhsa_float_round_mode_16_64 0
		.amdhsa_float_denorm_mode_32 3
		.amdhsa_float_denorm_mode_16_64 3
		.amdhsa_dx10_clamp 1
		.amdhsa_ieee_mode 1
		.amdhsa_fp16_overflow 0
		.amdhsa_tg_split 0
		.amdhsa_exception_fp_ieee_invalid_op 0
		.amdhsa_exception_fp_denorm_src 0
		.amdhsa_exception_fp_ieee_div_zero 0
		.amdhsa_exception_fp_ieee_overflow 0
		.amdhsa_exception_fp_ieee_underflow 0
		.amdhsa_exception_fp_ieee_inexact 0
		.amdhsa_exception_int_div_zero 0
	.end_amdhsa_kernel
	.section	.text._ZN4vllm3moe17topkGatingSoftmaxIDF16_Li16ELi128ELi8ELi32ELb0ELi1ELNS0_23SharedExpertScoringFuncE1EEEvPKT_PKbPfiPiS9_iiiiii,"axG",@progbits,_ZN4vllm3moe17topkGatingSoftmaxIDF16_Li16ELi128ELi8ELi32ELb0ELi1ELNS0_23SharedExpertScoringFuncE1EEEvPKT_PKbPfiPiS9_iiiiii,comdat
.Lfunc_end179:
	.size	_ZN4vllm3moe17topkGatingSoftmaxIDF16_Li16ELi128ELi8ELi32ELb0ELi1ELNS0_23SharedExpertScoringFuncE1EEEvPKT_PKbPfiPiS9_iiiiii, .Lfunc_end179-_ZN4vllm3moe17topkGatingSoftmaxIDF16_Li16ELi128ELi8ELi32ELb0ELi1ELNS0_23SharedExpertScoringFuncE1EEEvPKT_PKbPfiPiS9_iiiiii
                                        ; -- End function
	.section	.AMDGPU.csdata,"",@progbits
; Kernel info:
; codeLenInByte = 4324
; NumSgprs: 58
; NumVgprs: 50
; NumAgprs: 0
; TotalNumVgprs: 50
; ScratchSize: 0
; MemoryBound: 0
; FloatMode: 240
; IeeeMode: 1
; LDSByteSize: 0 bytes/workgroup (compile time only)
; SGPRBlocks: 7
; VGPRBlocks: 6
; NumSGPRsForWavesPerEU: 58
; NumVGPRsForWavesPerEU: 50
; AccumOffset: 52
; Occupancy: 8
; WaveLimiterHint : 0
; COMPUTE_PGM_RSRC2:SCRATCH_EN: 0
; COMPUTE_PGM_RSRC2:USER_SGPR: 6
; COMPUTE_PGM_RSRC2:TRAP_HANDLER: 0
; COMPUTE_PGM_RSRC2:TGID_X_EN: 1
; COMPUTE_PGM_RSRC2:TGID_Y_EN: 0
; COMPUTE_PGM_RSRC2:TGID_Z_EN: 0
; COMPUTE_PGM_RSRC2:TIDIG_COMP_CNT: 1
; COMPUTE_PGM_RSRC3_GFX90A:ACCUM_OFFSET: 12
; COMPUTE_PGM_RSRC3_GFX90A:TG_SPLIT: 0
	.section	.text._ZN4vllm3moe17topkGatingSoftmaxIDF16_Li16ELi128ELi8ELi32ELb1ELi2ELNS0_23SharedExpertScoringFuncE1EEEvPKT_PKbPfiPiS9_iiiiii,"axG",@progbits,_ZN4vllm3moe17topkGatingSoftmaxIDF16_Li16ELi128ELi8ELi32ELb1ELi2ELNS0_23SharedExpertScoringFuncE1EEEvPKT_PKbPfiPiS9_iiiiii,comdat
	.protected	_ZN4vllm3moe17topkGatingSoftmaxIDF16_Li16ELi128ELi8ELi32ELb1ELi2ELNS0_23SharedExpertScoringFuncE1EEEvPKT_PKbPfiPiS9_iiiiii ; -- Begin function _ZN4vllm3moe17topkGatingSoftmaxIDF16_Li16ELi128ELi8ELi32ELb1ELi2ELNS0_23SharedExpertScoringFuncE1EEEvPKT_PKbPfiPiS9_iiiiii
	.globl	_ZN4vllm3moe17topkGatingSoftmaxIDF16_Li16ELi128ELi8ELi32ELb1ELi2ELNS0_23SharedExpertScoringFuncE1EEEvPKT_PKbPfiPiS9_iiiiii
	.p2align	8
	.type	_ZN4vllm3moe17topkGatingSoftmaxIDF16_Li16ELi128ELi8ELi32ELb1ELi2ELNS0_23SharedExpertScoringFuncE1EEEvPKT_PKbPfiPiS9_iiiiii,@function
_ZN4vllm3moe17topkGatingSoftmaxIDF16_Li16ELi128ELi8ELi32ELb1ELi2ELNS0_23SharedExpertScoringFuncE1EEEvPKT_PKbPfiPiS9_iiiiii: ; @_ZN4vllm3moe17topkGatingSoftmaxIDF16_Li16ELi128ELi8ELi32ELb1ELi2ELNS0_23SharedExpertScoringFuncE1EEEvPKT_PKbPfiPiS9_iiiiii
; %bb.0:
	s_load_dword s33, s[4:5], 0x18
	v_bfe_u32 v1, v0, 10, 10
	v_and_b32_e32 v0, 0x3ff, v0
	s_lshl_b32 s50, s6, 6
	v_lshlrev_b32_e32 v41, 3, v1
	v_lshrrev_b32_e32 v42, 3, v0
	v_add3_u32 v22, s50, v41, v42
	s_waitcnt lgkmcnt(0)
	v_cmp_gt_i32_e32 vcc, s33, v22
	s_and_saveexec_b64 s[0:1], vcc
	s_cbranch_execz .LBB180_29
; %bb.1:
	s_load_dwordx4 s[0:3], s[4:5], 0x0
	s_load_dwordx2 s[34:35], s[4:5], 0x10
	s_waitcnt lgkmcnt(0)
	s_cmp_eq_u64 s[2:3], 0
	s_cbranch_scc1 .LBB180_3
; %bb.2:
	v_ashrrev_i32_e32 v1, 31, v22
	v_mov_b32_e32 v3, s3
	v_add_co_u32_e32 v2, vcc, s2, v22
	v_addc_co_u32_e32 v3, vcc, v3, v1, vcc
	global_load_ubyte v1, v[2:3], off
	s_waitcnt vmcnt(0)
	v_and_b32_e32 v1, 1, v1
	v_cmp_eq_u32_e32 vcc, 1, v1
	s_xor_b64 s[2:3], vcc, -1
	s_orn2_b64 s[44:45], s[2:3], exec
	s_branch .LBB180_4
.LBB180_3:
	s_mov_b64 s[44:45], -1
.LBB180_4:
	s_load_dwordx2 s[8:9], s[4:5], 0x40
	s_load_dwordx4 s[36:39], s[4:5], 0x30
	v_mov_b32_e32 v4, s1
	v_and_b32_e32 v23, 7, v0
	v_lshlrev_b32_e32 v0, 5, v23
	s_waitcnt lgkmcnt(0)
	v_mul_lo_u32 v2, v22, s9
	v_ashrrev_i32_e32 v3, 31, v2
	v_lshlrev_b64 v[2:3], 1, v[2:3]
	v_add_co_u32_e32 v1, vcc, s0, v2
	v_addc_co_u32_e32 v2, vcc, v4, v3, vcc
	v_add_co_u32_e32 v8, vcc, v1, v0
	v_addc_co_u32_e32 v9, vcc, 0, v2, vcc
	global_load_dwordx4 v[12:15], v[8:9], off offset:16
	global_load_dwordx4 v[4:7], v[8:9], off
	v_lshlrev_b32_e32 v25, 4, v23
	v_mov_b32_e32 v24, 0
	v_cmp_gt_u32_e32 vcc, 2, v23
	s_and_saveexec_b64 s[0:1], vcc
	s_cbranch_execz .LBB180_6
; %bb.5:
	v_lshlrev_b32_e32 v0, 1, v23
	v_add_co_u32_e32 v0, vcc, v1, v0
	v_addc_co_u32_e32 v1, vcc, 0, v2, vcc
	global_load_ushort v0, v[0:1], off offset:256
	s_mov_b32 s2, 0x3fb8aa3b
	s_mov_b32 s3, 0x32a5705f
	;; [unrolled: 1-line block ×4, first 2 shown]
	v_mov_b32_e32 v3, 0x7f800000
	v_mul_lo_u32 v1, v22, s39
	s_waitcnt vmcnt(0)
	v_cvt_f32_f16_e64 v2, -v0
	v_mul_f32_e32 v8, 0x3fb8aa3b, v2
	v_fma_mix_f32 v9, -v0, s2, -v8 op_sel_hi:[1,0,0]
	v_rndne_f32_e32 v10, v8
	v_fma_mix_f32 v0, -v0, s3, v9 op_sel_hi:[1,0,0]
	v_sub_f32_e32 v8, v8, v10
	v_add_f32_e32 v0, v8, v0
	v_cvt_i32_f32_e32 v9, v10
	v_exp_f32_e32 v8, v0
	v_cmp_ngt_f32_e32 vcc, s6, v2
	v_add3_u32 v0, v1, s36, v23
	v_ashrrev_i32_e32 v1, 31, v0
	v_ldexp_f32 v8, v8, v9
	v_cndmask_b32_e32 v8, 0, v8, vcc
	v_cmp_nlt_f32_e32 vcc, s7, v2
	v_cndmask_b32_e32 v2, v3, v8, vcc
	v_add_f32_e32 v2, 1.0, v2
	v_div_scale_f32 v3, s[2:3], v2, v2, 1.0
	v_rcp_f32_e32 v8, v3
	v_div_scale_f32 v9, vcc, 1.0, v2, 1.0
	v_lshlrev_b64 v[0:1], 2, v[0:1]
	v_fma_f32 v11, -v3, v8, 1.0
	v_fmac_f32_e32 v8, v11, v8
	v_mul_f32_e32 v11, v9, v8
	v_fma_f32 v16, -v3, v11, v9
	v_fmac_f32_e32 v11, v16, v8
	v_fma_f32 v3, -v3, v11, v9
	v_mov_b32_e32 v10, s35
	v_div_fmas_f32 v3, v3, v8, v11
	v_add_co_u32_e32 v0, vcc, s34, v0
	v_div_fixup_f32 v2, v3, v2, 1.0
	v_addc_co_u32_e32 v1, vcc, v10, v1, vcc
	global_store_dword v[0:1], v2, off
.LBB180_6:
	s_or_b64 exec, exec, s[0:1]
	s_waitcnt vmcnt(0)
	v_cvt_f32_f16_e32 v0, v4
	v_cvt_f32_f16_sdwa v1, v4 dst_sel:DWORD dst_unused:UNUSED_PAD src0_sel:WORD_1
	v_cvt_f32_f16_e32 v2, v5
	v_cmp_lt_f16_sdwa vcc, v4, v4 src0_sel:DWORD src1_sel:WORD_1
	v_or_b32_e32 v26, 1, v25
	v_cndmask_b32_e32 v4, v0, v1, vcc
	v_cndmask_b32_e32 v3, v25, v26, vcc
	v_or_b32_e32 v27, 2, v25
	v_cmp_lt_f32_e32 vcc, v4, v2
	v_cndmask_b32_e32 v8, v3, v27, vcc
	v_cvt_f32_f16_sdwa v3, v5 dst_sel:DWORD dst_unused:UNUSED_PAD src0_sel:WORD_1
	v_cndmask_b32_e32 v4, v4, v2, vcc
	v_or_b32_e32 v28, 3, v25
	v_or_b32_e32 v29, 4, v25
	v_cmp_lt_f32_e32 vcc, v4, v3
	v_cndmask_b32_e32 v5, v8, v28, vcc
	v_cndmask_b32_e32 v8, v4, v3, vcc
	v_cvt_f32_f16_e32 v4, v6
	v_or_b32_e32 v30, 5, v25
	v_or_b32_e32 v31, 6, v25
	;; [unrolled: 1-line block ×3, first 2 shown]
	v_cmp_lt_f32_e32 vcc, v8, v4
	v_cndmask_b32_e32 v9, v5, v29, vcc
	v_cvt_f32_f16_sdwa v5, v6 dst_sel:DWORD dst_unused:UNUSED_PAD src0_sel:WORD_1
	v_cvt_f32_f16_e32 v6, v7
	v_cndmask_b32_e32 v8, v8, v4, vcc
	v_cvt_f32_f16_sdwa v7, v7 dst_sel:DWORD dst_unused:UNUSED_PAD src0_sel:WORD_1
	v_cmp_lt_f32_e32 vcc, v8, v5
	v_cndmask_b32_e32 v8, v8, v5, vcc
	v_cndmask_b32_e32 v9, v9, v30, vcc
	v_cmp_lt_f32_e32 vcc, v8, v6
	v_cndmask_b32_e32 v8, v8, v6, vcc
	v_cndmask_b32_e32 v9, v9, v31, vcc
	v_cmp_lt_f32_e32 vcc, v8, v7
	v_cndmask_b32_e32 v10, v8, v7, vcc
	v_cvt_f32_f16_e32 v8, v12
	v_cndmask_b32_e32 v9, v9, v32, vcc
	v_or_b32_e32 v33, 8, v25
	v_or_b32_e32 v34, 9, v25
	v_cmp_lt_f32_e32 vcc, v10, v8
	v_cndmask_b32_e32 v11, v9, v33, vcc
	v_cvt_f32_f16_sdwa v9, v12 dst_sel:DWORD dst_unused:UNUSED_PAD src0_sel:WORD_1
	v_cndmask_b32_e32 v10, v10, v8, vcc
	v_or_b32_e32 v35, 10, v25
	v_or_b32_e32 v36, 11, v25
	v_cmp_lt_f32_e32 vcc, v10, v9
	v_cndmask_b32_e32 v12, v10, v9, vcc
	v_cvt_f32_f16_e32 v10, v13
	v_cndmask_b32_e32 v11, v11, v34, vcc
	v_or_b32_e32 v37, 12, v25
	v_or_b32_e32 v38, 13, v25
	v_cmp_lt_f32_e32 vcc, v12, v10
	v_cndmask_b32_e32 v16, v11, v35, vcc
	v_cvt_f32_f16_sdwa v11, v13 dst_sel:DWORD dst_unused:UNUSED_PAD src0_sel:WORD_1
	v_cndmask_b32_e32 v12, v12, v10, vcc
	v_or_b32_e32 v39, 14, v25
	v_or_b32_e32 v40, 15, v25
	v_cmp_lt_f32_e32 vcc, v12, v11
	v_cndmask_b32_e32 v13, v16, v36, vcc
	v_cndmask_b32_e32 v16, v12, v11, vcc
	v_cvt_f32_f16_e32 v12, v14
	v_cmp_lt_f32_e32 vcc, v16, v12
	v_cndmask_b32_e32 v17, v13, v37, vcc
	v_cvt_f32_f16_sdwa v13, v14 dst_sel:DWORD dst_unused:UNUSED_PAD src0_sel:WORD_1
	v_cvt_f32_f16_e32 v14, v15
	v_cndmask_b32_e32 v16, v16, v12, vcc
	v_cvt_f32_f16_sdwa v15, v15 dst_sel:DWORD dst_unused:UNUSED_PAD src0_sel:WORD_1
	v_cmp_lt_f32_e32 vcc, v16, v13
	v_cndmask_b32_e32 v16, v16, v13, vcc
	v_cndmask_b32_e32 v17, v17, v38, vcc
	v_cmp_lt_f32_e32 vcc, v16, v14
	v_cndmask_b32_e32 v16, v16, v14, vcc
	v_cndmask_b32_e32 v17, v17, v39, vcc
	;; [unrolled: 3-line block ×3, first 2 shown]
	s_nop 0
	v_mov_b32_dpp v19, v17 quad_perm:[1,0,3,2] row_mask:0xf bank_mask:0xf
	v_mov_b32_dpp v18, v16 quad_perm:[1,0,3,2] row_mask:0xf bank_mask:0xf
	v_cmp_eq_f32_e64 s[0:1], v16, v18
	v_cmp_lt_i32_e64 s[2:3], v19, v17
	v_cmp_lt_f32_e32 vcc, v16, v18
	s_and_b64 s[0:1], s[0:1], s[2:3]
	s_or_b64 vcc, vcc, s[0:1]
	v_cndmask_b32_e32 v16, v16, v18, vcc
	v_cndmask_b32_e32 v17, v17, v19, vcc
	s_nop 0
	v_mov_b32_dpp v18, v16 quad_perm:[2,3,0,1] row_mask:0xf bank_mask:0xf
	v_mov_b32_dpp v19, v17 quad_perm:[2,3,0,1] row_mask:0xf bank_mask:0xf
	v_cmp_eq_f32_e64 s[0:1], v16, v18
	v_cmp_lt_i32_e64 s[2:3], v19, v17
	v_cmp_lt_f32_e32 vcc, v16, v18
	s_and_b64 s[0:1], s[0:1], s[2:3]
	s_or_b64 vcc, vcc, s[0:1]
	v_cndmask_b32_e32 v16, v16, v18, vcc
	v_cndmask_b32_e32 v17, v17, v19, vcc
	s_cmp_gt_i32 s36, 0
	s_cselect_b64 s[46:47], -1, 0
	s_cmp_lt_i32 s36, 1
	v_cmp_eq_u32_e32 vcc, 0, v23
	v_mov_b32_dpp v18, v17 row_half_mirror row_mask:0xf bank_mask:0xf
	v_mov_b32_dpp v19, v16 row_half_mirror row_mask:0xf bank_mask:0xf
	s_cbranch_scc1 .LBB180_18
; %bb.7:
	s_load_dwordx4 s[40:43], s[4:5], 0x20
	v_cmp_eq_f32_e64 s[2:3], v16, v19
	v_cmp_lt_i32_e64 s[6:7], v18, v17
	v_cmp_lt_f32_e64 s[0:1], v16, v19
	s_and_b64 s[2:3], s[2:3], s[6:7]
	s_or_b64 s[0:1], s[0:1], s[2:3]
	v_cndmask_b32_e64 v44, v17, v18, s[0:1]
	v_cndmask_b32_e64 v43, v16, v19, s[0:1]
	v_mul_lo_u32 v20, v22, s39
	v_mul_lo_u32 v18, v22, s8
	;; [unrolled: 1-line block ×3, first 2 shown]
	v_mov_b32_e32 v24, 0
	s_and_saveexec_b64 s[4:5], vcc
	s_cbranch_execz .LBB180_9
; %bb.8:
	v_sub_f32_e32 v17, v43, v43
	v_mul_f32_e32 v19, 0x3fb8aa3b, v17
	s_mov_b32 s0, 0x3fb8aa3b
	v_rndne_f32_e32 v21, v19
	v_sub_f32_e32 v24, v19, v21
	v_fma_f32 v19, v17, s0, -v19
	v_fmac_f32_e32 v19, 0x32a5705f, v17
	v_add_f32_e32 v19, v24, v19
	v_exp_f32_e32 v19, v19
	v_cvt_i32_f32_e32 v21, v21
	v_cmp_le_i32_e64 s[0:1], s37, v44
	v_cmp_gt_i32_e64 s[2:3], s38, v44
	s_and_b64 s[2:3], s[0:1], s[2:3]
	s_mov_b32 s0, 0xc2ce8ed0
	v_ldexp_f32 v19, v19, v21
	v_cmp_ngt_f32_e64 s[0:1], s0, v17
	v_cndmask_b32_e64 v19, 0, v19, s[0:1]
	s_mov_b32 s0, 0x42b17218
	v_mov_b32_e32 v21, 0x7f800000
	v_cmp_nlt_f32_e64 s[0:1], s0, v17
	v_cndmask_b32_e64 v24, v21, v19, s[0:1]
	v_ashrrev_i32_e32 v21, 31, v20
	v_lshlrev_b64 v[46:47], 2, v[20:21]
	v_mov_b32_e32 v17, s35
	v_add_co_u32_e64 v46, s[0:1], s34, v46
	v_addc_co_u32_e64 v47, s[0:1], v17, v47, s[0:1]
	v_subrev_u32_e32 v17, s37, v44
	v_mov_b32_e32 v19, 0x80
	s_and_b64 s[0:1], s[44:45], s[2:3]
	v_cndmask_b32_e64 v17, v19, v17, s[0:1]
	v_ashrrev_i32_e32 v19, 31, v18
	global_store_dword v[46:47], v24, off
	v_lshlrev_b64 v[46:47], 2, v[18:19]
	s_waitcnt lgkmcnt(0)
	v_mov_b32_e32 v19, s41
	v_add_co_u32_e64 v46, s[0:1], s40, v46
	v_addc_co_u32_e64 v47, s[0:1], v19, v47, s[0:1]
	global_store_dword v[46:47], v17, off
	v_ashrrev_i32_e32 v17, 31, v16
	v_lshlrev_b64 v[46:47], 2, v[16:17]
	v_mov_b32_e32 v17, s43
	v_add_co_u32_e64 v46, s[0:1], s42, v46
	v_addc_co_u32_e64 v47, s[0:1], v17, v47, s[0:1]
	global_store_dword v[46:47], v22, off
.LBB180_9:
	s_or_b64 exec, exec, s[4:5]
	v_ashrrev_i32_e32 v19, 31, v44
	v_lshrrev_b32_e32 v17, 28, v19
	v_add_u32_e32 v17, v44, v17
	v_ashrrev_i32_e32 v17, 4, v17
	v_lshrrev_b32_e32 v21, 29, v17
	v_add_u32_e32 v21, v17, v21
	v_and_b32_e32 v21, -8, v21
	v_sub_u32_e32 v21, v17, v21
	v_cmp_eq_u32_e64 s[0:1], v23, v21
	s_and_saveexec_b64 s[48:49], s[0:1]
	s_cbranch_execz .LBB180_11
; %bb.10:
	v_lshrrev_b32_e32 v19, 25, v19
	v_add_u32_e32 v19, v44, v19
	v_lshlrev_b32_e32 v17, 4, v17
	v_sub_u32_e32 v17, v44, v17
	v_ashrrev_i32_e32 v19, 7, v19
	v_lshl_add_u32 v17, v19, 4, v17
	v_mov_b32_e32 v19, 0xff800000
	v_cmp_ne_u32_e64 s[0:1], 14, v17
	v_cmp_ne_u32_e64 s[2:3], 13, v17
	;; [unrolled: 1-line block ×16, first 2 shown]
	v_cndmask_b32_e64 v15, v19, v15, s[30:31]
	v_cndmask_b32_e64 v14, v19, v14, s[0:1]
	;; [unrolled: 1-line block ×16, first 2 shown]
.LBB180_11:
	s_or_b64 exec, exec, s[48:49]
	s_cmp_eq_u32 s36, 1
	s_cbranch_scc1 .LBB180_18
; %bb.12:
	s_add_i32 s50, s50, s33
	s_add_i32 s51, s36, -1
	v_add3_u32 v41, s50, v42, v41
	v_add_u32_e32 v16, 1, v16
	v_add_u32_e32 v18, 1, v18
	;; [unrolled: 1-line block ×3, first 2 shown]
	s_mov_b32 s50, 0x3fb8aa3b
	s_mov_b32 s52, 0xc2ce8ed0
	;; [unrolled: 1-line block ×3, first 2 shown]
	v_mov_b32_e32 v42, 0x7f800000
	v_mov_b32_e32 v44, 0x80
	;; [unrolled: 1-line block ×3, first 2 shown]
	s_branch .LBB180_14
.LBB180_13:                             ;   in Loop: Header=BB180_14 Depth=1
	s_or_b64 exec, exec, s[48:49]
	s_add_i32 s51, s51, -1
	v_add_u32_e32 v41, s33, v41
	v_add_u32_e32 v16, 1, v16
	;; [unrolled: 1-line block ×3, first 2 shown]
	s_cmp_eq_u32 s51, 0
	v_add_u32_e32 v20, 1, v20
	s_cbranch_scc1 .LBB180_18
.LBB180_14:                             ; =>This Inner Loop Header: Depth=1
	v_cmp_gt_f32_e64 s[0:1], v1, v0
	v_cndmask_b32_e64 v19, v0, v1, s[0:1]
	v_cndmask_b32_e64 v17, v25, v26, s[0:1]
	v_cmp_gt_f32_e64 s[0:1], v2, v19
	v_cndmask_b32_e64 v19, v19, v2, s[0:1]
	v_cndmask_b32_e64 v17, v17, v27, s[0:1]
	;; [unrolled: 3-line block ×15, first 2 shown]
	s_nop 0
	v_mov_b32_dpp v46, v17 quad_perm:[1,0,3,2] row_mask:0xf bank_mask:0xf
	v_mov_b32_dpp v21, v19 quad_perm:[1,0,3,2] row_mask:0xf bank_mask:0xf
	v_cmp_eq_f32_e64 s[2:3], v19, v21
	v_cmp_lt_i32_e64 s[4:5], v46, v17
	v_cmp_lt_f32_e64 s[0:1], v19, v21
	s_and_b64 s[2:3], s[2:3], s[4:5]
	s_or_b64 s[0:1], s[0:1], s[2:3]
	v_cndmask_b32_e64 v19, v19, v21, s[0:1]
	v_cndmask_b32_e64 v21, v17, v46, s[0:1]
	s_nop 0
	v_mov_b32_dpp v17, v19 quad_perm:[2,3,0,1] row_mask:0xf bank_mask:0xf
	v_mov_b32_dpp v46, v21 quad_perm:[2,3,0,1] row_mask:0xf bank_mask:0xf
	v_cmp_eq_f32_e64 s[2:3], v19, v17
	v_cmp_lt_i32_e64 s[4:5], v46, v21
	v_cmp_lt_f32_e64 s[0:1], v19, v17
	s_and_b64 s[2:3], s[2:3], s[4:5]
	s_or_b64 s[0:1], s[0:1], s[2:3]
	v_cndmask_b32_e64 v17, v19, v17, s[0:1]
	v_cndmask_b32_e64 v21, v21, v46, s[0:1]
	s_nop 0
	v_mov_b32_dpp v19, v17 row_half_mirror row_mask:0xf bank_mask:0xf
	v_mov_b32_dpp v46, v21 row_half_mirror row_mask:0xf bank_mask:0xf
	v_cmp_eq_f32_e64 s[2:3], v17, v19
	v_cmp_lt_i32_e64 s[4:5], v46, v21
	v_cmp_lt_f32_e64 s[0:1], v17, v19
	s_and_b64 s[2:3], s[2:3], s[4:5]
	s_or_b64 s[0:1], s[0:1], s[2:3]
	v_cndmask_b32_e64 v46, v21, v46, s[0:1]
	s_and_saveexec_b64 s[4:5], vcc
	s_cbranch_execz .LBB180_16
; %bb.15:                               ;   in Loop: Header=BB180_14 Depth=1
	v_cndmask_b32_e64 v17, v17, v19, s[0:1]
	v_sub_f32_e32 v17, v17, v43
	v_mul_f32_e32 v19, 0x3fb8aa3b, v17
	v_fma_f32 v21, v17, s50, -v19
	v_rndne_f32_e32 v47, v19
	v_fmac_f32_e32 v21, 0x32a5705f, v17
	v_sub_f32_e32 v19, v19, v47
	v_add_f32_e32 v19, v19, v21
	v_exp_f32_e32 v19, v19
	v_cvt_i32_f32_e32 v21, v47
	v_cmp_le_i32_e64 s[0:1], s37, v46
	v_cmp_gt_i32_e64 s[2:3], s38, v46
	s_and_b64 s[2:3], s[0:1], s[2:3]
	v_ldexp_f32 v19, v19, v21
	v_cmp_ngt_f32_e64 s[0:1], s52, v17
	v_ashrrev_i32_e32 v21, 31, v20
	v_cndmask_b32_e64 v19, 0, v19, s[0:1]
	v_cmp_nlt_f32_e64 s[0:1], s53, v17
	v_lshlrev_b64 v[48:49], 2, v[20:21]
	v_cndmask_b32_e64 v47, v42, v19, s[0:1]
	v_mov_b32_e32 v17, s35
	v_add_co_u32_e64 v48, s[0:1], s34, v48
	v_addc_co_u32_e64 v49, s[0:1], v17, v49, s[0:1]
	v_ashrrev_i32_e32 v19, 31, v18
	global_store_dword v[48:49], v47, off
	v_subrev_u32_e32 v17, s37, v46
	s_and_b64 s[0:1], s[44:45], s[2:3]
	v_lshlrev_b64 v[48:49], 2, v[18:19]
	v_cndmask_b32_e64 v17, v44, v17, s[0:1]
	s_waitcnt lgkmcnt(0)
	v_mov_b32_e32 v19, s41
	v_add_co_u32_e64 v48, s[0:1], s40, v48
	v_addc_co_u32_e64 v49, s[0:1], v19, v49, s[0:1]
	global_store_dword v[48:49], v17, off
	v_ashrrev_i32_e32 v17, 31, v16
	v_lshlrev_b64 v[48:49], 2, v[16:17]
	v_mov_b32_e32 v17, s43
	v_add_co_u32_e64 v48, s[0:1], s42, v48
	v_addc_co_u32_e64 v49, s[0:1], v17, v49, s[0:1]
	v_add_f32_e32 v24, v24, v47
	global_store_dword v[48:49], v41, off
.LBB180_16:                             ;   in Loop: Header=BB180_14 Depth=1
	s_or_b64 exec, exec, s[4:5]
	v_ashrrev_i32_e32 v19, 31, v46
	v_lshrrev_b32_e32 v17, 28, v19
	v_add_u32_e32 v17, v46, v17
	v_ashrrev_i32_e32 v17, 4, v17
	v_lshrrev_b32_e32 v21, 29, v17
	v_add_u32_e32 v21, v17, v21
	v_and_b32_e32 v21, -8, v21
	v_sub_u32_e32 v21, v17, v21
	v_cmp_eq_u32_e64 s[0:1], v23, v21
	s_and_saveexec_b64 s[48:49], s[0:1]
	s_cbranch_execz .LBB180_13
; %bb.17:                               ;   in Loop: Header=BB180_14 Depth=1
	v_lshrrev_b32_e32 v19, 25, v19
	v_add_u32_e32 v19, v46, v19
	v_lshlrev_b32_e32 v17, 4, v17
	v_sub_u32_e32 v17, v46, v17
	v_ashrrev_i32_e32 v19, 7, v19
	v_lshl_add_u32 v17, v19, 4, v17
	v_cmp_ne_u32_e64 s[0:1], 14, v17
	v_cmp_ne_u32_e64 s[2:3], 13, v17
	;; [unrolled: 1-line block ×16, first 2 shown]
	v_cndmask_b32_e64 v15, v45, v15, s[30:31]
	v_cndmask_b32_e64 v14, v45, v14, s[0:1]
	;; [unrolled: 1-line block ×16, first 2 shown]
	s_branch .LBB180_13
.LBB180_18:
	v_cmp_eq_u32_e32 vcc, 0, v23
	v_cmp_neq_f32_e64 s[0:1], 0, v24
	s_and_b64 s[0:1], vcc, s[0:1]
	s_and_b64 exec, exec, s[0:1]
	s_cbranch_execz .LBB180_29
; %bb.19:
	s_andn2_b64 vcc, exec, s[46:47]
	s_cbranch_vccnz .LBB180_29
; %bb.20:
	v_div_scale_f32 v0, s[0:1], v24, v24, 1.0
	v_rcp_f32_e32 v1, v0
	v_div_scale_f32 v2, vcc, 1.0, v24, 1.0
	s_cmp_gt_u32 s36, 3
	v_fma_f32 v3, -v0, v1, 1.0
	v_fmac_f32_e32 v1, v3, v1
	v_mul_f32_e32 v3, v2, v1
	v_fma_f32 v4, -v0, v3, v2
	v_fmac_f32_e32 v3, v4, v1
	v_fma_f32 v0, -v0, v3, v2
	v_div_fmas_f32 v0, v0, v1, v3
	v_mul_lo_u32 v2, v22, s39
	v_div_fixup_f32 v0, v0, v24, 1.0
	v_ashrrev_i32_e32 v3, 31, v2
	s_cbranch_scc0 .LBB180_24
; %bb.21:
	v_lshlrev_b64 v[4:5], 2, v[2:3]
	v_mov_b32_e32 v6, s35
	v_add_co_u32_e32 v4, vcc, s34, v4
	v_addc_co_u32_e32 v5, vcc, v5, v6, vcc
	s_and_b32 s4, s36, 0x7ffffffc
	v_add_co_u32_e32 v4, vcc, 8, v4
	v_mov_b32_e32 v1, v0
	v_addc_co_u32_e32 v5, vcc, 0, v5, vcc
	s_mov_b32 s0, s4
.LBB180_22:                             ; =>This Inner Loop Header: Depth=1
	global_load_dwordx4 v[6:9], v[4:5], off offset:-8
	s_add_i32 s0, s0, -4
	s_cmp_lg_u32 s0, 0
	s_waitcnt vmcnt(0)
	v_pk_mul_f32 v[6:7], v[0:1], v[6:7]
	v_pk_mul_f32 v[8:9], v[0:1], v[8:9]
	global_store_dwordx4 v[4:5], v[6:9], off offset:-8
	v_add_co_u32_e32 v4, vcc, 16, v4
	v_addc_co_u32_e32 v5, vcc, 0, v5, vcc
	s_cbranch_scc1 .LBB180_22
; %bb.23:
	s_cmp_lg_u32 s4, s36
	s_cselect_b64 s[0:1], -1, 0
	s_branch .LBB180_26
.LBB180_24:
	s_mov_b64 s[0:1], 0
                                        ; implicit-def: $sgpr4
	s_cbranch_execz .LBB180_26
; %bb.25:
	s_mov_b64 s[0:1], -1
	s_mov_b32 s4, 0
.LBB180_26:
	s_andn2_b64 vcc, exec, s[0:1]
	s_cbranch_vccnz .LBB180_29
; %bb.27:
	v_add_co_u32_e32 v2, vcc, s4, v2
	v_addc_co_u32_e32 v3, vcc, 0, v3, vcc
	v_lshlrev_b64 v[2:3], 2, v[2:3]
	v_mov_b32_e32 v1, s35
	v_add_co_u32_e32 v2, vcc, s34, v2
	s_sub_i32 s0, s36, s4
	v_addc_co_u32_e32 v3, vcc, v1, v3, vcc
.LBB180_28:                             ; =>This Inner Loop Header: Depth=1
	global_load_dword v1, v[2:3], off
	s_add_i32 s0, s0, -1
	s_cmp_lg_u32 s0, 0
	s_waitcnt vmcnt(0)
	v_mul_f32_e32 v1, v0, v1
	global_store_dword v[2:3], v1, off
	v_add_co_u32_e32 v2, vcc, 4, v2
	v_addc_co_u32_e32 v3, vcc, 0, v3, vcc
	s_cbranch_scc1 .LBB180_28
.LBB180_29:
	s_endpgm
	.section	.rodata,"a",@progbits
	.p2align	6, 0x0
	.amdhsa_kernel _ZN4vllm3moe17topkGatingSoftmaxIDF16_Li16ELi128ELi8ELi32ELb1ELi2ELNS0_23SharedExpertScoringFuncE1EEEvPKT_PKbPfiPiS9_iiiiii
		.amdhsa_group_segment_fixed_size 0
		.amdhsa_private_segment_fixed_size 0
		.amdhsa_kernarg_size 72
		.amdhsa_user_sgpr_count 6
		.amdhsa_user_sgpr_private_segment_buffer 1
		.amdhsa_user_sgpr_dispatch_ptr 0
		.amdhsa_user_sgpr_queue_ptr 0
		.amdhsa_user_sgpr_kernarg_segment_ptr 1
		.amdhsa_user_sgpr_dispatch_id 0
		.amdhsa_user_sgpr_flat_scratch_init 0
		.amdhsa_user_sgpr_kernarg_preload_length 0
		.amdhsa_user_sgpr_kernarg_preload_offset 0
		.amdhsa_user_sgpr_private_segment_size 0
		.amdhsa_uses_dynamic_stack 0
		.amdhsa_system_sgpr_private_segment_wavefront_offset 0
		.amdhsa_system_sgpr_workgroup_id_x 1
		.amdhsa_system_sgpr_workgroup_id_y 0
		.amdhsa_system_sgpr_workgroup_id_z 0
		.amdhsa_system_sgpr_workgroup_info 0
		.amdhsa_system_vgpr_workitem_id 1
		.amdhsa_next_free_vgpr 50
		.amdhsa_next_free_sgpr 54
		.amdhsa_accum_offset 52
		.amdhsa_reserve_vcc 1
		.amdhsa_reserve_flat_scratch 0
		.amdhsa_float_round_mode_32 0
		.amdhsa_float_round_mode_16_64 0
		.amdhsa_float_denorm_mode_32 3
		.amdhsa_float_denorm_mode_16_64 3
		.amdhsa_dx10_clamp 1
		.amdhsa_ieee_mode 1
		.amdhsa_fp16_overflow 0
		.amdhsa_tg_split 0
		.amdhsa_exception_fp_ieee_invalid_op 0
		.amdhsa_exception_fp_denorm_src 0
		.amdhsa_exception_fp_ieee_div_zero 0
		.amdhsa_exception_fp_ieee_overflow 0
		.amdhsa_exception_fp_ieee_underflow 0
		.amdhsa_exception_fp_ieee_inexact 0
		.amdhsa_exception_int_div_zero 0
	.end_amdhsa_kernel
	.section	.text._ZN4vllm3moe17topkGatingSoftmaxIDF16_Li16ELi128ELi8ELi32ELb1ELi2ELNS0_23SharedExpertScoringFuncE1EEEvPKT_PKbPfiPiS9_iiiiii,"axG",@progbits,_ZN4vllm3moe17topkGatingSoftmaxIDF16_Li16ELi128ELi8ELi32ELb1ELi2ELNS0_23SharedExpertScoringFuncE1EEEvPKT_PKbPfiPiS9_iiiiii,comdat
.Lfunc_end180:
	.size	_ZN4vllm3moe17topkGatingSoftmaxIDF16_Li16ELi128ELi8ELi32ELb1ELi2ELNS0_23SharedExpertScoringFuncE1EEEvPKT_PKbPfiPiS9_iiiiii, .Lfunc_end180-_ZN4vllm3moe17topkGatingSoftmaxIDF16_Li16ELi128ELi8ELi32ELb1ELi2ELNS0_23SharedExpertScoringFuncE1EEEvPKT_PKbPfiPiS9_iiiiii
                                        ; -- End function
	.section	.AMDGPU.csdata,"",@progbits
; Kernel info:
; codeLenInByte = 3356
; NumSgprs: 58
; NumVgprs: 50
; NumAgprs: 0
; TotalNumVgprs: 50
; ScratchSize: 0
; MemoryBound: 0
; FloatMode: 240
; IeeeMode: 1
; LDSByteSize: 0 bytes/workgroup (compile time only)
; SGPRBlocks: 7
; VGPRBlocks: 6
; NumSGPRsForWavesPerEU: 58
; NumVGPRsForWavesPerEU: 50
; AccumOffset: 52
; Occupancy: 8
; WaveLimiterHint : 0
; COMPUTE_PGM_RSRC2:SCRATCH_EN: 0
; COMPUTE_PGM_RSRC2:USER_SGPR: 6
; COMPUTE_PGM_RSRC2:TRAP_HANDLER: 0
; COMPUTE_PGM_RSRC2:TGID_X_EN: 1
; COMPUTE_PGM_RSRC2:TGID_Y_EN: 0
; COMPUTE_PGM_RSRC2:TGID_Z_EN: 0
; COMPUTE_PGM_RSRC2:TIDIG_COMP_CNT: 1
; COMPUTE_PGM_RSRC3_GFX90A:ACCUM_OFFSET: 12
; COMPUTE_PGM_RSRC3_GFX90A:TG_SPLIT: 0
	.section	.text._ZN4vllm3moe17topkGatingSoftmaxIDF16_Li16ELi128ELi8ELi32ELb0ELi2ELNS0_23SharedExpertScoringFuncE1EEEvPKT_PKbPfiPiS9_iiiiii,"axG",@progbits,_ZN4vllm3moe17topkGatingSoftmaxIDF16_Li16ELi128ELi8ELi32ELb0ELi2ELNS0_23SharedExpertScoringFuncE1EEEvPKT_PKbPfiPiS9_iiiiii,comdat
	.protected	_ZN4vllm3moe17topkGatingSoftmaxIDF16_Li16ELi128ELi8ELi32ELb0ELi2ELNS0_23SharedExpertScoringFuncE1EEEvPKT_PKbPfiPiS9_iiiiii ; -- Begin function _ZN4vllm3moe17topkGatingSoftmaxIDF16_Li16ELi128ELi8ELi32ELb0ELi2ELNS0_23SharedExpertScoringFuncE1EEEvPKT_PKbPfiPiS9_iiiiii
	.globl	_ZN4vllm3moe17topkGatingSoftmaxIDF16_Li16ELi128ELi8ELi32ELb0ELi2ELNS0_23SharedExpertScoringFuncE1EEEvPKT_PKbPfiPiS9_iiiiii
	.p2align	8
	.type	_ZN4vllm3moe17topkGatingSoftmaxIDF16_Li16ELi128ELi8ELi32ELb0ELi2ELNS0_23SharedExpertScoringFuncE1EEEvPKT_PKbPfiPiS9_iiiiii,@function
_ZN4vllm3moe17topkGatingSoftmaxIDF16_Li16ELi128ELi8ELi32ELb0ELi2ELNS0_23SharedExpertScoringFuncE1EEEvPKT_PKbPfiPiS9_iiiiii: ; @_ZN4vllm3moe17topkGatingSoftmaxIDF16_Li16ELi128ELi8ELi32ELb0ELi2ELNS0_23SharedExpertScoringFuncE1EEEvPKT_PKbPfiPiS9_iiiiii
; %bb.0:
	s_load_dword s33, s[4:5], 0x18
	v_bfe_u32 v1, v0, 10, 10
	v_and_b32_e32 v0, 0x3ff, v0
	s_lshl_b32 s50, s6, 6
	v_lshlrev_b32_e32 v41, 3, v1
	v_lshrrev_b32_e32 v43, 3, v0
	v_add3_u32 v22, s50, v41, v43
	s_waitcnt lgkmcnt(0)
	v_cmp_gt_i32_e32 vcc, s33, v22
	s_and_saveexec_b64 s[0:1], vcc
	s_cbranch_execz .LBB181_31
; %bb.1:
	s_load_dwordx4 s[0:3], s[4:5], 0x0
	s_load_dwordx2 s[34:35], s[4:5], 0x10
	s_waitcnt lgkmcnt(0)
	s_cmp_eq_u64 s[2:3], 0
	s_cbranch_scc1 .LBB181_3
; %bb.2:
	v_ashrrev_i32_e32 v1, 31, v22
	v_mov_b32_e32 v3, s3
	v_add_co_u32_e32 v2, vcc, s2, v22
	v_addc_co_u32_e32 v3, vcc, v3, v1, vcc
	global_load_ubyte v1, v[2:3], off
	s_waitcnt vmcnt(0)
	v_and_b32_e32 v1, 1, v1
	v_cmp_eq_u32_e32 vcc, 1, v1
	s_xor_b64 s[2:3], vcc, -1
	s_orn2_b64 s[46:47], s[2:3], exec
	s_branch .LBB181_4
.LBB181_3:
	s_mov_b64 s[46:47], -1
.LBB181_4:
	s_load_dwordx2 s[6:7], s[4:5], 0x40
	s_load_dwordx4 s[36:39], s[4:5], 0x30
	v_mov_b32_e32 v4, s1
	v_and_b32_e32 v23, 7, v0
	v_lshlrev_b32_e32 v0, 5, v23
	s_waitcnt lgkmcnt(0)
	v_mul_lo_u32 v2, v22, s7
	v_ashrrev_i32_e32 v3, 31, v2
	v_lshlrev_b64 v[2:3], 1, v[2:3]
	v_add_co_u32_e32 v1, vcc, s0, v2
	v_addc_co_u32_e32 v2, vcc, v4, v3, vcc
	v_add_co_u32_e32 v8, vcc, v1, v0
	v_addc_co_u32_e32 v9, vcc, 0, v2, vcc
	global_load_dwordx4 v[12:15], v[8:9], off offset:16
	global_load_dwordx4 v[4:7], v[8:9], off
	v_lshlrev_b32_e32 v26, 4, v23
	v_mov_b32_e32 v24, 0
	v_cmp_gt_u32_e32 vcc, 2, v23
	s_and_saveexec_b64 s[0:1], vcc
	s_cbranch_execz .LBB181_6
; %bb.5:
	v_lshlrev_b32_e32 v0, 1, v23
	v_add_co_u32_e32 v0, vcc, v1, v0
	v_addc_co_u32_e32 v1, vcc, 0, v2, vcc
	global_load_ushort v0, v[0:1], off offset:256
	s_mov_b32 s2, 0x3fb8aa3b
	s_mov_b32 s3, 0x32a5705f
	;; [unrolled: 1-line block ×4, first 2 shown]
	v_mov_b32_e32 v3, 0x7f800000
	v_mul_lo_u32 v1, v22, s39
	s_waitcnt vmcnt(0)
	v_cvt_f32_f16_e64 v2, -v0
	v_mul_f32_e32 v8, 0x3fb8aa3b, v2
	v_fma_mix_f32 v9, -v0, s2, -v8 op_sel_hi:[1,0,0]
	v_rndne_f32_e32 v10, v8
	v_fma_mix_f32 v0, -v0, s3, v9 op_sel_hi:[1,0,0]
	v_sub_f32_e32 v8, v8, v10
	v_add_f32_e32 v0, v8, v0
	v_cvt_i32_f32_e32 v9, v10
	v_exp_f32_e32 v8, v0
	v_cmp_ngt_f32_e32 vcc, s7, v2
	v_add3_u32 v0, v1, s36, v23
	v_ashrrev_i32_e32 v1, 31, v0
	v_ldexp_f32 v8, v8, v9
	v_cndmask_b32_e32 v8, 0, v8, vcc
	v_cmp_nlt_f32_e32 vcc, s8, v2
	v_cndmask_b32_e32 v2, v3, v8, vcc
	v_add_f32_e32 v2, 1.0, v2
	v_div_scale_f32 v3, s[2:3], v2, v2, 1.0
	v_rcp_f32_e32 v8, v3
	v_div_scale_f32 v9, vcc, 1.0, v2, 1.0
	v_lshlrev_b64 v[0:1], 2, v[0:1]
	v_fma_f32 v11, -v3, v8, 1.0
	v_fmac_f32_e32 v8, v11, v8
	v_mul_f32_e32 v11, v9, v8
	v_fma_f32 v16, -v3, v11, v9
	v_fmac_f32_e32 v11, v16, v8
	v_fma_f32 v3, -v3, v11, v9
	v_mov_b32_e32 v10, s35
	v_div_fmas_f32 v3, v3, v8, v11
	v_add_co_u32_e32 v0, vcc, s34, v0
	v_div_fixup_f32 v2, v3, v2, 1.0
	v_addc_co_u32_e32 v1, vcc, v10, v1, vcc
	global_store_dword v[0:1], v2, off
.LBB181_6:
	s_or_b64 exec, exec, s[0:1]
	s_waitcnt vmcnt(0)
	v_cvt_f32_f16_e32 v0, v4
	v_cvt_f32_f16_sdwa v1, v4 dst_sel:DWORD dst_unused:UNUSED_PAD src0_sel:WORD_1
	v_cvt_f32_f16_e32 v2, v5
	v_cmp_lt_f16_sdwa vcc, v4, v4 src0_sel:DWORD src1_sel:WORD_1
	v_or_b32_e32 v27, 1, v26
	v_cndmask_b32_e32 v4, v0, v1, vcc
	v_cndmask_b32_e32 v3, v26, v27, vcc
	v_or_b32_e32 v28, 2, v26
	v_cmp_lt_f32_e32 vcc, v4, v2
	v_cndmask_b32_e32 v8, v3, v28, vcc
	v_cvt_f32_f16_sdwa v3, v5 dst_sel:DWORD dst_unused:UNUSED_PAD src0_sel:WORD_1
	v_cndmask_b32_e32 v4, v4, v2, vcc
	v_or_b32_e32 v29, 3, v26
	v_or_b32_e32 v30, 4, v26
	v_cmp_lt_f32_e32 vcc, v4, v3
	v_cndmask_b32_e32 v5, v8, v29, vcc
	v_cndmask_b32_e32 v8, v4, v3, vcc
	v_cvt_f32_f16_e32 v4, v6
	v_or_b32_e32 v31, 5, v26
	v_or_b32_e32 v32, 6, v26
	v_or_b32_e32 v33, 7, v26
	v_cmp_lt_f32_e32 vcc, v8, v4
	v_cndmask_b32_e32 v9, v5, v30, vcc
	v_cvt_f32_f16_sdwa v5, v6 dst_sel:DWORD dst_unused:UNUSED_PAD src0_sel:WORD_1
	v_cvt_f32_f16_e32 v6, v7
	v_cndmask_b32_e32 v8, v8, v4, vcc
	v_cvt_f32_f16_sdwa v7, v7 dst_sel:DWORD dst_unused:UNUSED_PAD src0_sel:WORD_1
	v_cmp_lt_f32_e32 vcc, v8, v5
	v_cndmask_b32_e32 v8, v8, v5, vcc
	v_cndmask_b32_e32 v9, v9, v31, vcc
	v_cmp_lt_f32_e32 vcc, v8, v6
	v_cndmask_b32_e32 v8, v8, v6, vcc
	v_cndmask_b32_e32 v9, v9, v32, vcc
	v_cmp_lt_f32_e32 vcc, v8, v7
	v_cndmask_b32_e32 v10, v8, v7, vcc
	v_cvt_f32_f16_e32 v8, v12
	v_cndmask_b32_e32 v9, v9, v33, vcc
	v_or_b32_e32 v34, 8, v26
	v_or_b32_e32 v35, 9, v26
	v_cmp_lt_f32_e32 vcc, v10, v8
	v_cndmask_b32_e32 v11, v9, v34, vcc
	v_cvt_f32_f16_sdwa v9, v12 dst_sel:DWORD dst_unused:UNUSED_PAD src0_sel:WORD_1
	v_cndmask_b32_e32 v10, v10, v8, vcc
	v_or_b32_e32 v36, 10, v26
	v_or_b32_e32 v37, 11, v26
	v_cmp_lt_f32_e32 vcc, v10, v9
	v_cndmask_b32_e32 v12, v10, v9, vcc
	v_cvt_f32_f16_e32 v10, v13
	v_cndmask_b32_e32 v11, v11, v35, vcc
	v_or_b32_e32 v38, 12, v26
	v_or_b32_e32 v39, 13, v26
	v_cmp_lt_f32_e32 vcc, v12, v10
	v_cndmask_b32_e32 v16, v11, v36, vcc
	v_cvt_f32_f16_sdwa v11, v13 dst_sel:DWORD dst_unused:UNUSED_PAD src0_sel:WORD_1
	v_cndmask_b32_e32 v12, v12, v10, vcc
	v_or_b32_e32 v40, 14, v26
	v_or_b32_e32 v42, 15, v26
	v_cmp_lt_f32_e32 vcc, v12, v11
	v_cndmask_b32_e32 v13, v16, v37, vcc
	v_cndmask_b32_e32 v16, v12, v11, vcc
	v_cvt_f32_f16_e32 v12, v14
	v_cmp_lt_f32_e32 vcc, v16, v12
	v_cndmask_b32_e32 v17, v13, v38, vcc
	v_cvt_f32_f16_sdwa v13, v14 dst_sel:DWORD dst_unused:UNUSED_PAD src0_sel:WORD_1
	v_cvt_f32_f16_e32 v14, v15
	v_cndmask_b32_e32 v16, v16, v12, vcc
	v_cvt_f32_f16_sdwa v15, v15 dst_sel:DWORD dst_unused:UNUSED_PAD src0_sel:WORD_1
	v_cmp_lt_f32_e32 vcc, v16, v13
	v_cndmask_b32_e32 v16, v16, v13, vcc
	v_cndmask_b32_e32 v17, v17, v39, vcc
	v_cmp_lt_f32_e32 vcc, v16, v14
	v_cndmask_b32_e32 v16, v16, v14, vcc
	v_cndmask_b32_e32 v17, v17, v40, vcc
	;; [unrolled: 3-line block ×3, first 2 shown]
	s_nop 0
	v_mov_b32_dpp v19, v17 quad_perm:[1,0,3,2] row_mask:0xf bank_mask:0xf
	v_mov_b32_dpp v18, v16 quad_perm:[1,0,3,2] row_mask:0xf bank_mask:0xf
	v_cmp_eq_f32_e64 s[0:1], v16, v18
	v_cmp_lt_i32_e64 s[2:3], v19, v17
	v_cmp_lt_f32_e32 vcc, v16, v18
	s_and_b64 s[0:1], s[0:1], s[2:3]
	s_or_b64 vcc, vcc, s[0:1]
	v_cndmask_b32_e32 v16, v16, v18, vcc
	v_cndmask_b32_e32 v17, v17, v19, vcc
	s_nop 0
	v_mov_b32_dpp v18, v16 quad_perm:[2,3,0,1] row_mask:0xf bank_mask:0xf
	v_mov_b32_dpp v19, v17 quad_perm:[2,3,0,1] row_mask:0xf bank_mask:0xf
	v_cmp_eq_f32_e64 s[0:1], v16, v18
	v_cmp_lt_i32_e64 s[2:3], v19, v17
	v_cmp_lt_f32_e32 vcc, v16, v18
	s_and_b64 s[0:1], s[0:1], s[2:3]
	s_or_b64 vcc, vcc, s[0:1]
	v_cndmask_b32_e32 v18, v16, v18, vcc
	v_cndmask_b32_e32 v16, v17, v19, vcc
	s_nop 0
	v_mov_b32_dpp v19, v18 row_half_mirror row_mask:0xf bank_mask:0xf
	v_mov_b32_dpp v17, v16 row_half_mirror row_mask:0xf bank_mask:0xf
	v_cmp_eq_f32_e64 s[0:1], v18, v19
	v_cmp_lt_i32_e64 s[2:3], v17, v16
	v_cmp_lt_f32_e32 vcc, v18, v19
	s_and_b64 s[0:1], s[0:1], s[2:3]
	s_or_b64 s[0:1], vcc, s[0:1]
	s_cmp_gt_i32 s36, 0
	v_cndmask_b32_e64 v25, v18, v19, s[0:1]
	s_cselect_b64 s[44:45], -1, 0
	s_cmp_lt_i32 s36, 1
	v_cmp_eq_u32_e32 vcc, 0, v23
	s_cbranch_scc1 .LBB181_18
; %bb.7:
	s_load_dwordx4 s[40:43], s[4:5], 0x20
	v_cndmask_b32_e64 v44, v16, v17, s[0:1]
	v_mul_lo_u32 v20, v22, s39
	v_mul_lo_u32 v18, v22, s6
	;; [unrolled: 1-line block ×3, first 2 shown]
	v_mov_b32_e32 v24, 0
	s_and_saveexec_b64 s[4:5], vcc
	s_cbranch_execz .LBB181_9
; %bb.8:
	v_sub_f32_e32 v17, v25, v25
	v_mul_f32_e32 v19, 0x3fb8aa3b, v17
	s_mov_b32 s0, 0x3fb8aa3b
	v_rndne_f32_e32 v21, v19
	v_sub_f32_e32 v24, v19, v21
	v_fma_f32 v19, v17, s0, -v19
	v_fmac_f32_e32 v19, 0x32a5705f, v17
	v_add_f32_e32 v19, v24, v19
	v_exp_f32_e32 v19, v19
	v_cvt_i32_f32_e32 v21, v21
	v_cmp_le_i32_e64 s[0:1], s37, v44
	v_cmp_gt_i32_e64 s[2:3], s38, v44
	s_and_b64 s[2:3], s[0:1], s[2:3]
	s_mov_b32 s0, 0xc2ce8ed0
	v_ldexp_f32 v19, v19, v21
	v_cmp_ngt_f32_e64 s[0:1], s0, v17
	v_cndmask_b32_e64 v19, 0, v19, s[0:1]
	s_mov_b32 s0, 0x42b17218
	v_mov_b32_e32 v21, 0x7f800000
	v_cmp_nlt_f32_e64 s[0:1], s0, v17
	v_cndmask_b32_e64 v24, v21, v19, s[0:1]
	v_ashrrev_i32_e32 v21, 31, v20
	v_lshlrev_b64 v[46:47], 2, v[20:21]
	v_mov_b32_e32 v17, s35
	v_add_co_u32_e64 v46, s[0:1], s34, v46
	v_addc_co_u32_e64 v47, s[0:1], v17, v47, s[0:1]
	v_subrev_u32_e32 v17, s37, v44
	v_mov_b32_e32 v19, 0x80
	s_and_b64 s[0:1], s[46:47], s[2:3]
	v_cndmask_b32_e64 v17, v19, v17, s[0:1]
	v_ashrrev_i32_e32 v19, 31, v18
	global_store_dword v[46:47], v24, off
	v_lshlrev_b64 v[46:47], 2, v[18:19]
	s_waitcnt lgkmcnt(0)
	v_mov_b32_e32 v19, s41
	v_add_co_u32_e64 v46, s[0:1], s40, v46
	v_addc_co_u32_e64 v47, s[0:1], v19, v47, s[0:1]
	global_store_dword v[46:47], v17, off
	v_ashrrev_i32_e32 v17, 31, v16
	v_lshlrev_b64 v[46:47], 2, v[16:17]
	v_mov_b32_e32 v17, s43
	v_add_co_u32_e64 v46, s[0:1], s42, v46
	v_addc_co_u32_e64 v47, s[0:1], v17, v47, s[0:1]
	global_store_dword v[46:47], v22, off
.LBB181_9:
	s_or_b64 exec, exec, s[4:5]
	v_ashrrev_i32_e32 v19, 31, v44
	v_lshrrev_b32_e32 v17, 28, v19
	v_add_u32_e32 v17, v44, v17
	v_ashrrev_i32_e32 v17, 4, v17
	v_lshrrev_b32_e32 v21, 29, v17
	v_add_u32_e32 v21, v17, v21
	v_and_b32_e32 v21, -8, v21
	v_sub_u32_e32 v21, v17, v21
	v_cmp_eq_u32_e64 s[0:1], v23, v21
	s_and_saveexec_b64 s[48:49], s[0:1]
	s_cbranch_execz .LBB181_11
; %bb.10:
	v_lshrrev_b32_e32 v19, 25, v19
	v_add_u32_e32 v19, v44, v19
	v_lshlrev_b32_e32 v17, 4, v17
	v_sub_u32_e32 v17, v44, v17
	v_ashrrev_i32_e32 v19, 7, v19
	v_lshl_add_u32 v17, v19, 4, v17
	v_mov_b32_e32 v19, 0xff800000
	v_cmp_ne_u32_e64 s[0:1], 14, v17
	v_cmp_ne_u32_e64 s[2:3], 13, v17
	v_cmp_ne_u32_e64 s[4:5], 12, v17
	v_cmp_ne_u32_e64 s[6:7], 11, v17
	v_cmp_ne_u32_e64 s[8:9], 10, v17
	v_cmp_ne_u32_e64 s[10:11], 9, v17
	v_cmp_ne_u32_e64 s[12:13], 8, v17
	v_cmp_ne_u32_e64 s[14:15], 7, v17
	v_cmp_ne_u32_e64 s[16:17], 6, v17
	v_cmp_ne_u32_e64 s[18:19], 5, v17
	v_cmp_ne_u32_e64 s[20:21], 4, v17
	v_cmp_ne_u32_e64 s[22:23], 3, v17
	v_cmp_ne_u32_e64 s[24:25], 2, v17
	v_cmp_ne_u32_e64 s[26:27], 1, v17
	v_cmp_ne_u32_e64 s[28:29], 0, v17
	v_cmp_ne_u32_e64 s[30:31], 15, v17
	v_cndmask_b32_e64 v15, v19, v15, s[30:31]
	v_cndmask_b32_e64 v14, v19, v14, s[0:1]
	;; [unrolled: 1-line block ×16, first 2 shown]
.LBB181_11:
	s_or_b64 exec, exec, s[48:49]
	s_cmp_eq_u32 s36, 1
	s_cbranch_scc1 .LBB181_18
; %bb.12:
	s_add_i32 s50, s50, s33
	s_add_i32 s51, s36, -1
	v_add3_u32 v41, s50, v43, v41
	v_add_u32_e32 v16, 1, v16
	v_add_u32_e32 v18, 1, v18
	;; [unrolled: 1-line block ×3, first 2 shown]
	s_mov_b32 s50, 0x3fb8aa3b
	s_mov_b32 s52, 0xc2ce8ed0
	;; [unrolled: 1-line block ×3, first 2 shown]
	v_mov_b32_e32 v43, 0x7f800000
	v_mov_b32_e32 v44, 0x80
	;; [unrolled: 1-line block ×3, first 2 shown]
	s_branch .LBB181_14
.LBB181_13:                             ;   in Loop: Header=BB181_14 Depth=1
	s_or_b64 exec, exec, s[48:49]
	s_add_i32 s51, s51, -1
	v_add_u32_e32 v41, s33, v41
	v_add_u32_e32 v16, 1, v16
	;; [unrolled: 1-line block ×3, first 2 shown]
	s_cmp_eq_u32 s51, 0
	v_add_u32_e32 v20, 1, v20
	s_cbranch_scc1 .LBB181_18
.LBB181_14:                             ; =>This Inner Loop Header: Depth=1
	v_cmp_gt_f32_e64 s[0:1], v1, v0
	v_cndmask_b32_e64 v19, v0, v1, s[0:1]
	v_cndmask_b32_e64 v17, v26, v27, s[0:1]
	v_cmp_gt_f32_e64 s[0:1], v2, v19
	v_cndmask_b32_e64 v19, v19, v2, s[0:1]
	v_cndmask_b32_e64 v17, v17, v28, s[0:1]
	;; [unrolled: 3-line block ×15, first 2 shown]
	s_nop 0
	v_mov_b32_dpp v46, v17 quad_perm:[1,0,3,2] row_mask:0xf bank_mask:0xf
	v_mov_b32_dpp v21, v19 quad_perm:[1,0,3,2] row_mask:0xf bank_mask:0xf
	v_cmp_eq_f32_e64 s[2:3], v19, v21
	v_cmp_lt_i32_e64 s[4:5], v46, v17
	v_cmp_lt_f32_e64 s[0:1], v19, v21
	s_and_b64 s[2:3], s[2:3], s[4:5]
	s_or_b64 s[0:1], s[0:1], s[2:3]
	v_cndmask_b32_e64 v19, v19, v21, s[0:1]
	v_cndmask_b32_e64 v21, v17, v46, s[0:1]
	s_nop 0
	v_mov_b32_dpp v17, v19 quad_perm:[2,3,0,1] row_mask:0xf bank_mask:0xf
	v_mov_b32_dpp v46, v21 quad_perm:[2,3,0,1] row_mask:0xf bank_mask:0xf
	v_cmp_eq_f32_e64 s[2:3], v19, v17
	v_cmp_lt_i32_e64 s[4:5], v46, v21
	v_cmp_lt_f32_e64 s[0:1], v19, v17
	s_and_b64 s[2:3], s[2:3], s[4:5]
	s_or_b64 s[0:1], s[0:1], s[2:3]
	v_cndmask_b32_e64 v17, v19, v17, s[0:1]
	v_cndmask_b32_e64 v21, v21, v46, s[0:1]
	s_nop 0
	v_mov_b32_dpp v19, v17 row_half_mirror row_mask:0xf bank_mask:0xf
	v_mov_b32_dpp v46, v21 row_half_mirror row_mask:0xf bank_mask:0xf
	v_cmp_eq_f32_e64 s[2:3], v17, v19
	v_cmp_lt_i32_e64 s[4:5], v46, v21
	v_cmp_lt_f32_e64 s[0:1], v17, v19
	s_and_b64 s[2:3], s[2:3], s[4:5]
	s_or_b64 s[0:1], s[0:1], s[2:3]
	v_cndmask_b32_e64 v46, v21, v46, s[0:1]
	s_and_saveexec_b64 s[4:5], vcc
	s_cbranch_execz .LBB181_16
; %bb.15:                               ;   in Loop: Header=BB181_14 Depth=1
	v_cndmask_b32_e64 v17, v17, v19, s[0:1]
	v_sub_f32_e32 v17, v17, v25
	v_mul_f32_e32 v19, 0x3fb8aa3b, v17
	v_fma_f32 v21, v17, s50, -v19
	v_rndne_f32_e32 v47, v19
	v_fmac_f32_e32 v21, 0x32a5705f, v17
	v_sub_f32_e32 v19, v19, v47
	v_add_f32_e32 v19, v19, v21
	v_exp_f32_e32 v19, v19
	v_cvt_i32_f32_e32 v21, v47
	v_cmp_le_i32_e64 s[0:1], s37, v46
	v_cmp_gt_i32_e64 s[2:3], s38, v46
	s_and_b64 s[2:3], s[0:1], s[2:3]
	v_ldexp_f32 v19, v19, v21
	v_cmp_ngt_f32_e64 s[0:1], s52, v17
	v_ashrrev_i32_e32 v21, 31, v20
	v_cndmask_b32_e64 v19, 0, v19, s[0:1]
	v_cmp_nlt_f32_e64 s[0:1], s53, v17
	v_lshlrev_b64 v[48:49], 2, v[20:21]
	v_cndmask_b32_e64 v47, v43, v19, s[0:1]
	v_mov_b32_e32 v17, s35
	v_add_co_u32_e64 v48, s[0:1], s34, v48
	v_addc_co_u32_e64 v49, s[0:1], v17, v49, s[0:1]
	v_ashrrev_i32_e32 v19, 31, v18
	global_store_dword v[48:49], v47, off
	v_subrev_u32_e32 v17, s37, v46
	s_and_b64 s[0:1], s[46:47], s[2:3]
	v_lshlrev_b64 v[48:49], 2, v[18:19]
	v_cndmask_b32_e64 v17, v44, v17, s[0:1]
	s_waitcnt lgkmcnt(0)
	v_mov_b32_e32 v19, s41
	v_add_co_u32_e64 v48, s[0:1], s40, v48
	v_addc_co_u32_e64 v49, s[0:1], v19, v49, s[0:1]
	global_store_dword v[48:49], v17, off
	v_ashrrev_i32_e32 v17, 31, v16
	v_lshlrev_b64 v[48:49], 2, v[16:17]
	v_mov_b32_e32 v17, s43
	v_add_co_u32_e64 v48, s[0:1], s42, v48
	v_addc_co_u32_e64 v49, s[0:1], v17, v49, s[0:1]
	v_add_f32_e32 v24, v24, v47
	global_store_dword v[48:49], v41, off
.LBB181_16:                             ;   in Loop: Header=BB181_14 Depth=1
	s_or_b64 exec, exec, s[4:5]
	v_ashrrev_i32_e32 v19, 31, v46
	v_lshrrev_b32_e32 v17, 28, v19
	v_add_u32_e32 v17, v46, v17
	v_ashrrev_i32_e32 v17, 4, v17
	v_lshrrev_b32_e32 v21, 29, v17
	v_add_u32_e32 v21, v17, v21
	v_and_b32_e32 v21, -8, v21
	v_sub_u32_e32 v21, v17, v21
	v_cmp_eq_u32_e64 s[0:1], v23, v21
	s_and_saveexec_b64 s[48:49], s[0:1]
	s_cbranch_execz .LBB181_13
; %bb.17:                               ;   in Loop: Header=BB181_14 Depth=1
	v_lshrrev_b32_e32 v19, 25, v19
	v_add_u32_e32 v19, v46, v19
	v_lshlrev_b32_e32 v17, 4, v17
	v_sub_u32_e32 v17, v46, v17
	v_ashrrev_i32_e32 v19, 7, v19
	v_lshl_add_u32 v17, v19, 4, v17
	v_cmp_ne_u32_e64 s[0:1], 14, v17
	v_cmp_ne_u32_e64 s[2:3], 13, v17
	;; [unrolled: 1-line block ×16, first 2 shown]
	v_cndmask_b32_e64 v15, v45, v15, s[30:31]
	v_cndmask_b32_e64 v14, v45, v14, s[0:1]
	;; [unrolled: 1-line block ×16, first 2 shown]
	s_branch .LBB181_13
.LBB181_18:
	v_sub_f32_e32 v0, v0, v25
	s_mov_b32 s2, 0x3fb8aa3b
	v_mul_f32_e32 v16, 0x3fb8aa3b, v0
	v_fma_f32 v17, v0, s2, -v16
	v_rndne_f32_e32 v18, v16
	v_fmac_f32_e32 v17, 0x32a5705f, v0
	v_sub_f32_e32 v16, v16, v18
	v_add_f32_e32 v16, v16, v17
	v_exp_f32_e32 v16, v16
	v_cvt_i32_f32_e32 v17, v18
	v_sub_f32_e32 v1, v1, v25
	s_mov_b32 s4, 0xc2ce8ed0
	s_mov_b32 s3, 0x42b17218
	v_ldexp_f32 v16, v16, v17
	v_mul_f32_e32 v17, 0x3fb8aa3b, v1
	v_fma_f32 v18, v1, s2, -v17
	v_rndne_f32_e32 v19, v17
	v_fmac_f32_e32 v18, 0x32a5705f, v1
	v_sub_f32_e32 v17, v17, v19
	v_add_f32_e32 v17, v17, v18
	v_exp_f32_e32 v17, v17
	v_cvt_i32_f32_e32 v18, v19
	v_cmp_ngt_f32_e32 vcc, s4, v1
	v_cmp_ngt_f32_e64 s[0:1], s4, v0
	v_sub_f32_e32 v2, v2, v25
	v_ldexp_f32 v17, v17, v18
	v_cndmask_b32_e32 v17, 0, v17, vcc
	v_mov_b32_e32 v18, 0x7f800000
	v_cmp_nlt_f32_e32 vcc, s3, v1
	v_cndmask_b32_e64 v1, 0, v16, s[0:1]
	v_cmp_nlt_f32_e64 s[0:1], s3, v0
	v_cndmask_b32_e64 v0, v18, v1, s[0:1]
	v_cndmask_b32_e32 v1, v18, v17, vcc
	v_add_f32_e32 v0, v0, v1
	v_mul_f32_e32 v1, 0x3fb8aa3b, v2
	v_fma_f32 v16, v2, s2, -v1
	v_rndne_f32_e32 v17, v1
	v_fmac_f32_e32 v16, 0x32a5705f, v2
	v_sub_f32_e32 v1, v1, v17
	v_add_f32_e32 v1, v1, v16
	v_exp_f32_e32 v1, v1
	v_cvt_i32_f32_e32 v16, v17
	v_cmp_ngt_f32_e32 vcc, s4, v2
	v_sub_f32_e32 v3, v3, v25
	v_sub_f32_e32 v4, v4, v25
	v_ldexp_f32 v1, v1, v16
	v_cndmask_b32_e32 v1, 0, v1, vcc
	v_cmp_nlt_f32_e32 vcc, s3, v2
	v_cndmask_b32_e32 v1, v18, v1, vcc
	v_add_f32_e32 v0, v0, v1
	v_mul_f32_e32 v1, 0x3fb8aa3b, v3
	v_fma_f32 v2, v3, s2, -v1
	v_rndne_f32_e32 v16, v1
	v_fmac_f32_e32 v2, 0x32a5705f, v3
	v_sub_f32_e32 v1, v1, v16
	v_add_f32_e32 v1, v1, v2
	v_exp_f32_e32 v1, v1
	v_cvt_i32_f32_e32 v2, v16
	v_cmp_ngt_f32_e32 vcc, s4, v3
	v_sub_f32_e32 v5, v5, v25
	v_sub_f32_e32 v6, v6, v25
	v_ldexp_f32 v1, v1, v2
	v_cndmask_b32_e32 v1, 0, v1, vcc
	v_cmp_nlt_f32_e32 vcc, s3, v3
	;; [unrolled: 16-line block ×5, first 2 shown]
	v_cndmask_b32_e32 v1, v18, v1, vcc
	v_add_f32_e32 v0, v0, v1
	v_mul_f32_e32 v1, 0x3fb8aa3b, v7
	v_fma_f32 v2, v7, s2, -v1
	v_rndne_f32_e32 v3, v1
	v_fmac_f32_e32 v2, 0x32a5705f, v7
	v_sub_f32_e32 v1, v1, v3
	v_add_f32_e32 v1, v1, v2
	v_exp_f32_e32 v1, v1
	v_cvt_i32_f32_e32 v2, v3
	v_cmp_ngt_f32_e32 vcc, s4, v7
	v_ldexp_f32 v1, v1, v2
	v_mul_f32_e32 v2, 0x3fb8aa3b, v8
	v_fma_f32 v3, v8, s2, -v2
	v_rndne_f32_e32 v4, v2
	v_fmac_f32_e32 v3, 0x32a5705f, v8
	v_sub_f32_e32 v2, v2, v4
	v_add_f32_e32 v2, v2, v3
	v_exp_f32_e32 v2, v2
	v_cvt_i32_f32_e32 v3, v4
	v_cndmask_b32_e32 v1, 0, v1, vcc
	v_cmp_nlt_f32_e32 vcc, s3, v7
	v_cndmask_b32_e32 v1, v18, v1, vcc
	v_add_f32_e32 v0, v0, v1
	v_ldexp_f32 v1, v2, v3
	v_mul_f32_e32 v2, 0x3fb8aa3b, v9
	v_fma_f32 v3, v9, s2, -v2
	v_rndne_f32_e32 v4, v2
	v_fmac_f32_e32 v3, 0x32a5705f, v9
	v_sub_f32_e32 v2, v2, v4
	v_add_f32_e32 v2, v2, v3
	v_exp_f32_e32 v2, v2
	v_cvt_i32_f32_e32 v3, v4
	v_cmp_ngt_f32_e32 vcc, s4, v8
	v_cndmask_b32_e32 v1, 0, v1, vcc
	v_cmp_nlt_f32_e32 vcc, s3, v8
	v_cndmask_b32_e32 v1, v18, v1, vcc
	v_add_f32_e32 v0, v0, v1
	v_ldexp_f32 v1, v2, v3
	v_mul_f32_e32 v2, 0x3fb8aa3b, v10
	v_fma_f32 v3, v10, s2, -v2
	v_rndne_f32_e32 v4, v2
	v_fmac_f32_e32 v3, 0x32a5705f, v10
	v_sub_f32_e32 v2, v2, v4
	v_add_f32_e32 v2, v2, v3
	v_exp_f32_e32 v2, v2
	v_cvt_i32_f32_e32 v3, v4
	v_cmp_ngt_f32_e32 vcc, s4, v9
	;; [unrolled: 14-line block ×4, first 2 shown]
	v_cndmask_b32_e32 v1, 0, v1, vcc
	v_cmp_nlt_f32_e32 vcc, s3, v11
	v_cndmask_b32_e32 v1, v18, v1, vcc
	v_add_f32_e32 v0, v0, v1
	v_ldexp_f32 v1, v2, v3
	v_sub_f32_e32 v2, v13, v25
	v_mul_f32_e32 v3, 0x3fb8aa3b, v2
	v_fma_f32 v4, v2, s2, -v3
	v_rndne_f32_e32 v5, v3
	v_fmac_f32_e32 v4, 0x32a5705f, v2
	v_sub_f32_e32 v3, v3, v5
	v_add_f32_e32 v3, v3, v4
	v_exp_f32_e32 v3, v3
	v_cvt_i32_f32_e32 v4, v5
	v_cmp_ngt_f32_e32 vcc, s4, v12
	v_cndmask_b32_e32 v1, 0, v1, vcc
	v_cmp_nlt_f32_e32 vcc, s3, v12
	v_cndmask_b32_e32 v1, v18, v1, vcc
	v_add_f32_e32 v0, v0, v1
	v_ldexp_f32 v1, v3, v4
	v_sub_f32_e32 v3, v14, v25
	v_mul_f32_e32 v4, 0x3fb8aa3b, v3
	v_fma_f32 v5, v3, s2, -v4
	v_rndne_f32_e32 v6, v4
	v_fmac_f32_e32 v5, 0x32a5705f, v3
	v_sub_f32_e32 v4, v4, v6
	v_add_f32_e32 v4, v4, v5
	v_exp_f32_e32 v4, v4
	v_cvt_i32_f32_e32 v5, v6
	v_cmp_ngt_f32_e32 vcc, s4, v2
	v_cndmask_b32_e32 v1, 0, v1, vcc
	v_cmp_nlt_f32_e32 vcc, s3, v2
	v_cndmask_b32_e32 v1, v18, v1, vcc
	v_sub_f32_e32 v2, v15, v25
	v_add_f32_e32 v0, v0, v1
	v_ldexp_f32 v1, v4, v5
	v_mul_f32_e32 v4, 0x3fb8aa3b, v2
	v_fma_f32 v5, v2, s2, -v4
	v_rndne_f32_e32 v6, v4
	v_fmac_f32_e32 v5, 0x32a5705f, v2
	v_sub_f32_e32 v4, v4, v6
	v_add_f32_e32 v4, v4, v5
	v_exp_f32_e32 v4, v4
	v_cvt_i32_f32_e32 v5, v6
	v_cmp_ngt_f32_e32 vcc, s4, v3
	v_cndmask_b32_e32 v1, 0, v1, vcc
	v_cmp_nlt_f32_e32 vcc, s3, v3
	v_cndmask_b32_e32 v1, v18, v1, vcc
	v_add_f32_e32 v0, v0, v1
	v_ldexp_f32 v1, v4, v5
	v_cmp_ngt_f32_e32 vcc, s4, v2
	v_cndmask_b32_e32 v1, 0, v1, vcc
	v_cmp_nlt_f32_e32 vcc, s3, v2
	v_cndmask_b32_e32 v1, v18, v1, vcc
	v_add_f32_e32 v0, v0, v1
	v_cmp_eq_u32_e32 vcc, 0, v23
	s_nop 0
	v_mov_b32_dpp v1, v0 quad_perm:[1,0,3,2] row_mask:0xf bank_mask:0xf
	v_add_f32_e32 v0, v0, v1
	s_nop 1
	v_mov_b32_dpp v1, v0 quad_perm:[2,3,0,1] row_mask:0xf bank_mask:0xf
	v_add_f32_e32 v0, v0, v1
	s_nop 1
	v_mov_b32_dpp v1, v0 row_half_mirror row_mask:0xf bank_mask:0xf
	s_and_b64 exec, exec, vcc
	s_cbranch_execz .LBB181_31
; %bb.19:
	v_add_f32_e32 v0, v0, v1
	v_add_f32_e32 v0, v24, v0
	v_cmp_neq_f32_e32 vcc, 0, v0
	s_and_b64 exec, exec, vcc
	s_cbranch_execz .LBB181_31
; %bb.20:
	s_andn2_b64 vcc, exec, s[44:45]
	s_cbranch_vccnz .LBB181_31
; %bb.21:
	v_div_scale_f32 v1, s[0:1], v0, v0, 1.0
	v_rcp_f32_e32 v2, v1
	v_div_scale_f32 v3, vcc, 1.0, v0, 1.0
	s_cmp_gt_u32 s36, 3
	v_fma_f32 v4, -v1, v2, 1.0
	v_fmac_f32_e32 v2, v4, v2
	v_mul_f32_e32 v4, v3, v2
	v_fma_f32 v5, -v1, v4, v3
	v_fmac_f32_e32 v4, v5, v2
	v_fma_f32 v1, -v1, v4, v3
	v_div_fmas_f32 v1, v1, v2, v4
	v_mul_lo_u32 v2, v22, s39
	v_div_fixup_f32 v0, v1, v0, 1.0
	v_ashrrev_i32_e32 v3, 31, v2
	s_cbranch_scc0 .LBB181_25
; %bb.22:
	v_lshlrev_b64 v[4:5], 2, v[2:3]
	v_mov_b32_e32 v6, s35
	v_add_co_u32_e32 v4, vcc, s34, v4
	v_addc_co_u32_e32 v5, vcc, v5, v6, vcc
	s_and_b32 s4, s36, 0x7ffffffc
	v_add_co_u32_e32 v4, vcc, 8, v4
	v_mov_b32_e32 v1, v0
	v_addc_co_u32_e32 v5, vcc, 0, v5, vcc
	s_mov_b32 s0, s4
.LBB181_23:                             ; =>This Inner Loop Header: Depth=1
	global_load_dwordx4 v[6:9], v[4:5], off offset:-8
	s_add_i32 s0, s0, -4
	s_cmp_lg_u32 s0, 0
	s_waitcnt vmcnt(0)
	v_pk_mul_f32 v[6:7], v[0:1], v[6:7]
	v_pk_mul_f32 v[8:9], v[0:1], v[8:9]
	global_store_dwordx4 v[4:5], v[6:9], off offset:-8
	v_add_co_u32_e32 v4, vcc, 16, v4
	v_addc_co_u32_e32 v5, vcc, 0, v5, vcc
	s_cbranch_scc1 .LBB181_23
; %bb.24:
	s_cmp_lg_u32 s4, s36
	s_mov_b64 s[2:3], 0
	s_cselect_b64 s[0:1], -1, 0
	s_branch .LBB181_26
.LBB181_25:
	s_mov_b64 s[2:3], -1
	s_mov_b64 s[0:1], 0
                                        ; implicit-def: $sgpr4
.LBB181_26:
	s_and_b64 vcc, exec, s[2:3]
	s_cbranch_vccz .LBB181_28
; %bb.27:
	s_mov_b64 s[0:1], -1
	s_mov_b32 s4, 0
.LBB181_28:
	s_andn2_b64 vcc, exec, s[0:1]
	s_cbranch_vccnz .LBB181_31
; %bb.29:
	v_add_co_u32_e32 v2, vcc, s4, v2
	v_addc_co_u32_e32 v3, vcc, 0, v3, vcc
	v_lshlrev_b64 v[2:3], 2, v[2:3]
	v_mov_b32_e32 v1, s35
	v_add_co_u32_e32 v2, vcc, s34, v2
	s_sub_i32 s0, s36, s4
	v_addc_co_u32_e32 v3, vcc, v1, v3, vcc
.LBB181_30:                             ; =>This Inner Loop Header: Depth=1
	global_load_dword v1, v[2:3], off
	s_add_i32 s0, s0, -1
	s_cmp_lg_u32 s0, 0
	s_waitcnt vmcnt(0)
	v_mul_f32_e32 v1, v0, v1
	global_store_dword v[2:3], v1, off
	v_add_co_u32_e32 v2, vcc, 4, v2
	v_addc_co_u32_e32 v3, vcc, 0, v3, vcc
	s_cbranch_scc1 .LBB181_30
.LBB181_31:
	s_endpgm
	.section	.rodata,"a",@progbits
	.p2align	6, 0x0
	.amdhsa_kernel _ZN4vllm3moe17topkGatingSoftmaxIDF16_Li16ELi128ELi8ELi32ELb0ELi2ELNS0_23SharedExpertScoringFuncE1EEEvPKT_PKbPfiPiS9_iiiiii
		.amdhsa_group_segment_fixed_size 0
		.amdhsa_private_segment_fixed_size 0
		.amdhsa_kernarg_size 72
		.amdhsa_user_sgpr_count 6
		.amdhsa_user_sgpr_private_segment_buffer 1
		.amdhsa_user_sgpr_dispatch_ptr 0
		.amdhsa_user_sgpr_queue_ptr 0
		.amdhsa_user_sgpr_kernarg_segment_ptr 1
		.amdhsa_user_sgpr_dispatch_id 0
		.amdhsa_user_sgpr_flat_scratch_init 0
		.amdhsa_user_sgpr_kernarg_preload_length 0
		.amdhsa_user_sgpr_kernarg_preload_offset 0
		.amdhsa_user_sgpr_private_segment_size 0
		.amdhsa_uses_dynamic_stack 0
		.amdhsa_system_sgpr_private_segment_wavefront_offset 0
		.amdhsa_system_sgpr_workgroup_id_x 1
		.amdhsa_system_sgpr_workgroup_id_y 0
		.amdhsa_system_sgpr_workgroup_id_z 0
		.amdhsa_system_sgpr_workgroup_info 0
		.amdhsa_system_vgpr_workitem_id 1
		.amdhsa_next_free_vgpr 50
		.amdhsa_next_free_sgpr 54
		.amdhsa_accum_offset 52
		.amdhsa_reserve_vcc 1
		.amdhsa_reserve_flat_scratch 0
		.amdhsa_float_round_mode_32 0
		.amdhsa_float_round_mode_16_64 0
		.amdhsa_float_denorm_mode_32 3
		.amdhsa_float_denorm_mode_16_64 3
		.amdhsa_dx10_clamp 1
		.amdhsa_ieee_mode 1
		.amdhsa_fp16_overflow 0
		.amdhsa_tg_split 0
		.amdhsa_exception_fp_ieee_invalid_op 0
		.amdhsa_exception_fp_denorm_src 0
		.amdhsa_exception_fp_ieee_div_zero 0
		.amdhsa_exception_fp_ieee_overflow 0
		.amdhsa_exception_fp_ieee_underflow 0
		.amdhsa_exception_fp_ieee_inexact 0
		.amdhsa_exception_int_div_zero 0
	.end_amdhsa_kernel
	.section	.text._ZN4vllm3moe17topkGatingSoftmaxIDF16_Li16ELi128ELi8ELi32ELb0ELi2ELNS0_23SharedExpertScoringFuncE1EEEvPKT_PKbPfiPiS9_iiiiii,"axG",@progbits,_ZN4vllm3moe17topkGatingSoftmaxIDF16_Li16ELi128ELi8ELi32ELb0ELi2ELNS0_23SharedExpertScoringFuncE1EEEvPKT_PKbPfiPiS9_iiiiii,comdat
.Lfunc_end181:
	.size	_ZN4vllm3moe17topkGatingSoftmaxIDF16_Li16ELi128ELi8ELi32ELb0ELi2ELNS0_23SharedExpertScoringFuncE1EEEvPKT_PKbPfiPiS9_iiiiii, .Lfunc_end181-_ZN4vllm3moe17topkGatingSoftmaxIDF16_Li16ELi128ELi8ELi32ELb0ELi2ELNS0_23SharedExpertScoringFuncE1EEEvPKT_PKbPfiPiS9_iiiiii
                                        ; -- End function
	.section	.AMDGPU.csdata,"",@progbits
; Kernel info:
; codeLenInByte = 4680
; NumSgprs: 58
; NumVgprs: 50
; NumAgprs: 0
; TotalNumVgprs: 50
; ScratchSize: 0
; MemoryBound: 0
; FloatMode: 240
; IeeeMode: 1
; LDSByteSize: 0 bytes/workgroup (compile time only)
; SGPRBlocks: 7
; VGPRBlocks: 6
; NumSGPRsForWavesPerEU: 58
; NumVGPRsForWavesPerEU: 50
; AccumOffset: 52
; Occupancy: 8
; WaveLimiterHint : 0
; COMPUTE_PGM_RSRC2:SCRATCH_EN: 0
; COMPUTE_PGM_RSRC2:USER_SGPR: 6
; COMPUTE_PGM_RSRC2:TRAP_HANDLER: 0
; COMPUTE_PGM_RSRC2:TGID_X_EN: 1
; COMPUTE_PGM_RSRC2:TGID_Y_EN: 0
; COMPUTE_PGM_RSRC2:TGID_Z_EN: 0
; COMPUTE_PGM_RSRC2:TIDIG_COMP_CNT: 1
; COMPUTE_PGM_RSRC3_GFX90A:ACCUM_OFFSET: 12
; COMPUTE_PGM_RSRC3_GFX90A:TG_SPLIT: 0
	.section	.text._ZN4vllm3moe17topkGatingSoftmaxIDF16_Li16ELi128ELi8ELi32ELb1ELi4ELNS0_23SharedExpertScoringFuncE1EEEvPKT_PKbPfiPiS9_iiiiii,"axG",@progbits,_ZN4vllm3moe17topkGatingSoftmaxIDF16_Li16ELi128ELi8ELi32ELb1ELi4ELNS0_23SharedExpertScoringFuncE1EEEvPKT_PKbPfiPiS9_iiiiii,comdat
	.protected	_ZN4vllm3moe17topkGatingSoftmaxIDF16_Li16ELi128ELi8ELi32ELb1ELi4ELNS0_23SharedExpertScoringFuncE1EEEvPKT_PKbPfiPiS9_iiiiii ; -- Begin function _ZN4vllm3moe17topkGatingSoftmaxIDF16_Li16ELi128ELi8ELi32ELb1ELi4ELNS0_23SharedExpertScoringFuncE1EEEvPKT_PKbPfiPiS9_iiiiii
	.globl	_ZN4vllm3moe17topkGatingSoftmaxIDF16_Li16ELi128ELi8ELi32ELb1ELi4ELNS0_23SharedExpertScoringFuncE1EEEvPKT_PKbPfiPiS9_iiiiii
	.p2align	8
	.type	_ZN4vllm3moe17topkGatingSoftmaxIDF16_Li16ELi128ELi8ELi32ELb1ELi4ELNS0_23SharedExpertScoringFuncE1EEEvPKT_PKbPfiPiS9_iiiiii,@function
_ZN4vllm3moe17topkGatingSoftmaxIDF16_Li16ELi128ELi8ELi32ELb1ELi4ELNS0_23SharedExpertScoringFuncE1EEEvPKT_PKbPfiPiS9_iiiiii: ; @_ZN4vllm3moe17topkGatingSoftmaxIDF16_Li16ELi128ELi8ELi32ELb1ELi4ELNS0_23SharedExpertScoringFuncE1EEEvPKT_PKbPfiPiS9_iiiiii
; %bb.0:
	s_load_dword s33, s[4:5], 0x18
	v_bfe_u32 v1, v0, 10, 10
	v_and_b32_e32 v0, 0x3ff, v0
	s_lshl_b32 s50, s6, 6
	v_lshlrev_b32_e32 v41, 3, v1
	v_lshrrev_b32_e32 v42, 3, v0
	v_add3_u32 v22, s50, v41, v42
	s_waitcnt lgkmcnt(0)
	v_cmp_gt_i32_e32 vcc, s33, v22
	s_and_saveexec_b64 s[0:1], vcc
	s_cbranch_execz .LBB182_29
; %bb.1:
	s_load_dwordx4 s[0:3], s[4:5], 0x0
	s_load_dwordx2 s[34:35], s[4:5], 0x10
	s_waitcnt lgkmcnt(0)
	s_cmp_eq_u64 s[2:3], 0
	s_cbranch_scc1 .LBB182_3
; %bb.2:
	v_ashrrev_i32_e32 v1, 31, v22
	v_mov_b32_e32 v3, s3
	v_add_co_u32_e32 v2, vcc, s2, v22
	v_addc_co_u32_e32 v3, vcc, v3, v1, vcc
	global_load_ubyte v1, v[2:3], off
	s_waitcnt vmcnt(0)
	v_and_b32_e32 v1, 1, v1
	v_cmp_eq_u32_e32 vcc, 1, v1
	s_xor_b64 s[2:3], vcc, -1
	s_orn2_b64 s[44:45], s[2:3], exec
	s_branch .LBB182_4
.LBB182_3:
	s_mov_b64 s[44:45], -1
.LBB182_4:
	s_load_dwordx2 s[8:9], s[4:5], 0x40
	s_load_dwordx4 s[36:39], s[4:5], 0x30
	v_mov_b32_e32 v4, s1
	v_and_b32_e32 v23, 7, v0
	v_lshlrev_b32_e32 v0, 5, v23
	s_waitcnt lgkmcnt(0)
	v_mul_lo_u32 v2, v22, s9
	v_ashrrev_i32_e32 v3, 31, v2
	v_lshlrev_b64 v[2:3], 1, v[2:3]
	v_add_co_u32_e32 v1, vcc, s0, v2
	v_addc_co_u32_e32 v2, vcc, v4, v3, vcc
	v_add_co_u32_e32 v8, vcc, v1, v0
	v_addc_co_u32_e32 v9, vcc, 0, v2, vcc
	global_load_dwordx4 v[12:15], v[8:9], off offset:16
	global_load_dwordx4 v[4:7], v[8:9], off
	v_lshlrev_b32_e32 v25, 4, v23
	v_mov_b32_e32 v24, 0
	v_cmp_gt_u32_e32 vcc, 4, v23
	s_and_saveexec_b64 s[0:1], vcc
	s_cbranch_execz .LBB182_6
; %bb.5:
	v_lshlrev_b32_e32 v0, 1, v23
	v_add_co_u32_e32 v0, vcc, v1, v0
	v_addc_co_u32_e32 v1, vcc, 0, v2, vcc
	global_load_ushort v0, v[0:1], off offset:256
	s_mov_b32 s2, 0x3fb8aa3b
	s_mov_b32 s3, 0x32a5705f
	;; [unrolled: 1-line block ×4, first 2 shown]
	v_mov_b32_e32 v3, 0x7f800000
	v_mul_lo_u32 v1, v22, s39
	s_waitcnt vmcnt(0)
	v_cvt_f32_f16_e64 v2, -v0
	v_mul_f32_e32 v8, 0x3fb8aa3b, v2
	v_fma_mix_f32 v9, -v0, s2, -v8 op_sel_hi:[1,0,0]
	v_rndne_f32_e32 v10, v8
	v_fma_mix_f32 v0, -v0, s3, v9 op_sel_hi:[1,0,0]
	v_sub_f32_e32 v8, v8, v10
	v_add_f32_e32 v0, v8, v0
	v_cvt_i32_f32_e32 v9, v10
	v_exp_f32_e32 v8, v0
	v_cmp_ngt_f32_e32 vcc, s6, v2
	v_add3_u32 v0, v1, s36, v23
	v_ashrrev_i32_e32 v1, 31, v0
	v_ldexp_f32 v8, v8, v9
	v_cndmask_b32_e32 v8, 0, v8, vcc
	v_cmp_nlt_f32_e32 vcc, s7, v2
	v_cndmask_b32_e32 v2, v3, v8, vcc
	v_add_f32_e32 v2, 1.0, v2
	v_div_scale_f32 v3, s[2:3], v2, v2, 1.0
	v_rcp_f32_e32 v8, v3
	v_div_scale_f32 v9, vcc, 1.0, v2, 1.0
	v_lshlrev_b64 v[0:1], 2, v[0:1]
	v_fma_f32 v11, -v3, v8, 1.0
	v_fmac_f32_e32 v8, v11, v8
	v_mul_f32_e32 v11, v9, v8
	v_fma_f32 v16, -v3, v11, v9
	v_fmac_f32_e32 v11, v16, v8
	v_fma_f32 v3, -v3, v11, v9
	v_mov_b32_e32 v10, s35
	v_div_fmas_f32 v3, v3, v8, v11
	v_add_co_u32_e32 v0, vcc, s34, v0
	v_div_fixup_f32 v2, v3, v2, 1.0
	v_addc_co_u32_e32 v1, vcc, v10, v1, vcc
	global_store_dword v[0:1], v2, off
.LBB182_6:
	s_or_b64 exec, exec, s[0:1]
	s_waitcnt vmcnt(0)
	v_cvt_f32_f16_e32 v0, v4
	v_cvt_f32_f16_sdwa v1, v4 dst_sel:DWORD dst_unused:UNUSED_PAD src0_sel:WORD_1
	v_cvt_f32_f16_e32 v2, v5
	v_cmp_lt_f16_sdwa vcc, v4, v4 src0_sel:DWORD src1_sel:WORD_1
	v_or_b32_e32 v26, 1, v25
	v_cndmask_b32_e32 v4, v0, v1, vcc
	v_cndmask_b32_e32 v3, v25, v26, vcc
	v_or_b32_e32 v27, 2, v25
	v_cmp_lt_f32_e32 vcc, v4, v2
	v_cndmask_b32_e32 v8, v3, v27, vcc
	v_cvt_f32_f16_sdwa v3, v5 dst_sel:DWORD dst_unused:UNUSED_PAD src0_sel:WORD_1
	v_cndmask_b32_e32 v4, v4, v2, vcc
	v_or_b32_e32 v28, 3, v25
	v_or_b32_e32 v29, 4, v25
	v_cmp_lt_f32_e32 vcc, v4, v3
	v_cndmask_b32_e32 v5, v8, v28, vcc
	v_cndmask_b32_e32 v8, v4, v3, vcc
	v_cvt_f32_f16_e32 v4, v6
	v_or_b32_e32 v30, 5, v25
	v_or_b32_e32 v31, 6, v25
	;; [unrolled: 1-line block ×3, first 2 shown]
	v_cmp_lt_f32_e32 vcc, v8, v4
	v_cndmask_b32_e32 v9, v5, v29, vcc
	v_cvt_f32_f16_sdwa v5, v6 dst_sel:DWORD dst_unused:UNUSED_PAD src0_sel:WORD_1
	v_cvt_f32_f16_e32 v6, v7
	v_cndmask_b32_e32 v8, v8, v4, vcc
	v_cvt_f32_f16_sdwa v7, v7 dst_sel:DWORD dst_unused:UNUSED_PAD src0_sel:WORD_1
	v_cmp_lt_f32_e32 vcc, v8, v5
	v_cndmask_b32_e32 v8, v8, v5, vcc
	v_cndmask_b32_e32 v9, v9, v30, vcc
	v_cmp_lt_f32_e32 vcc, v8, v6
	v_cndmask_b32_e32 v8, v8, v6, vcc
	v_cndmask_b32_e32 v9, v9, v31, vcc
	v_cmp_lt_f32_e32 vcc, v8, v7
	v_cndmask_b32_e32 v10, v8, v7, vcc
	v_cvt_f32_f16_e32 v8, v12
	v_cndmask_b32_e32 v9, v9, v32, vcc
	v_or_b32_e32 v33, 8, v25
	v_or_b32_e32 v34, 9, v25
	v_cmp_lt_f32_e32 vcc, v10, v8
	v_cndmask_b32_e32 v11, v9, v33, vcc
	v_cvt_f32_f16_sdwa v9, v12 dst_sel:DWORD dst_unused:UNUSED_PAD src0_sel:WORD_1
	v_cndmask_b32_e32 v10, v10, v8, vcc
	v_or_b32_e32 v35, 10, v25
	v_or_b32_e32 v36, 11, v25
	v_cmp_lt_f32_e32 vcc, v10, v9
	v_cndmask_b32_e32 v12, v10, v9, vcc
	v_cvt_f32_f16_e32 v10, v13
	v_cndmask_b32_e32 v11, v11, v34, vcc
	v_or_b32_e32 v37, 12, v25
	v_or_b32_e32 v38, 13, v25
	v_cmp_lt_f32_e32 vcc, v12, v10
	v_cndmask_b32_e32 v16, v11, v35, vcc
	v_cvt_f32_f16_sdwa v11, v13 dst_sel:DWORD dst_unused:UNUSED_PAD src0_sel:WORD_1
	v_cndmask_b32_e32 v12, v12, v10, vcc
	v_or_b32_e32 v39, 14, v25
	v_or_b32_e32 v40, 15, v25
	v_cmp_lt_f32_e32 vcc, v12, v11
	v_cndmask_b32_e32 v13, v16, v36, vcc
	v_cndmask_b32_e32 v16, v12, v11, vcc
	v_cvt_f32_f16_e32 v12, v14
	v_cmp_lt_f32_e32 vcc, v16, v12
	v_cndmask_b32_e32 v17, v13, v37, vcc
	v_cvt_f32_f16_sdwa v13, v14 dst_sel:DWORD dst_unused:UNUSED_PAD src0_sel:WORD_1
	v_cvt_f32_f16_e32 v14, v15
	v_cndmask_b32_e32 v16, v16, v12, vcc
	v_cvt_f32_f16_sdwa v15, v15 dst_sel:DWORD dst_unused:UNUSED_PAD src0_sel:WORD_1
	v_cmp_lt_f32_e32 vcc, v16, v13
	v_cndmask_b32_e32 v16, v16, v13, vcc
	v_cndmask_b32_e32 v17, v17, v38, vcc
	v_cmp_lt_f32_e32 vcc, v16, v14
	v_cndmask_b32_e32 v16, v16, v14, vcc
	v_cndmask_b32_e32 v17, v17, v39, vcc
	;; [unrolled: 3-line block ×3, first 2 shown]
	s_nop 0
	v_mov_b32_dpp v19, v17 quad_perm:[1,0,3,2] row_mask:0xf bank_mask:0xf
	v_mov_b32_dpp v18, v16 quad_perm:[1,0,3,2] row_mask:0xf bank_mask:0xf
	v_cmp_eq_f32_e64 s[0:1], v16, v18
	v_cmp_lt_i32_e64 s[2:3], v19, v17
	v_cmp_lt_f32_e32 vcc, v16, v18
	s_and_b64 s[0:1], s[0:1], s[2:3]
	s_or_b64 vcc, vcc, s[0:1]
	v_cndmask_b32_e32 v16, v16, v18, vcc
	v_cndmask_b32_e32 v17, v17, v19, vcc
	s_nop 0
	v_mov_b32_dpp v18, v16 quad_perm:[2,3,0,1] row_mask:0xf bank_mask:0xf
	v_mov_b32_dpp v19, v17 quad_perm:[2,3,0,1] row_mask:0xf bank_mask:0xf
	v_cmp_eq_f32_e64 s[0:1], v16, v18
	v_cmp_lt_i32_e64 s[2:3], v19, v17
	v_cmp_lt_f32_e32 vcc, v16, v18
	s_and_b64 s[0:1], s[0:1], s[2:3]
	s_or_b64 vcc, vcc, s[0:1]
	v_cndmask_b32_e32 v16, v16, v18, vcc
	v_cndmask_b32_e32 v17, v17, v19, vcc
	s_cmp_gt_i32 s36, 0
	s_cselect_b64 s[46:47], -1, 0
	s_cmp_lt_i32 s36, 1
	v_cmp_eq_u32_e32 vcc, 0, v23
	v_mov_b32_dpp v18, v17 row_half_mirror row_mask:0xf bank_mask:0xf
	v_mov_b32_dpp v19, v16 row_half_mirror row_mask:0xf bank_mask:0xf
	s_cbranch_scc1 .LBB182_18
; %bb.7:
	s_load_dwordx4 s[40:43], s[4:5], 0x20
	v_cmp_eq_f32_e64 s[2:3], v16, v19
	v_cmp_lt_i32_e64 s[6:7], v18, v17
	v_cmp_lt_f32_e64 s[0:1], v16, v19
	s_and_b64 s[2:3], s[2:3], s[6:7]
	s_or_b64 s[0:1], s[0:1], s[2:3]
	v_cndmask_b32_e64 v44, v17, v18, s[0:1]
	v_cndmask_b32_e64 v43, v16, v19, s[0:1]
	v_mul_lo_u32 v20, v22, s39
	v_mul_lo_u32 v18, v22, s8
	;; [unrolled: 1-line block ×3, first 2 shown]
	v_mov_b32_e32 v24, 0
	s_and_saveexec_b64 s[4:5], vcc
	s_cbranch_execz .LBB182_9
; %bb.8:
	v_sub_f32_e32 v17, v43, v43
	v_mul_f32_e32 v19, 0x3fb8aa3b, v17
	s_mov_b32 s0, 0x3fb8aa3b
	v_rndne_f32_e32 v21, v19
	v_sub_f32_e32 v24, v19, v21
	v_fma_f32 v19, v17, s0, -v19
	v_fmac_f32_e32 v19, 0x32a5705f, v17
	v_add_f32_e32 v19, v24, v19
	v_exp_f32_e32 v19, v19
	v_cvt_i32_f32_e32 v21, v21
	v_cmp_le_i32_e64 s[0:1], s37, v44
	v_cmp_gt_i32_e64 s[2:3], s38, v44
	s_and_b64 s[2:3], s[0:1], s[2:3]
	s_mov_b32 s0, 0xc2ce8ed0
	v_ldexp_f32 v19, v19, v21
	v_cmp_ngt_f32_e64 s[0:1], s0, v17
	v_cndmask_b32_e64 v19, 0, v19, s[0:1]
	s_mov_b32 s0, 0x42b17218
	v_mov_b32_e32 v21, 0x7f800000
	v_cmp_nlt_f32_e64 s[0:1], s0, v17
	v_cndmask_b32_e64 v24, v21, v19, s[0:1]
	v_ashrrev_i32_e32 v21, 31, v20
	v_lshlrev_b64 v[46:47], 2, v[20:21]
	v_mov_b32_e32 v17, s35
	v_add_co_u32_e64 v46, s[0:1], s34, v46
	v_addc_co_u32_e64 v47, s[0:1], v17, v47, s[0:1]
	v_subrev_u32_e32 v17, s37, v44
	v_mov_b32_e32 v19, 0x80
	s_and_b64 s[0:1], s[44:45], s[2:3]
	v_cndmask_b32_e64 v17, v19, v17, s[0:1]
	v_ashrrev_i32_e32 v19, 31, v18
	global_store_dword v[46:47], v24, off
	v_lshlrev_b64 v[46:47], 2, v[18:19]
	s_waitcnt lgkmcnt(0)
	v_mov_b32_e32 v19, s41
	v_add_co_u32_e64 v46, s[0:1], s40, v46
	v_addc_co_u32_e64 v47, s[0:1], v19, v47, s[0:1]
	global_store_dword v[46:47], v17, off
	v_ashrrev_i32_e32 v17, 31, v16
	v_lshlrev_b64 v[46:47], 2, v[16:17]
	v_mov_b32_e32 v17, s43
	v_add_co_u32_e64 v46, s[0:1], s42, v46
	v_addc_co_u32_e64 v47, s[0:1], v17, v47, s[0:1]
	global_store_dword v[46:47], v22, off
.LBB182_9:
	s_or_b64 exec, exec, s[4:5]
	v_ashrrev_i32_e32 v19, 31, v44
	v_lshrrev_b32_e32 v17, 28, v19
	v_add_u32_e32 v17, v44, v17
	v_ashrrev_i32_e32 v17, 4, v17
	v_lshrrev_b32_e32 v21, 29, v17
	v_add_u32_e32 v21, v17, v21
	v_and_b32_e32 v21, -8, v21
	v_sub_u32_e32 v21, v17, v21
	v_cmp_eq_u32_e64 s[0:1], v23, v21
	s_and_saveexec_b64 s[48:49], s[0:1]
	s_cbranch_execz .LBB182_11
; %bb.10:
	v_lshrrev_b32_e32 v19, 25, v19
	v_add_u32_e32 v19, v44, v19
	v_lshlrev_b32_e32 v17, 4, v17
	v_sub_u32_e32 v17, v44, v17
	v_ashrrev_i32_e32 v19, 7, v19
	v_lshl_add_u32 v17, v19, 4, v17
	v_mov_b32_e32 v19, 0xff800000
	v_cmp_ne_u32_e64 s[0:1], 14, v17
	v_cmp_ne_u32_e64 s[2:3], 13, v17
	;; [unrolled: 1-line block ×16, first 2 shown]
	v_cndmask_b32_e64 v15, v19, v15, s[30:31]
	v_cndmask_b32_e64 v14, v19, v14, s[0:1]
	;; [unrolled: 1-line block ×16, first 2 shown]
.LBB182_11:
	s_or_b64 exec, exec, s[48:49]
	s_cmp_eq_u32 s36, 1
	s_cbranch_scc1 .LBB182_18
; %bb.12:
	s_add_i32 s50, s50, s33
	s_add_i32 s51, s36, -1
	v_add3_u32 v41, s50, v42, v41
	v_add_u32_e32 v16, 1, v16
	v_add_u32_e32 v18, 1, v18
	;; [unrolled: 1-line block ×3, first 2 shown]
	s_mov_b32 s50, 0x3fb8aa3b
	s_mov_b32 s52, 0xc2ce8ed0
	s_mov_b32 s53, 0x42b17218
	v_mov_b32_e32 v42, 0x7f800000
	v_mov_b32_e32 v44, 0x80
	;; [unrolled: 1-line block ×3, first 2 shown]
	s_branch .LBB182_14
.LBB182_13:                             ;   in Loop: Header=BB182_14 Depth=1
	s_or_b64 exec, exec, s[48:49]
	s_add_i32 s51, s51, -1
	v_add_u32_e32 v41, s33, v41
	v_add_u32_e32 v16, 1, v16
	;; [unrolled: 1-line block ×3, first 2 shown]
	s_cmp_eq_u32 s51, 0
	v_add_u32_e32 v20, 1, v20
	s_cbranch_scc1 .LBB182_18
.LBB182_14:                             ; =>This Inner Loop Header: Depth=1
	v_cmp_gt_f32_e64 s[0:1], v1, v0
	v_cndmask_b32_e64 v19, v0, v1, s[0:1]
	v_cndmask_b32_e64 v17, v25, v26, s[0:1]
	v_cmp_gt_f32_e64 s[0:1], v2, v19
	v_cndmask_b32_e64 v19, v19, v2, s[0:1]
	v_cndmask_b32_e64 v17, v17, v27, s[0:1]
	;; [unrolled: 3-line block ×15, first 2 shown]
	s_nop 0
	v_mov_b32_dpp v46, v17 quad_perm:[1,0,3,2] row_mask:0xf bank_mask:0xf
	v_mov_b32_dpp v21, v19 quad_perm:[1,0,3,2] row_mask:0xf bank_mask:0xf
	v_cmp_eq_f32_e64 s[2:3], v19, v21
	v_cmp_lt_i32_e64 s[4:5], v46, v17
	v_cmp_lt_f32_e64 s[0:1], v19, v21
	s_and_b64 s[2:3], s[2:3], s[4:5]
	s_or_b64 s[0:1], s[0:1], s[2:3]
	v_cndmask_b32_e64 v19, v19, v21, s[0:1]
	v_cndmask_b32_e64 v21, v17, v46, s[0:1]
	s_nop 0
	v_mov_b32_dpp v17, v19 quad_perm:[2,3,0,1] row_mask:0xf bank_mask:0xf
	v_mov_b32_dpp v46, v21 quad_perm:[2,3,0,1] row_mask:0xf bank_mask:0xf
	v_cmp_eq_f32_e64 s[2:3], v19, v17
	v_cmp_lt_i32_e64 s[4:5], v46, v21
	v_cmp_lt_f32_e64 s[0:1], v19, v17
	s_and_b64 s[2:3], s[2:3], s[4:5]
	s_or_b64 s[0:1], s[0:1], s[2:3]
	v_cndmask_b32_e64 v17, v19, v17, s[0:1]
	v_cndmask_b32_e64 v21, v21, v46, s[0:1]
	s_nop 0
	v_mov_b32_dpp v19, v17 row_half_mirror row_mask:0xf bank_mask:0xf
	v_mov_b32_dpp v46, v21 row_half_mirror row_mask:0xf bank_mask:0xf
	v_cmp_eq_f32_e64 s[2:3], v17, v19
	v_cmp_lt_i32_e64 s[4:5], v46, v21
	v_cmp_lt_f32_e64 s[0:1], v17, v19
	s_and_b64 s[2:3], s[2:3], s[4:5]
	s_or_b64 s[0:1], s[0:1], s[2:3]
	v_cndmask_b32_e64 v46, v21, v46, s[0:1]
	s_and_saveexec_b64 s[4:5], vcc
	s_cbranch_execz .LBB182_16
; %bb.15:                               ;   in Loop: Header=BB182_14 Depth=1
	v_cndmask_b32_e64 v17, v17, v19, s[0:1]
	v_sub_f32_e32 v17, v17, v43
	v_mul_f32_e32 v19, 0x3fb8aa3b, v17
	v_fma_f32 v21, v17, s50, -v19
	v_rndne_f32_e32 v47, v19
	v_fmac_f32_e32 v21, 0x32a5705f, v17
	v_sub_f32_e32 v19, v19, v47
	v_add_f32_e32 v19, v19, v21
	v_exp_f32_e32 v19, v19
	v_cvt_i32_f32_e32 v21, v47
	v_cmp_le_i32_e64 s[0:1], s37, v46
	v_cmp_gt_i32_e64 s[2:3], s38, v46
	s_and_b64 s[2:3], s[0:1], s[2:3]
	v_ldexp_f32 v19, v19, v21
	v_cmp_ngt_f32_e64 s[0:1], s52, v17
	v_ashrrev_i32_e32 v21, 31, v20
	v_cndmask_b32_e64 v19, 0, v19, s[0:1]
	v_cmp_nlt_f32_e64 s[0:1], s53, v17
	v_lshlrev_b64 v[48:49], 2, v[20:21]
	v_cndmask_b32_e64 v47, v42, v19, s[0:1]
	v_mov_b32_e32 v17, s35
	v_add_co_u32_e64 v48, s[0:1], s34, v48
	v_addc_co_u32_e64 v49, s[0:1], v17, v49, s[0:1]
	v_ashrrev_i32_e32 v19, 31, v18
	global_store_dword v[48:49], v47, off
	v_subrev_u32_e32 v17, s37, v46
	s_and_b64 s[0:1], s[44:45], s[2:3]
	v_lshlrev_b64 v[48:49], 2, v[18:19]
	v_cndmask_b32_e64 v17, v44, v17, s[0:1]
	s_waitcnt lgkmcnt(0)
	v_mov_b32_e32 v19, s41
	v_add_co_u32_e64 v48, s[0:1], s40, v48
	v_addc_co_u32_e64 v49, s[0:1], v19, v49, s[0:1]
	global_store_dword v[48:49], v17, off
	v_ashrrev_i32_e32 v17, 31, v16
	v_lshlrev_b64 v[48:49], 2, v[16:17]
	v_mov_b32_e32 v17, s43
	v_add_co_u32_e64 v48, s[0:1], s42, v48
	v_addc_co_u32_e64 v49, s[0:1], v17, v49, s[0:1]
	v_add_f32_e32 v24, v24, v47
	global_store_dword v[48:49], v41, off
.LBB182_16:                             ;   in Loop: Header=BB182_14 Depth=1
	s_or_b64 exec, exec, s[4:5]
	v_ashrrev_i32_e32 v19, 31, v46
	v_lshrrev_b32_e32 v17, 28, v19
	v_add_u32_e32 v17, v46, v17
	v_ashrrev_i32_e32 v17, 4, v17
	v_lshrrev_b32_e32 v21, 29, v17
	v_add_u32_e32 v21, v17, v21
	v_and_b32_e32 v21, -8, v21
	v_sub_u32_e32 v21, v17, v21
	v_cmp_eq_u32_e64 s[0:1], v23, v21
	s_and_saveexec_b64 s[48:49], s[0:1]
	s_cbranch_execz .LBB182_13
; %bb.17:                               ;   in Loop: Header=BB182_14 Depth=1
	v_lshrrev_b32_e32 v19, 25, v19
	v_add_u32_e32 v19, v46, v19
	v_lshlrev_b32_e32 v17, 4, v17
	v_sub_u32_e32 v17, v46, v17
	v_ashrrev_i32_e32 v19, 7, v19
	v_lshl_add_u32 v17, v19, 4, v17
	v_cmp_ne_u32_e64 s[0:1], 14, v17
	v_cmp_ne_u32_e64 s[2:3], 13, v17
	;; [unrolled: 1-line block ×16, first 2 shown]
	v_cndmask_b32_e64 v15, v45, v15, s[30:31]
	v_cndmask_b32_e64 v14, v45, v14, s[0:1]
	;; [unrolled: 1-line block ×16, first 2 shown]
	s_branch .LBB182_13
.LBB182_18:
	v_cmp_eq_u32_e32 vcc, 0, v23
	v_cmp_neq_f32_e64 s[0:1], 0, v24
	s_and_b64 s[0:1], vcc, s[0:1]
	s_and_b64 exec, exec, s[0:1]
	s_cbranch_execz .LBB182_29
; %bb.19:
	s_andn2_b64 vcc, exec, s[46:47]
	s_cbranch_vccnz .LBB182_29
; %bb.20:
	v_div_scale_f32 v0, s[0:1], v24, v24, 1.0
	v_rcp_f32_e32 v1, v0
	v_div_scale_f32 v2, vcc, 1.0, v24, 1.0
	s_cmp_gt_u32 s36, 3
	v_fma_f32 v3, -v0, v1, 1.0
	v_fmac_f32_e32 v1, v3, v1
	v_mul_f32_e32 v3, v2, v1
	v_fma_f32 v4, -v0, v3, v2
	v_fmac_f32_e32 v3, v4, v1
	v_fma_f32 v0, -v0, v3, v2
	v_div_fmas_f32 v0, v0, v1, v3
	v_mul_lo_u32 v2, v22, s39
	v_div_fixup_f32 v0, v0, v24, 1.0
	v_ashrrev_i32_e32 v3, 31, v2
	s_cbranch_scc0 .LBB182_24
; %bb.21:
	v_lshlrev_b64 v[4:5], 2, v[2:3]
	v_mov_b32_e32 v6, s35
	v_add_co_u32_e32 v4, vcc, s34, v4
	v_addc_co_u32_e32 v5, vcc, v5, v6, vcc
	s_and_b32 s4, s36, 0x7ffffffc
	v_add_co_u32_e32 v4, vcc, 8, v4
	v_mov_b32_e32 v1, v0
	v_addc_co_u32_e32 v5, vcc, 0, v5, vcc
	s_mov_b32 s0, s4
.LBB182_22:                             ; =>This Inner Loop Header: Depth=1
	global_load_dwordx4 v[6:9], v[4:5], off offset:-8
	s_add_i32 s0, s0, -4
	s_cmp_lg_u32 s0, 0
	s_waitcnt vmcnt(0)
	v_pk_mul_f32 v[6:7], v[0:1], v[6:7]
	v_pk_mul_f32 v[8:9], v[0:1], v[8:9]
	global_store_dwordx4 v[4:5], v[6:9], off offset:-8
	v_add_co_u32_e32 v4, vcc, 16, v4
	v_addc_co_u32_e32 v5, vcc, 0, v5, vcc
	s_cbranch_scc1 .LBB182_22
; %bb.23:
	s_cmp_lg_u32 s4, s36
	s_cselect_b64 s[0:1], -1, 0
	s_branch .LBB182_26
.LBB182_24:
	s_mov_b64 s[0:1], 0
                                        ; implicit-def: $sgpr4
	s_cbranch_execz .LBB182_26
; %bb.25:
	s_mov_b64 s[0:1], -1
	s_mov_b32 s4, 0
.LBB182_26:
	s_andn2_b64 vcc, exec, s[0:1]
	s_cbranch_vccnz .LBB182_29
; %bb.27:
	v_add_co_u32_e32 v2, vcc, s4, v2
	v_addc_co_u32_e32 v3, vcc, 0, v3, vcc
	v_lshlrev_b64 v[2:3], 2, v[2:3]
	v_mov_b32_e32 v1, s35
	v_add_co_u32_e32 v2, vcc, s34, v2
	s_sub_i32 s0, s36, s4
	v_addc_co_u32_e32 v3, vcc, v1, v3, vcc
.LBB182_28:                             ; =>This Inner Loop Header: Depth=1
	global_load_dword v1, v[2:3], off
	s_add_i32 s0, s0, -1
	s_cmp_lg_u32 s0, 0
	s_waitcnt vmcnt(0)
	v_mul_f32_e32 v1, v0, v1
	global_store_dword v[2:3], v1, off
	v_add_co_u32_e32 v2, vcc, 4, v2
	v_addc_co_u32_e32 v3, vcc, 0, v3, vcc
	s_cbranch_scc1 .LBB182_28
.LBB182_29:
	s_endpgm
	.section	.rodata,"a",@progbits
	.p2align	6, 0x0
	.amdhsa_kernel _ZN4vllm3moe17topkGatingSoftmaxIDF16_Li16ELi128ELi8ELi32ELb1ELi4ELNS0_23SharedExpertScoringFuncE1EEEvPKT_PKbPfiPiS9_iiiiii
		.amdhsa_group_segment_fixed_size 0
		.amdhsa_private_segment_fixed_size 0
		.amdhsa_kernarg_size 72
		.amdhsa_user_sgpr_count 6
		.amdhsa_user_sgpr_private_segment_buffer 1
		.amdhsa_user_sgpr_dispatch_ptr 0
		.amdhsa_user_sgpr_queue_ptr 0
		.amdhsa_user_sgpr_kernarg_segment_ptr 1
		.amdhsa_user_sgpr_dispatch_id 0
		.amdhsa_user_sgpr_flat_scratch_init 0
		.amdhsa_user_sgpr_kernarg_preload_length 0
		.amdhsa_user_sgpr_kernarg_preload_offset 0
		.amdhsa_user_sgpr_private_segment_size 0
		.amdhsa_uses_dynamic_stack 0
		.amdhsa_system_sgpr_private_segment_wavefront_offset 0
		.amdhsa_system_sgpr_workgroup_id_x 1
		.amdhsa_system_sgpr_workgroup_id_y 0
		.amdhsa_system_sgpr_workgroup_id_z 0
		.amdhsa_system_sgpr_workgroup_info 0
		.amdhsa_system_vgpr_workitem_id 1
		.amdhsa_next_free_vgpr 50
		.amdhsa_next_free_sgpr 54
		.amdhsa_accum_offset 52
		.amdhsa_reserve_vcc 1
		.amdhsa_reserve_flat_scratch 0
		.amdhsa_float_round_mode_32 0
		.amdhsa_float_round_mode_16_64 0
		.amdhsa_float_denorm_mode_32 3
		.amdhsa_float_denorm_mode_16_64 3
		.amdhsa_dx10_clamp 1
		.amdhsa_ieee_mode 1
		.amdhsa_fp16_overflow 0
		.amdhsa_tg_split 0
		.amdhsa_exception_fp_ieee_invalid_op 0
		.amdhsa_exception_fp_denorm_src 0
		.amdhsa_exception_fp_ieee_div_zero 0
		.amdhsa_exception_fp_ieee_overflow 0
		.amdhsa_exception_fp_ieee_underflow 0
		.amdhsa_exception_fp_ieee_inexact 0
		.amdhsa_exception_int_div_zero 0
	.end_amdhsa_kernel
	.section	.text._ZN4vllm3moe17topkGatingSoftmaxIDF16_Li16ELi128ELi8ELi32ELb1ELi4ELNS0_23SharedExpertScoringFuncE1EEEvPKT_PKbPfiPiS9_iiiiii,"axG",@progbits,_ZN4vllm3moe17topkGatingSoftmaxIDF16_Li16ELi128ELi8ELi32ELb1ELi4ELNS0_23SharedExpertScoringFuncE1EEEvPKT_PKbPfiPiS9_iiiiii,comdat
.Lfunc_end182:
	.size	_ZN4vllm3moe17topkGatingSoftmaxIDF16_Li16ELi128ELi8ELi32ELb1ELi4ELNS0_23SharedExpertScoringFuncE1EEEvPKT_PKbPfiPiS9_iiiiii, .Lfunc_end182-_ZN4vllm3moe17topkGatingSoftmaxIDF16_Li16ELi128ELi8ELi32ELb1ELi4ELNS0_23SharedExpertScoringFuncE1EEEvPKT_PKbPfiPiS9_iiiiii
                                        ; -- End function
	.section	.AMDGPU.csdata,"",@progbits
; Kernel info:
; codeLenInByte = 3356
; NumSgprs: 58
; NumVgprs: 50
; NumAgprs: 0
; TotalNumVgprs: 50
; ScratchSize: 0
; MemoryBound: 0
; FloatMode: 240
; IeeeMode: 1
; LDSByteSize: 0 bytes/workgroup (compile time only)
; SGPRBlocks: 7
; VGPRBlocks: 6
; NumSGPRsForWavesPerEU: 58
; NumVGPRsForWavesPerEU: 50
; AccumOffset: 52
; Occupancy: 8
; WaveLimiterHint : 0
; COMPUTE_PGM_RSRC2:SCRATCH_EN: 0
; COMPUTE_PGM_RSRC2:USER_SGPR: 6
; COMPUTE_PGM_RSRC2:TRAP_HANDLER: 0
; COMPUTE_PGM_RSRC2:TGID_X_EN: 1
; COMPUTE_PGM_RSRC2:TGID_Y_EN: 0
; COMPUTE_PGM_RSRC2:TGID_Z_EN: 0
; COMPUTE_PGM_RSRC2:TIDIG_COMP_CNT: 1
; COMPUTE_PGM_RSRC3_GFX90A:ACCUM_OFFSET: 12
; COMPUTE_PGM_RSRC3_GFX90A:TG_SPLIT: 0
	.section	.text._ZN4vllm3moe17topkGatingSoftmaxIDF16_Li16ELi128ELi8ELi32ELb0ELi4ELNS0_23SharedExpertScoringFuncE1EEEvPKT_PKbPfiPiS9_iiiiii,"axG",@progbits,_ZN4vllm3moe17topkGatingSoftmaxIDF16_Li16ELi128ELi8ELi32ELb0ELi4ELNS0_23SharedExpertScoringFuncE1EEEvPKT_PKbPfiPiS9_iiiiii,comdat
	.protected	_ZN4vllm3moe17topkGatingSoftmaxIDF16_Li16ELi128ELi8ELi32ELb0ELi4ELNS0_23SharedExpertScoringFuncE1EEEvPKT_PKbPfiPiS9_iiiiii ; -- Begin function _ZN4vllm3moe17topkGatingSoftmaxIDF16_Li16ELi128ELi8ELi32ELb0ELi4ELNS0_23SharedExpertScoringFuncE1EEEvPKT_PKbPfiPiS9_iiiiii
	.globl	_ZN4vllm3moe17topkGatingSoftmaxIDF16_Li16ELi128ELi8ELi32ELb0ELi4ELNS0_23SharedExpertScoringFuncE1EEEvPKT_PKbPfiPiS9_iiiiii
	.p2align	8
	.type	_ZN4vllm3moe17topkGatingSoftmaxIDF16_Li16ELi128ELi8ELi32ELb0ELi4ELNS0_23SharedExpertScoringFuncE1EEEvPKT_PKbPfiPiS9_iiiiii,@function
_ZN4vllm3moe17topkGatingSoftmaxIDF16_Li16ELi128ELi8ELi32ELb0ELi4ELNS0_23SharedExpertScoringFuncE1EEEvPKT_PKbPfiPiS9_iiiiii: ; @_ZN4vllm3moe17topkGatingSoftmaxIDF16_Li16ELi128ELi8ELi32ELb0ELi4ELNS0_23SharedExpertScoringFuncE1EEEvPKT_PKbPfiPiS9_iiiiii
; %bb.0:
	s_load_dword s33, s[4:5], 0x18
	v_bfe_u32 v1, v0, 10, 10
	v_and_b32_e32 v0, 0x3ff, v0
	s_lshl_b32 s50, s6, 6
	v_lshlrev_b32_e32 v41, 3, v1
	v_lshrrev_b32_e32 v43, 3, v0
	v_add3_u32 v22, s50, v41, v43
	s_waitcnt lgkmcnt(0)
	v_cmp_gt_i32_e32 vcc, s33, v22
	s_and_saveexec_b64 s[0:1], vcc
	s_cbranch_execz .LBB183_31
; %bb.1:
	s_load_dwordx4 s[0:3], s[4:5], 0x0
	s_load_dwordx2 s[34:35], s[4:5], 0x10
	s_waitcnt lgkmcnt(0)
	s_cmp_eq_u64 s[2:3], 0
	s_cbranch_scc1 .LBB183_3
; %bb.2:
	v_ashrrev_i32_e32 v1, 31, v22
	v_mov_b32_e32 v3, s3
	v_add_co_u32_e32 v2, vcc, s2, v22
	v_addc_co_u32_e32 v3, vcc, v3, v1, vcc
	global_load_ubyte v1, v[2:3], off
	s_waitcnt vmcnt(0)
	v_and_b32_e32 v1, 1, v1
	v_cmp_eq_u32_e32 vcc, 1, v1
	s_xor_b64 s[2:3], vcc, -1
	s_orn2_b64 s[46:47], s[2:3], exec
	s_branch .LBB183_4
.LBB183_3:
	s_mov_b64 s[46:47], -1
.LBB183_4:
	s_load_dwordx2 s[6:7], s[4:5], 0x40
	s_load_dwordx4 s[36:39], s[4:5], 0x30
	v_mov_b32_e32 v4, s1
	v_and_b32_e32 v23, 7, v0
	v_lshlrev_b32_e32 v0, 5, v23
	s_waitcnt lgkmcnt(0)
	v_mul_lo_u32 v2, v22, s7
	v_ashrrev_i32_e32 v3, 31, v2
	v_lshlrev_b64 v[2:3], 1, v[2:3]
	v_add_co_u32_e32 v1, vcc, s0, v2
	v_addc_co_u32_e32 v2, vcc, v4, v3, vcc
	v_add_co_u32_e32 v8, vcc, v1, v0
	v_addc_co_u32_e32 v9, vcc, 0, v2, vcc
	global_load_dwordx4 v[12:15], v[8:9], off offset:16
	global_load_dwordx4 v[4:7], v[8:9], off
	v_lshlrev_b32_e32 v26, 4, v23
	v_mov_b32_e32 v24, 0
	v_cmp_gt_u32_e32 vcc, 4, v23
	s_and_saveexec_b64 s[0:1], vcc
	s_cbranch_execz .LBB183_6
; %bb.5:
	v_lshlrev_b32_e32 v0, 1, v23
	v_add_co_u32_e32 v0, vcc, v1, v0
	v_addc_co_u32_e32 v1, vcc, 0, v2, vcc
	global_load_ushort v0, v[0:1], off offset:256
	s_mov_b32 s2, 0x3fb8aa3b
	s_mov_b32 s3, 0x32a5705f
	;; [unrolled: 1-line block ×4, first 2 shown]
	v_mov_b32_e32 v3, 0x7f800000
	v_mul_lo_u32 v1, v22, s39
	s_waitcnt vmcnt(0)
	v_cvt_f32_f16_e64 v2, -v0
	v_mul_f32_e32 v8, 0x3fb8aa3b, v2
	v_fma_mix_f32 v9, -v0, s2, -v8 op_sel_hi:[1,0,0]
	v_rndne_f32_e32 v10, v8
	v_fma_mix_f32 v0, -v0, s3, v9 op_sel_hi:[1,0,0]
	v_sub_f32_e32 v8, v8, v10
	v_add_f32_e32 v0, v8, v0
	v_cvt_i32_f32_e32 v9, v10
	v_exp_f32_e32 v8, v0
	v_cmp_ngt_f32_e32 vcc, s7, v2
	v_add3_u32 v0, v1, s36, v23
	v_ashrrev_i32_e32 v1, 31, v0
	v_ldexp_f32 v8, v8, v9
	v_cndmask_b32_e32 v8, 0, v8, vcc
	v_cmp_nlt_f32_e32 vcc, s8, v2
	v_cndmask_b32_e32 v2, v3, v8, vcc
	v_add_f32_e32 v2, 1.0, v2
	v_div_scale_f32 v3, s[2:3], v2, v2, 1.0
	v_rcp_f32_e32 v8, v3
	v_div_scale_f32 v9, vcc, 1.0, v2, 1.0
	v_lshlrev_b64 v[0:1], 2, v[0:1]
	v_fma_f32 v11, -v3, v8, 1.0
	v_fmac_f32_e32 v8, v11, v8
	v_mul_f32_e32 v11, v9, v8
	v_fma_f32 v16, -v3, v11, v9
	v_fmac_f32_e32 v11, v16, v8
	v_fma_f32 v3, -v3, v11, v9
	v_mov_b32_e32 v10, s35
	v_div_fmas_f32 v3, v3, v8, v11
	v_add_co_u32_e32 v0, vcc, s34, v0
	v_div_fixup_f32 v2, v3, v2, 1.0
	v_addc_co_u32_e32 v1, vcc, v10, v1, vcc
	global_store_dword v[0:1], v2, off
.LBB183_6:
	s_or_b64 exec, exec, s[0:1]
	s_waitcnt vmcnt(0)
	v_cvt_f32_f16_e32 v0, v4
	v_cvt_f32_f16_sdwa v1, v4 dst_sel:DWORD dst_unused:UNUSED_PAD src0_sel:WORD_1
	v_cvt_f32_f16_e32 v2, v5
	v_cmp_lt_f16_sdwa vcc, v4, v4 src0_sel:DWORD src1_sel:WORD_1
	v_or_b32_e32 v27, 1, v26
	v_cndmask_b32_e32 v4, v0, v1, vcc
	v_cndmask_b32_e32 v3, v26, v27, vcc
	v_or_b32_e32 v28, 2, v26
	v_cmp_lt_f32_e32 vcc, v4, v2
	v_cndmask_b32_e32 v8, v3, v28, vcc
	v_cvt_f32_f16_sdwa v3, v5 dst_sel:DWORD dst_unused:UNUSED_PAD src0_sel:WORD_1
	v_cndmask_b32_e32 v4, v4, v2, vcc
	v_or_b32_e32 v29, 3, v26
	v_or_b32_e32 v30, 4, v26
	v_cmp_lt_f32_e32 vcc, v4, v3
	v_cndmask_b32_e32 v5, v8, v29, vcc
	v_cndmask_b32_e32 v8, v4, v3, vcc
	v_cvt_f32_f16_e32 v4, v6
	v_or_b32_e32 v31, 5, v26
	v_or_b32_e32 v32, 6, v26
	;; [unrolled: 1-line block ×3, first 2 shown]
	v_cmp_lt_f32_e32 vcc, v8, v4
	v_cndmask_b32_e32 v9, v5, v30, vcc
	v_cvt_f32_f16_sdwa v5, v6 dst_sel:DWORD dst_unused:UNUSED_PAD src0_sel:WORD_1
	v_cvt_f32_f16_e32 v6, v7
	v_cndmask_b32_e32 v8, v8, v4, vcc
	v_cvt_f32_f16_sdwa v7, v7 dst_sel:DWORD dst_unused:UNUSED_PAD src0_sel:WORD_1
	v_cmp_lt_f32_e32 vcc, v8, v5
	v_cndmask_b32_e32 v8, v8, v5, vcc
	v_cndmask_b32_e32 v9, v9, v31, vcc
	v_cmp_lt_f32_e32 vcc, v8, v6
	v_cndmask_b32_e32 v8, v8, v6, vcc
	v_cndmask_b32_e32 v9, v9, v32, vcc
	v_cmp_lt_f32_e32 vcc, v8, v7
	v_cndmask_b32_e32 v10, v8, v7, vcc
	v_cvt_f32_f16_e32 v8, v12
	v_cndmask_b32_e32 v9, v9, v33, vcc
	v_or_b32_e32 v34, 8, v26
	v_or_b32_e32 v35, 9, v26
	v_cmp_lt_f32_e32 vcc, v10, v8
	v_cndmask_b32_e32 v11, v9, v34, vcc
	v_cvt_f32_f16_sdwa v9, v12 dst_sel:DWORD dst_unused:UNUSED_PAD src0_sel:WORD_1
	v_cndmask_b32_e32 v10, v10, v8, vcc
	v_or_b32_e32 v36, 10, v26
	v_or_b32_e32 v37, 11, v26
	v_cmp_lt_f32_e32 vcc, v10, v9
	v_cndmask_b32_e32 v12, v10, v9, vcc
	v_cvt_f32_f16_e32 v10, v13
	v_cndmask_b32_e32 v11, v11, v35, vcc
	v_or_b32_e32 v38, 12, v26
	v_or_b32_e32 v39, 13, v26
	v_cmp_lt_f32_e32 vcc, v12, v10
	v_cndmask_b32_e32 v16, v11, v36, vcc
	v_cvt_f32_f16_sdwa v11, v13 dst_sel:DWORD dst_unused:UNUSED_PAD src0_sel:WORD_1
	v_cndmask_b32_e32 v12, v12, v10, vcc
	v_or_b32_e32 v40, 14, v26
	v_or_b32_e32 v42, 15, v26
	v_cmp_lt_f32_e32 vcc, v12, v11
	v_cndmask_b32_e32 v13, v16, v37, vcc
	v_cndmask_b32_e32 v16, v12, v11, vcc
	v_cvt_f32_f16_e32 v12, v14
	v_cmp_lt_f32_e32 vcc, v16, v12
	v_cndmask_b32_e32 v17, v13, v38, vcc
	v_cvt_f32_f16_sdwa v13, v14 dst_sel:DWORD dst_unused:UNUSED_PAD src0_sel:WORD_1
	v_cvt_f32_f16_e32 v14, v15
	v_cndmask_b32_e32 v16, v16, v12, vcc
	v_cvt_f32_f16_sdwa v15, v15 dst_sel:DWORD dst_unused:UNUSED_PAD src0_sel:WORD_1
	v_cmp_lt_f32_e32 vcc, v16, v13
	v_cndmask_b32_e32 v16, v16, v13, vcc
	v_cndmask_b32_e32 v17, v17, v39, vcc
	v_cmp_lt_f32_e32 vcc, v16, v14
	v_cndmask_b32_e32 v16, v16, v14, vcc
	v_cndmask_b32_e32 v17, v17, v40, vcc
	;; [unrolled: 3-line block ×3, first 2 shown]
	s_nop 0
	v_mov_b32_dpp v19, v17 quad_perm:[1,0,3,2] row_mask:0xf bank_mask:0xf
	v_mov_b32_dpp v18, v16 quad_perm:[1,0,3,2] row_mask:0xf bank_mask:0xf
	v_cmp_eq_f32_e64 s[0:1], v16, v18
	v_cmp_lt_i32_e64 s[2:3], v19, v17
	v_cmp_lt_f32_e32 vcc, v16, v18
	s_and_b64 s[0:1], s[0:1], s[2:3]
	s_or_b64 vcc, vcc, s[0:1]
	v_cndmask_b32_e32 v16, v16, v18, vcc
	v_cndmask_b32_e32 v17, v17, v19, vcc
	s_nop 0
	v_mov_b32_dpp v18, v16 quad_perm:[2,3,0,1] row_mask:0xf bank_mask:0xf
	v_mov_b32_dpp v19, v17 quad_perm:[2,3,0,1] row_mask:0xf bank_mask:0xf
	v_cmp_eq_f32_e64 s[0:1], v16, v18
	v_cmp_lt_i32_e64 s[2:3], v19, v17
	v_cmp_lt_f32_e32 vcc, v16, v18
	s_and_b64 s[0:1], s[0:1], s[2:3]
	s_or_b64 vcc, vcc, s[0:1]
	v_cndmask_b32_e32 v18, v16, v18, vcc
	v_cndmask_b32_e32 v16, v17, v19, vcc
	s_nop 0
	v_mov_b32_dpp v19, v18 row_half_mirror row_mask:0xf bank_mask:0xf
	v_mov_b32_dpp v17, v16 row_half_mirror row_mask:0xf bank_mask:0xf
	v_cmp_eq_f32_e64 s[0:1], v18, v19
	v_cmp_lt_i32_e64 s[2:3], v17, v16
	v_cmp_lt_f32_e32 vcc, v18, v19
	s_and_b64 s[0:1], s[0:1], s[2:3]
	s_or_b64 s[0:1], vcc, s[0:1]
	s_cmp_gt_i32 s36, 0
	v_cndmask_b32_e64 v25, v18, v19, s[0:1]
	s_cselect_b64 s[44:45], -1, 0
	s_cmp_lt_i32 s36, 1
	v_cmp_eq_u32_e32 vcc, 0, v23
	s_cbranch_scc1 .LBB183_18
; %bb.7:
	s_load_dwordx4 s[40:43], s[4:5], 0x20
	v_cndmask_b32_e64 v44, v16, v17, s[0:1]
	v_mul_lo_u32 v20, v22, s39
	v_mul_lo_u32 v18, v22, s6
	;; [unrolled: 1-line block ×3, first 2 shown]
	v_mov_b32_e32 v24, 0
	s_and_saveexec_b64 s[4:5], vcc
	s_cbranch_execz .LBB183_9
; %bb.8:
	v_sub_f32_e32 v17, v25, v25
	v_mul_f32_e32 v19, 0x3fb8aa3b, v17
	s_mov_b32 s0, 0x3fb8aa3b
	v_rndne_f32_e32 v21, v19
	v_sub_f32_e32 v24, v19, v21
	v_fma_f32 v19, v17, s0, -v19
	v_fmac_f32_e32 v19, 0x32a5705f, v17
	v_add_f32_e32 v19, v24, v19
	v_exp_f32_e32 v19, v19
	v_cvt_i32_f32_e32 v21, v21
	v_cmp_le_i32_e64 s[0:1], s37, v44
	v_cmp_gt_i32_e64 s[2:3], s38, v44
	s_and_b64 s[2:3], s[0:1], s[2:3]
	s_mov_b32 s0, 0xc2ce8ed0
	v_ldexp_f32 v19, v19, v21
	v_cmp_ngt_f32_e64 s[0:1], s0, v17
	v_cndmask_b32_e64 v19, 0, v19, s[0:1]
	s_mov_b32 s0, 0x42b17218
	v_mov_b32_e32 v21, 0x7f800000
	v_cmp_nlt_f32_e64 s[0:1], s0, v17
	v_cndmask_b32_e64 v24, v21, v19, s[0:1]
	v_ashrrev_i32_e32 v21, 31, v20
	v_lshlrev_b64 v[46:47], 2, v[20:21]
	v_mov_b32_e32 v17, s35
	v_add_co_u32_e64 v46, s[0:1], s34, v46
	v_addc_co_u32_e64 v47, s[0:1], v17, v47, s[0:1]
	v_subrev_u32_e32 v17, s37, v44
	v_mov_b32_e32 v19, 0x80
	s_and_b64 s[0:1], s[46:47], s[2:3]
	v_cndmask_b32_e64 v17, v19, v17, s[0:1]
	v_ashrrev_i32_e32 v19, 31, v18
	global_store_dword v[46:47], v24, off
	v_lshlrev_b64 v[46:47], 2, v[18:19]
	s_waitcnt lgkmcnt(0)
	v_mov_b32_e32 v19, s41
	v_add_co_u32_e64 v46, s[0:1], s40, v46
	v_addc_co_u32_e64 v47, s[0:1], v19, v47, s[0:1]
	global_store_dword v[46:47], v17, off
	v_ashrrev_i32_e32 v17, 31, v16
	v_lshlrev_b64 v[46:47], 2, v[16:17]
	v_mov_b32_e32 v17, s43
	v_add_co_u32_e64 v46, s[0:1], s42, v46
	v_addc_co_u32_e64 v47, s[0:1], v17, v47, s[0:1]
	global_store_dword v[46:47], v22, off
.LBB183_9:
	s_or_b64 exec, exec, s[4:5]
	v_ashrrev_i32_e32 v19, 31, v44
	v_lshrrev_b32_e32 v17, 28, v19
	v_add_u32_e32 v17, v44, v17
	v_ashrrev_i32_e32 v17, 4, v17
	v_lshrrev_b32_e32 v21, 29, v17
	v_add_u32_e32 v21, v17, v21
	v_and_b32_e32 v21, -8, v21
	v_sub_u32_e32 v21, v17, v21
	v_cmp_eq_u32_e64 s[0:1], v23, v21
	s_and_saveexec_b64 s[48:49], s[0:1]
	s_cbranch_execz .LBB183_11
; %bb.10:
	v_lshrrev_b32_e32 v19, 25, v19
	v_add_u32_e32 v19, v44, v19
	v_lshlrev_b32_e32 v17, 4, v17
	v_sub_u32_e32 v17, v44, v17
	v_ashrrev_i32_e32 v19, 7, v19
	v_lshl_add_u32 v17, v19, 4, v17
	v_mov_b32_e32 v19, 0xff800000
	v_cmp_ne_u32_e64 s[0:1], 14, v17
	v_cmp_ne_u32_e64 s[2:3], 13, v17
	;; [unrolled: 1-line block ×16, first 2 shown]
	v_cndmask_b32_e64 v15, v19, v15, s[30:31]
	v_cndmask_b32_e64 v14, v19, v14, s[0:1]
	;; [unrolled: 1-line block ×16, first 2 shown]
.LBB183_11:
	s_or_b64 exec, exec, s[48:49]
	s_cmp_eq_u32 s36, 1
	s_cbranch_scc1 .LBB183_18
; %bb.12:
	s_add_i32 s50, s50, s33
	s_add_i32 s51, s36, -1
	v_add3_u32 v41, s50, v43, v41
	v_add_u32_e32 v16, 1, v16
	v_add_u32_e32 v18, 1, v18
	;; [unrolled: 1-line block ×3, first 2 shown]
	s_mov_b32 s50, 0x3fb8aa3b
	s_mov_b32 s52, 0xc2ce8ed0
	;; [unrolled: 1-line block ×3, first 2 shown]
	v_mov_b32_e32 v43, 0x7f800000
	v_mov_b32_e32 v44, 0x80
	;; [unrolled: 1-line block ×3, first 2 shown]
	s_branch .LBB183_14
.LBB183_13:                             ;   in Loop: Header=BB183_14 Depth=1
	s_or_b64 exec, exec, s[48:49]
	s_add_i32 s51, s51, -1
	v_add_u32_e32 v41, s33, v41
	v_add_u32_e32 v16, 1, v16
	;; [unrolled: 1-line block ×3, first 2 shown]
	s_cmp_eq_u32 s51, 0
	v_add_u32_e32 v20, 1, v20
	s_cbranch_scc1 .LBB183_18
.LBB183_14:                             ; =>This Inner Loop Header: Depth=1
	v_cmp_gt_f32_e64 s[0:1], v1, v0
	v_cndmask_b32_e64 v19, v0, v1, s[0:1]
	v_cndmask_b32_e64 v17, v26, v27, s[0:1]
	v_cmp_gt_f32_e64 s[0:1], v2, v19
	v_cndmask_b32_e64 v19, v19, v2, s[0:1]
	v_cndmask_b32_e64 v17, v17, v28, s[0:1]
	;; [unrolled: 3-line block ×15, first 2 shown]
	s_nop 0
	v_mov_b32_dpp v46, v17 quad_perm:[1,0,3,2] row_mask:0xf bank_mask:0xf
	v_mov_b32_dpp v21, v19 quad_perm:[1,0,3,2] row_mask:0xf bank_mask:0xf
	v_cmp_eq_f32_e64 s[2:3], v19, v21
	v_cmp_lt_i32_e64 s[4:5], v46, v17
	v_cmp_lt_f32_e64 s[0:1], v19, v21
	s_and_b64 s[2:3], s[2:3], s[4:5]
	s_or_b64 s[0:1], s[0:1], s[2:3]
	v_cndmask_b32_e64 v19, v19, v21, s[0:1]
	v_cndmask_b32_e64 v21, v17, v46, s[0:1]
	s_nop 0
	v_mov_b32_dpp v17, v19 quad_perm:[2,3,0,1] row_mask:0xf bank_mask:0xf
	v_mov_b32_dpp v46, v21 quad_perm:[2,3,0,1] row_mask:0xf bank_mask:0xf
	v_cmp_eq_f32_e64 s[2:3], v19, v17
	v_cmp_lt_i32_e64 s[4:5], v46, v21
	v_cmp_lt_f32_e64 s[0:1], v19, v17
	s_and_b64 s[2:3], s[2:3], s[4:5]
	s_or_b64 s[0:1], s[0:1], s[2:3]
	v_cndmask_b32_e64 v17, v19, v17, s[0:1]
	v_cndmask_b32_e64 v21, v21, v46, s[0:1]
	s_nop 0
	v_mov_b32_dpp v19, v17 row_half_mirror row_mask:0xf bank_mask:0xf
	v_mov_b32_dpp v46, v21 row_half_mirror row_mask:0xf bank_mask:0xf
	v_cmp_eq_f32_e64 s[2:3], v17, v19
	v_cmp_lt_i32_e64 s[4:5], v46, v21
	v_cmp_lt_f32_e64 s[0:1], v17, v19
	s_and_b64 s[2:3], s[2:3], s[4:5]
	s_or_b64 s[0:1], s[0:1], s[2:3]
	v_cndmask_b32_e64 v46, v21, v46, s[0:1]
	s_and_saveexec_b64 s[4:5], vcc
	s_cbranch_execz .LBB183_16
; %bb.15:                               ;   in Loop: Header=BB183_14 Depth=1
	v_cndmask_b32_e64 v17, v17, v19, s[0:1]
	v_sub_f32_e32 v17, v17, v25
	v_mul_f32_e32 v19, 0x3fb8aa3b, v17
	v_fma_f32 v21, v17, s50, -v19
	v_rndne_f32_e32 v47, v19
	v_fmac_f32_e32 v21, 0x32a5705f, v17
	v_sub_f32_e32 v19, v19, v47
	v_add_f32_e32 v19, v19, v21
	v_exp_f32_e32 v19, v19
	v_cvt_i32_f32_e32 v21, v47
	v_cmp_le_i32_e64 s[0:1], s37, v46
	v_cmp_gt_i32_e64 s[2:3], s38, v46
	s_and_b64 s[2:3], s[0:1], s[2:3]
	v_ldexp_f32 v19, v19, v21
	v_cmp_ngt_f32_e64 s[0:1], s52, v17
	v_ashrrev_i32_e32 v21, 31, v20
	v_cndmask_b32_e64 v19, 0, v19, s[0:1]
	v_cmp_nlt_f32_e64 s[0:1], s53, v17
	v_lshlrev_b64 v[48:49], 2, v[20:21]
	v_cndmask_b32_e64 v47, v43, v19, s[0:1]
	v_mov_b32_e32 v17, s35
	v_add_co_u32_e64 v48, s[0:1], s34, v48
	v_addc_co_u32_e64 v49, s[0:1], v17, v49, s[0:1]
	v_ashrrev_i32_e32 v19, 31, v18
	global_store_dword v[48:49], v47, off
	v_subrev_u32_e32 v17, s37, v46
	s_and_b64 s[0:1], s[46:47], s[2:3]
	v_lshlrev_b64 v[48:49], 2, v[18:19]
	v_cndmask_b32_e64 v17, v44, v17, s[0:1]
	s_waitcnt lgkmcnt(0)
	v_mov_b32_e32 v19, s41
	v_add_co_u32_e64 v48, s[0:1], s40, v48
	v_addc_co_u32_e64 v49, s[0:1], v19, v49, s[0:1]
	global_store_dword v[48:49], v17, off
	v_ashrrev_i32_e32 v17, 31, v16
	v_lshlrev_b64 v[48:49], 2, v[16:17]
	v_mov_b32_e32 v17, s43
	v_add_co_u32_e64 v48, s[0:1], s42, v48
	v_addc_co_u32_e64 v49, s[0:1], v17, v49, s[0:1]
	v_add_f32_e32 v24, v24, v47
	global_store_dword v[48:49], v41, off
.LBB183_16:                             ;   in Loop: Header=BB183_14 Depth=1
	s_or_b64 exec, exec, s[4:5]
	v_ashrrev_i32_e32 v19, 31, v46
	v_lshrrev_b32_e32 v17, 28, v19
	v_add_u32_e32 v17, v46, v17
	v_ashrrev_i32_e32 v17, 4, v17
	v_lshrrev_b32_e32 v21, 29, v17
	v_add_u32_e32 v21, v17, v21
	v_and_b32_e32 v21, -8, v21
	v_sub_u32_e32 v21, v17, v21
	v_cmp_eq_u32_e64 s[0:1], v23, v21
	s_and_saveexec_b64 s[48:49], s[0:1]
	s_cbranch_execz .LBB183_13
; %bb.17:                               ;   in Loop: Header=BB183_14 Depth=1
	v_lshrrev_b32_e32 v19, 25, v19
	v_add_u32_e32 v19, v46, v19
	v_lshlrev_b32_e32 v17, 4, v17
	v_sub_u32_e32 v17, v46, v17
	v_ashrrev_i32_e32 v19, 7, v19
	v_lshl_add_u32 v17, v19, 4, v17
	v_cmp_ne_u32_e64 s[0:1], 14, v17
	v_cmp_ne_u32_e64 s[2:3], 13, v17
	;; [unrolled: 1-line block ×16, first 2 shown]
	v_cndmask_b32_e64 v15, v45, v15, s[30:31]
	v_cndmask_b32_e64 v14, v45, v14, s[0:1]
	;; [unrolled: 1-line block ×16, first 2 shown]
	s_branch .LBB183_13
.LBB183_18:
	v_sub_f32_e32 v0, v0, v25
	s_mov_b32 s2, 0x3fb8aa3b
	v_mul_f32_e32 v16, 0x3fb8aa3b, v0
	v_fma_f32 v17, v0, s2, -v16
	v_rndne_f32_e32 v18, v16
	v_fmac_f32_e32 v17, 0x32a5705f, v0
	v_sub_f32_e32 v16, v16, v18
	v_add_f32_e32 v16, v16, v17
	v_exp_f32_e32 v16, v16
	v_cvt_i32_f32_e32 v17, v18
	v_sub_f32_e32 v1, v1, v25
	s_mov_b32 s4, 0xc2ce8ed0
	s_mov_b32 s3, 0x42b17218
	v_ldexp_f32 v16, v16, v17
	v_mul_f32_e32 v17, 0x3fb8aa3b, v1
	v_fma_f32 v18, v1, s2, -v17
	v_rndne_f32_e32 v19, v17
	v_fmac_f32_e32 v18, 0x32a5705f, v1
	v_sub_f32_e32 v17, v17, v19
	v_add_f32_e32 v17, v17, v18
	v_exp_f32_e32 v17, v17
	v_cvt_i32_f32_e32 v18, v19
	v_cmp_ngt_f32_e32 vcc, s4, v1
	v_cmp_ngt_f32_e64 s[0:1], s4, v0
	v_sub_f32_e32 v2, v2, v25
	v_ldexp_f32 v17, v17, v18
	v_cndmask_b32_e32 v17, 0, v17, vcc
	v_mov_b32_e32 v18, 0x7f800000
	v_cmp_nlt_f32_e32 vcc, s3, v1
	v_cndmask_b32_e64 v1, 0, v16, s[0:1]
	v_cmp_nlt_f32_e64 s[0:1], s3, v0
	v_cndmask_b32_e64 v0, v18, v1, s[0:1]
	v_cndmask_b32_e32 v1, v18, v17, vcc
	v_add_f32_e32 v0, v0, v1
	v_mul_f32_e32 v1, 0x3fb8aa3b, v2
	v_fma_f32 v16, v2, s2, -v1
	v_rndne_f32_e32 v17, v1
	v_fmac_f32_e32 v16, 0x32a5705f, v2
	v_sub_f32_e32 v1, v1, v17
	v_add_f32_e32 v1, v1, v16
	v_exp_f32_e32 v1, v1
	v_cvt_i32_f32_e32 v16, v17
	v_cmp_ngt_f32_e32 vcc, s4, v2
	v_sub_f32_e32 v3, v3, v25
	v_sub_f32_e32 v4, v4, v25
	v_ldexp_f32 v1, v1, v16
	v_cndmask_b32_e32 v1, 0, v1, vcc
	v_cmp_nlt_f32_e32 vcc, s3, v2
	v_cndmask_b32_e32 v1, v18, v1, vcc
	v_add_f32_e32 v0, v0, v1
	v_mul_f32_e32 v1, 0x3fb8aa3b, v3
	v_fma_f32 v2, v3, s2, -v1
	v_rndne_f32_e32 v16, v1
	v_fmac_f32_e32 v2, 0x32a5705f, v3
	v_sub_f32_e32 v1, v1, v16
	v_add_f32_e32 v1, v1, v2
	v_exp_f32_e32 v1, v1
	v_cvt_i32_f32_e32 v2, v16
	v_cmp_ngt_f32_e32 vcc, s4, v3
	v_sub_f32_e32 v5, v5, v25
	v_sub_f32_e32 v6, v6, v25
	v_ldexp_f32 v1, v1, v2
	v_cndmask_b32_e32 v1, 0, v1, vcc
	v_cmp_nlt_f32_e32 vcc, s3, v3
	;; [unrolled: 16-line block ×5, first 2 shown]
	v_cndmask_b32_e32 v1, v18, v1, vcc
	v_add_f32_e32 v0, v0, v1
	v_mul_f32_e32 v1, 0x3fb8aa3b, v7
	v_fma_f32 v2, v7, s2, -v1
	v_rndne_f32_e32 v3, v1
	v_fmac_f32_e32 v2, 0x32a5705f, v7
	v_sub_f32_e32 v1, v1, v3
	v_add_f32_e32 v1, v1, v2
	v_exp_f32_e32 v1, v1
	v_cvt_i32_f32_e32 v2, v3
	v_cmp_ngt_f32_e32 vcc, s4, v7
	v_ldexp_f32 v1, v1, v2
	v_mul_f32_e32 v2, 0x3fb8aa3b, v8
	v_fma_f32 v3, v8, s2, -v2
	v_rndne_f32_e32 v4, v2
	v_fmac_f32_e32 v3, 0x32a5705f, v8
	v_sub_f32_e32 v2, v2, v4
	v_add_f32_e32 v2, v2, v3
	v_exp_f32_e32 v2, v2
	v_cvt_i32_f32_e32 v3, v4
	v_cndmask_b32_e32 v1, 0, v1, vcc
	v_cmp_nlt_f32_e32 vcc, s3, v7
	v_cndmask_b32_e32 v1, v18, v1, vcc
	v_add_f32_e32 v0, v0, v1
	v_ldexp_f32 v1, v2, v3
	v_mul_f32_e32 v2, 0x3fb8aa3b, v9
	v_fma_f32 v3, v9, s2, -v2
	v_rndne_f32_e32 v4, v2
	v_fmac_f32_e32 v3, 0x32a5705f, v9
	v_sub_f32_e32 v2, v2, v4
	v_add_f32_e32 v2, v2, v3
	v_exp_f32_e32 v2, v2
	v_cvt_i32_f32_e32 v3, v4
	v_cmp_ngt_f32_e32 vcc, s4, v8
	v_cndmask_b32_e32 v1, 0, v1, vcc
	v_cmp_nlt_f32_e32 vcc, s3, v8
	v_cndmask_b32_e32 v1, v18, v1, vcc
	v_add_f32_e32 v0, v0, v1
	v_ldexp_f32 v1, v2, v3
	v_mul_f32_e32 v2, 0x3fb8aa3b, v10
	v_fma_f32 v3, v10, s2, -v2
	v_rndne_f32_e32 v4, v2
	v_fmac_f32_e32 v3, 0x32a5705f, v10
	v_sub_f32_e32 v2, v2, v4
	v_add_f32_e32 v2, v2, v3
	v_exp_f32_e32 v2, v2
	v_cvt_i32_f32_e32 v3, v4
	v_cmp_ngt_f32_e32 vcc, s4, v9
	;; [unrolled: 14-line block ×4, first 2 shown]
	v_cndmask_b32_e32 v1, 0, v1, vcc
	v_cmp_nlt_f32_e32 vcc, s3, v11
	v_cndmask_b32_e32 v1, v18, v1, vcc
	v_add_f32_e32 v0, v0, v1
	v_ldexp_f32 v1, v2, v3
	v_sub_f32_e32 v2, v13, v25
	v_mul_f32_e32 v3, 0x3fb8aa3b, v2
	v_fma_f32 v4, v2, s2, -v3
	v_rndne_f32_e32 v5, v3
	v_fmac_f32_e32 v4, 0x32a5705f, v2
	v_sub_f32_e32 v3, v3, v5
	v_add_f32_e32 v3, v3, v4
	v_exp_f32_e32 v3, v3
	v_cvt_i32_f32_e32 v4, v5
	v_cmp_ngt_f32_e32 vcc, s4, v12
	v_cndmask_b32_e32 v1, 0, v1, vcc
	v_cmp_nlt_f32_e32 vcc, s3, v12
	v_cndmask_b32_e32 v1, v18, v1, vcc
	v_add_f32_e32 v0, v0, v1
	v_ldexp_f32 v1, v3, v4
	v_sub_f32_e32 v3, v14, v25
	v_mul_f32_e32 v4, 0x3fb8aa3b, v3
	v_fma_f32 v5, v3, s2, -v4
	v_rndne_f32_e32 v6, v4
	v_fmac_f32_e32 v5, 0x32a5705f, v3
	v_sub_f32_e32 v4, v4, v6
	v_add_f32_e32 v4, v4, v5
	v_exp_f32_e32 v4, v4
	v_cvt_i32_f32_e32 v5, v6
	v_cmp_ngt_f32_e32 vcc, s4, v2
	v_cndmask_b32_e32 v1, 0, v1, vcc
	v_cmp_nlt_f32_e32 vcc, s3, v2
	v_cndmask_b32_e32 v1, v18, v1, vcc
	v_sub_f32_e32 v2, v15, v25
	v_add_f32_e32 v0, v0, v1
	v_ldexp_f32 v1, v4, v5
	v_mul_f32_e32 v4, 0x3fb8aa3b, v2
	v_fma_f32 v5, v2, s2, -v4
	v_rndne_f32_e32 v6, v4
	v_fmac_f32_e32 v5, 0x32a5705f, v2
	v_sub_f32_e32 v4, v4, v6
	v_add_f32_e32 v4, v4, v5
	v_exp_f32_e32 v4, v4
	v_cvt_i32_f32_e32 v5, v6
	v_cmp_ngt_f32_e32 vcc, s4, v3
	v_cndmask_b32_e32 v1, 0, v1, vcc
	v_cmp_nlt_f32_e32 vcc, s3, v3
	v_cndmask_b32_e32 v1, v18, v1, vcc
	v_add_f32_e32 v0, v0, v1
	v_ldexp_f32 v1, v4, v5
	v_cmp_ngt_f32_e32 vcc, s4, v2
	v_cndmask_b32_e32 v1, 0, v1, vcc
	v_cmp_nlt_f32_e32 vcc, s3, v2
	v_cndmask_b32_e32 v1, v18, v1, vcc
	v_add_f32_e32 v0, v0, v1
	v_cmp_eq_u32_e32 vcc, 0, v23
	s_nop 0
	v_mov_b32_dpp v1, v0 quad_perm:[1,0,3,2] row_mask:0xf bank_mask:0xf
	v_add_f32_e32 v0, v0, v1
	s_nop 1
	v_mov_b32_dpp v1, v0 quad_perm:[2,3,0,1] row_mask:0xf bank_mask:0xf
	v_add_f32_e32 v0, v0, v1
	s_nop 1
	v_mov_b32_dpp v1, v0 row_half_mirror row_mask:0xf bank_mask:0xf
	s_and_b64 exec, exec, vcc
	s_cbranch_execz .LBB183_31
; %bb.19:
	v_add_f32_e32 v0, v0, v1
	v_add_f32_e32 v0, v24, v0
	v_cmp_neq_f32_e32 vcc, 0, v0
	s_and_b64 exec, exec, vcc
	s_cbranch_execz .LBB183_31
; %bb.20:
	s_andn2_b64 vcc, exec, s[44:45]
	s_cbranch_vccnz .LBB183_31
; %bb.21:
	v_div_scale_f32 v1, s[0:1], v0, v0, 1.0
	v_rcp_f32_e32 v2, v1
	v_div_scale_f32 v3, vcc, 1.0, v0, 1.0
	s_cmp_gt_u32 s36, 3
	v_fma_f32 v4, -v1, v2, 1.0
	v_fmac_f32_e32 v2, v4, v2
	v_mul_f32_e32 v4, v3, v2
	v_fma_f32 v5, -v1, v4, v3
	v_fmac_f32_e32 v4, v5, v2
	v_fma_f32 v1, -v1, v4, v3
	v_div_fmas_f32 v1, v1, v2, v4
	v_mul_lo_u32 v2, v22, s39
	v_div_fixup_f32 v0, v1, v0, 1.0
	v_ashrrev_i32_e32 v3, 31, v2
	s_cbranch_scc0 .LBB183_25
; %bb.22:
	v_lshlrev_b64 v[4:5], 2, v[2:3]
	v_mov_b32_e32 v6, s35
	v_add_co_u32_e32 v4, vcc, s34, v4
	v_addc_co_u32_e32 v5, vcc, v5, v6, vcc
	s_and_b32 s4, s36, 0x7ffffffc
	v_add_co_u32_e32 v4, vcc, 8, v4
	v_mov_b32_e32 v1, v0
	v_addc_co_u32_e32 v5, vcc, 0, v5, vcc
	s_mov_b32 s0, s4
.LBB183_23:                             ; =>This Inner Loop Header: Depth=1
	global_load_dwordx4 v[6:9], v[4:5], off offset:-8
	s_add_i32 s0, s0, -4
	s_cmp_lg_u32 s0, 0
	s_waitcnt vmcnt(0)
	v_pk_mul_f32 v[6:7], v[0:1], v[6:7]
	v_pk_mul_f32 v[8:9], v[0:1], v[8:9]
	global_store_dwordx4 v[4:5], v[6:9], off offset:-8
	v_add_co_u32_e32 v4, vcc, 16, v4
	v_addc_co_u32_e32 v5, vcc, 0, v5, vcc
	s_cbranch_scc1 .LBB183_23
; %bb.24:
	s_cmp_lg_u32 s4, s36
	s_mov_b64 s[2:3], 0
	s_cselect_b64 s[0:1], -1, 0
	s_branch .LBB183_26
.LBB183_25:
	s_mov_b64 s[2:3], -1
	s_mov_b64 s[0:1], 0
                                        ; implicit-def: $sgpr4
.LBB183_26:
	s_and_b64 vcc, exec, s[2:3]
	s_cbranch_vccz .LBB183_28
; %bb.27:
	s_mov_b64 s[0:1], -1
	s_mov_b32 s4, 0
.LBB183_28:
	s_andn2_b64 vcc, exec, s[0:1]
	s_cbranch_vccnz .LBB183_31
; %bb.29:
	v_add_co_u32_e32 v2, vcc, s4, v2
	v_addc_co_u32_e32 v3, vcc, 0, v3, vcc
	v_lshlrev_b64 v[2:3], 2, v[2:3]
	v_mov_b32_e32 v1, s35
	v_add_co_u32_e32 v2, vcc, s34, v2
	s_sub_i32 s0, s36, s4
	v_addc_co_u32_e32 v3, vcc, v1, v3, vcc
.LBB183_30:                             ; =>This Inner Loop Header: Depth=1
	global_load_dword v1, v[2:3], off
	s_add_i32 s0, s0, -1
	s_cmp_lg_u32 s0, 0
	s_waitcnt vmcnt(0)
	v_mul_f32_e32 v1, v0, v1
	global_store_dword v[2:3], v1, off
	v_add_co_u32_e32 v2, vcc, 4, v2
	v_addc_co_u32_e32 v3, vcc, 0, v3, vcc
	s_cbranch_scc1 .LBB183_30
.LBB183_31:
	s_endpgm
	.section	.rodata,"a",@progbits
	.p2align	6, 0x0
	.amdhsa_kernel _ZN4vllm3moe17topkGatingSoftmaxIDF16_Li16ELi128ELi8ELi32ELb0ELi4ELNS0_23SharedExpertScoringFuncE1EEEvPKT_PKbPfiPiS9_iiiiii
		.amdhsa_group_segment_fixed_size 0
		.amdhsa_private_segment_fixed_size 0
		.amdhsa_kernarg_size 72
		.amdhsa_user_sgpr_count 6
		.amdhsa_user_sgpr_private_segment_buffer 1
		.amdhsa_user_sgpr_dispatch_ptr 0
		.amdhsa_user_sgpr_queue_ptr 0
		.amdhsa_user_sgpr_kernarg_segment_ptr 1
		.amdhsa_user_sgpr_dispatch_id 0
		.amdhsa_user_sgpr_flat_scratch_init 0
		.amdhsa_user_sgpr_kernarg_preload_length 0
		.amdhsa_user_sgpr_kernarg_preload_offset 0
		.amdhsa_user_sgpr_private_segment_size 0
		.amdhsa_uses_dynamic_stack 0
		.amdhsa_system_sgpr_private_segment_wavefront_offset 0
		.amdhsa_system_sgpr_workgroup_id_x 1
		.amdhsa_system_sgpr_workgroup_id_y 0
		.amdhsa_system_sgpr_workgroup_id_z 0
		.amdhsa_system_sgpr_workgroup_info 0
		.amdhsa_system_vgpr_workitem_id 1
		.amdhsa_next_free_vgpr 50
		.amdhsa_next_free_sgpr 54
		.amdhsa_accum_offset 52
		.amdhsa_reserve_vcc 1
		.amdhsa_reserve_flat_scratch 0
		.amdhsa_float_round_mode_32 0
		.amdhsa_float_round_mode_16_64 0
		.amdhsa_float_denorm_mode_32 3
		.amdhsa_float_denorm_mode_16_64 3
		.amdhsa_dx10_clamp 1
		.amdhsa_ieee_mode 1
		.amdhsa_fp16_overflow 0
		.amdhsa_tg_split 0
		.amdhsa_exception_fp_ieee_invalid_op 0
		.amdhsa_exception_fp_denorm_src 0
		.amdhsa_exception_fp_ieee_div_zero 0
		.amdhsa_exception_fp_ieee_overflow 0
		.amdhsa_exception_fp_ieee_underflow 0
		.amdhsa_exception_fp_ieee_inexact 0
		.amdhsa_exception_int_div_zero 0
	.end_amdhsa_kernel
	.section	.text._ZN4vllm3moe17topkGatingSoftmaxIDF16_Li16ELi128ELi8ELi32ELb0ELi4ELNS0_23SharedExpertScoringFuncE1EEEvPKT_PKbPfiPiS9_iiiiii,"axG",@progbits,_ZN4vllm3moe17topkGatingSoftmaxIDF16_Li16ELi128ELi8ELi32ELb0ELi4ELNS0_23SharedExpertScoringFuncE1EEEvPKT_PKbPfiPiS9_iiiiii,comdat
.Lfunc_end183:
	.size	_ZN4vllm3moe17topkGatingSoftmaxIDF16_Li16ELi128ELi8ELi32ELb0ELi4ELNS0_23SharedExpertScoringFuncE1EEEvPKT_PKbPfiPiS9_iiiiii, .Lfunc_end183-_ZN4vllm3moe17topkGatingSoftmaxIDF16_Li16ELi128ELi8ELi32ELb0ELi4ELNS0_23SharedExpertScoringFuncE1EEEvPKT_PKbPfiPiS9_iiiiii
                                        ; -- End function
	.section	.AMDGPU.csdata,"",@progbits
; Kernel info:
; codeLenInByte = 4680
; NumSgprs: 58
; NumVgprs: 50
; NumAgprs: 0
; TotalNumVgprs: 50
; ScratchSize: 0
; MemoryBound: 0
; FloatMode: 240
; IeeeMode: 1
; LDSByteSize: 0 bytes/workgroup (compile time only)
; SGPRBlocks: 7
; VGPRBlocks: 6
; NumSGPRsForWavesPerEU: 58
; NumVGPRsForWavesPerEU: 50
; AccumOffset: 52
; Occupancy: 8
; WaveLimiterHint : 0
; COMPUTE_PGM_RSRC2:SCRATCH_EN: 0
; COMPUTE_PGM_RSRC2:USER_SGPR: 6
; COMPUTE_PGM_RSRC2:TRAP_HANDLER: 0
; COMPUTE_PGM_RSRC2:TGID_X_EN: 1
; COMPUTE_PGM_RSRC2:TGID_Y_EN: 0
; COMPUTE_PGM_RSRC2:TGID_Z_EN: 0
; COMPUTE_PGM_RSRC2:TIDIG_COMP_CNT: 1
; COMPUTE_PGM_RSRC3_GFX90A:ACCUM_OFFSET: 12
; COMPUTE_PGM_RSRC3_GFX90A:TG_SPLIT: 0
	.section	.text._ZN4vllm3moe17topkGatingSoftmaxIDF16_Li16ELi128ELi8ELi32ELb1ELi8ELNS0_23SharedExpertScoringFuncE1EEEvPKT_PKbPfiPiS9_iiiiii,"axG",@progbits,_ZN4vllm3moe17topkGatingSoftmaxIDF16_Li16ELi128ELi8ELi32ELb1ELi8ELNS0_23SharedExpertScoringFuncE1EEEvPKT_PKbPfiPiS9_iiiiii,comdat
	.protected	_ZN4vllm3moe17topkGatingSoftmaxIDF16_Li16ELi128ELi8ELi32ELb1ELi8ELNS0_23SharedExpertScoringFuncE1EEEvPKT_PKbPfiPiS9_iiiiii ; -- Begin function _ZN4vllm3moe17topkGatingSoftmaxIDF16_Li16ELi128ELi8ELi32ELb1ELi8ELNS0_23SharedExpertScoringFuncE1EEEvPKT_PKbPfiPiS9_iiiiii
	.globl	_ZN4vllm3moe17topkGatingSoftmaxIDF16_Li16ELi128ELi8ELi32ELb1ELi8ELNS0_23SharedExpertScoringFuncE1EEEvPKT_PKbPfiPiS9_iiiiii
	.p2align	8
	.type	_ZN4vllm3moe17topkGatingSoftmaxIDF16_Li16ELi128ELi8ELi32ELb1ELi8ELNS0_23SharedExpertScoringFuncE1EEEvPKT_PKbPfiPiS9_iiiiii,@function
_ZN4vllm3moe17topkGatingSoftmaxIDF16_Li16ELi128ELi8ELi32ELb1ELi8ELNS0_23SharedExpertScoringFuncE1EEEvPKT_PKbPfiPiS9_iiiiii: ; @_ZN4vllm3moe17topkGatingSoftmaxIDF16_Li16ELi128ELi8ELi32ELb1ELi8ELNS0_23SharedExpertScoringFuncE1EEEvPKT_PKbPfiPiS9_iiiiii
; %bb.0:
	s_load_dword s33, s[4:5], 0x18
	v_bfe_u32 v1, v0, 10, 10
	v_and_b32_e32 v0, 0x3ff, v0
	s_lshl_b32 s50, s6, 6
	v_lshlrev_b32_e32 v22, 3, v1
	v_lshrrev_b32_e32 v23, 3, v0
	v_add3_u32 v43, s50, v22, v23
	s_waitcnt lgkmcnt(0)
	v_cmp_gt_i32_e32 vcc, s33, v43
	s_and_saveexec_b64 s[0:1], vcc
	s_cbranch_execz .LBB184_27
; %bb.1:
	s_load_dwordx4 s[0:3], s[4:5], 0x0
	s_load_dwordx2 s[34:35], s[4:5], 0x10
	s_waitcnt lgkmcnt(0)
	s_cmp_eq_u64 s[2:3], 0
	s_cbranch_scc1 .LBB184_3
; %bb.2:
	v_ashrrev_i32_e32 v1, 31, v43
	v_mov_b32_e32 v3, s3
	v_add_co_u32_e32 v2, vcc, s2, v43
	v_addc_co_u32_e32 v3, vcc, v3, v1, vcc
	global_load_ubyte v1, v[2:3], off
	s_waitcnt vmcnt(0)
	v_and_b32_e32 v1, 1, v1
	v_cmp_eq_u32_e32 vcc, 1, v1
	s_xor_b64 s[2:3], vcc, -1
	s_orn2_b64 s[44:45], s[2:3], exec
	s_branch .LBB184_4
.LBB184_3:
	s_mov_b64 s[44:45], -1
.LBB184_4:
	s_load_dwordx2 s[8:9], s[4:5], 0x40
	s_load_dwordx4 s[36:39], s[4:5], 0x30
	v_mov_b32_e32 v1, s1
	v_and_b32_e32 v24, 7, v0
	v_lshlrev_b32_e32 v0, 1, v24
	s_waitcnt lgkmcnt(0)
	v_mul_lo_u32 v2, v43, s9
	v_ashrrev_i32_e32 v3, 31, v2
	v_lshlrev_b64 v[2:3], 1, v[2:3]
	v_add_co_u32_e32 v2, vcc, s0, v2
	v_addc_co_u32_e32 v3, vcc, v1, v3, vcc
	v_add_co_u32_e32 v0, vcc, v2, v0
	v_addc_co_u32_e32 v1, vcc, 0, v3, vcc
	global_load_ushort v8, v[0:1], off offset:256
	v_lshlrev_b32_e32 v4, 5, v24
	v_add_co_u32_e32 v0, vcc, v2, v4
	v_addc_co_u32_e32 v1, vcc, 0, v3, vcc
	global_load_dwordx4 v[4:7], v[0:1], off
	global_load_dwordx4 v[12:15], v[0:1], off offset:16
	v_mul_lo_u32 v16, v43, s39
	v_add3_u32 v0, v16, s36, v24
	v_ashrrev_i32_e32 v1, 31, v0
	v_lshlrev_b64 v[0:1], 2, v[0:1]
	v_mov_b32_e32 v3, s35
	v_add_co_u32_e32 v2, vcc, s34, v0
	s_mov_b32 s0, 0x3fb8aa3b
	v_addc_co_u32_e32 v3, vcc, v3, v1, vcc
	s_mov_b32 s1, 0x32a5705f
	s_mov_b32 s2, 0xc2ce8ed0
	;; [unrolled: 1-line block ×3, first 2 shown]
	v_mov_b32_e32 v9, 0x7f800000
	v_lshlrev_b32_e32 v25, 4, v24
	v_or_b32_e32 v26, 1, v25
	v_or_b32_e32 v27, 2, v25
	;; [unrolled: 1-line block ×15, first 2 shown]
	v_mov_b32_e32 v41, 0
	s_waitcnt vmcnt(2)
	v_cvt_f32_f16_e64 v10, -v8
	v_mul_f32_e32 v1, 0x3fb8aa3b, v10
	v_fma_mix_f32 v11, -v8, s0, -v1 op_sel_hi:[1,0,0]
	v_rndne_f32_e32 v17, v1
	v_fma_mix_f32 v8, -v8, s1, v11 op_sel_hi:[1,0,0]
	v_sub_f32_e32 v1, v1, v17
	v_add_f32_e32 v1, v1, v8
	v_cvt_i32_f32_e32 v11, v17
	v_exp_f32_e32 v8, v1
	v_cmp_ngt_f32_e64 s[0:1], s2, v10
	s_waitcnt vmcnt(1)
	v_cvt_f32_f16_e32 v0, v4
	v_cvt_f32_f16_sdwa v1, v4 dst_sel:DWORD dst_unused:UNUSED_PAD src0_sel:WORD_1
	v_ldexp_f32 v8, v8, v11
	v_cndmask_b32_e64 v8, 0, v8, s[0:1]
	v_cmp_nlt_f32_e64 s[0:1], s3, v10
	v_cndmask_b32_e64 v8, v9, v8, s[0:1]
	v_add_f32_e32 v8, 1.0, v8
	v_div_scale_f32 v9, s[0:1], v8, v8, 1.0
	v_rcp_f32_e32 v10, v9
	v_cmp_lt_f16_sdwa vcc, v4, v4 src0_sel:DWORD src1_sel:WORD_1
	v_cndmask_b32_e32 v4, v25, v26, vcc
	v_cndmask_b32_e32 v11, v0, v1, vcc
	v_fma_f32 v18, -v9, v10, 1.0
	v_div_scale_f32 v17, vcc, 1.0, v8, 1.0
	v_fmac_f32_e32 v10, v18, v10
	v_mul_f32_e32 v18, v17, v10
	v_fma_f32 v19, -v9, v18, v17
	v_fmac_f32_e32 v18, v19, v10
	v_fma_f32 v9, -v9, v18, v17
	v_div_fmas_f32 v9, v9, v10, v18
	v_div_fixup_f32 v8, v9, v8, 1.0
	global_store_dword v[2:3], v8, off
	v_cvt_f32_f16_e32 v2, v5
	v_cvt_f32_f16_sdwa v3, v5 dst_sel:DWORD dst_unused:UNUSED_PAD src0_sel:WORD_1
	v_cmp_lt_f32_e32 vcc, v11, v2
	v_cndmask_b32_e32 v8, v11, v2, vcc
	v_cndmask_b32_e32 v4, v4, v27, vcc
	v_cmp_lt_f32_e32 vcc, v8, v3
	v_cndmask_b32_e32 v5, v4, v28, vcc
	v_cvt_f32_f16_e32 v4, v6
	v_cndmask_b32_e32 v8, v8, v3, vcc
	v_cmp_lt_f32_e32 vcc, v8, v4
	v_cndmask_b32_e32 v9, v5, v29, vcc
	v_cvt_f32_f16_sdwa v5, v6 dst_sel:DWORD dst_unused:UNUSED_PAD src0_sel:WORD_1
	v_cvt_f32_f16_e32 v6, v7
	v_cndmask_b32_e32 v8, v8, v4, vcc
	v_cvt_f32_f16_sdwa v7, v7 dst_sel:DWORD dst_unused:UNUSED_PAD src0_sel:WORD_1
	v_cmp_lt_f32_e32 vcc, v8, v5
	v_cndmask_b32_e32 v8, v8, v5, vcc
	v_cndmask_b32_e32 v9, v9, v30, vcc
	v_cmp_lt_f32_e32 vcc, v8, v6
	v_cndmask_b32_e32 v8, v8, v6, vcc
	v_cndmask_b32_e32 v9, v9, v31, vcc
	v_cmp_lt_f32_e32 vcc, v8, v7
	v_cndmask_b32_e32 v10, v8, v7, vcc
	s_waitcnt vmcnt(1)
	v_cvt_f32_f16_e32 v8, v12
	v_cndmask_b32_e32 v9, v9, v32, vcc
	v_cmp_lt_f32_e32 vcc, v10, v8
	v_cndmask_b32_e32 v11, v9, v33, vcc
	v_cvt_f32_f16_sdwa v9, v12 dst_sel:DWORD dst_unused:UNUSED_PAD src0_sel:WORD_1
	v_cndmask_b32_e32 v10, v10, v8, vcc
	v_cmp_lt_f32_e32 vcc, v10, v9
	v_cndmask_b32_e32 v12, v10, v9, vcc
	v_cvt_f32_f16_e32 v10, v13
	v_cndmask_b32_e32 v11, v11, v34, vcc
	v_cmp_lt_f32_e32 vcc, v12, v10
	v_cndmask_b32_e32 v17, v11, v35, vcc
	v_cvt_f32_f16_sdwa v11, v13 dst_sel:DWORD dst_unused:UNUSED_PAD src0_sel:WORD_1
	v_cndmask_b32_e32 v12, v12, v10, vcc
	v_cmp_lt_f32_e32 vcc, v12, v11
	v_cndmask_b32_e32 v13, v17, v36, vcc
	v_cndmask_b32_e32 v17, v12, v11, vcc
	v_cvt_f32_f16_e32 v12, v14
	v_cmp_lt_f32_e32 vcc, v17, v12
	v_cndmask_b32_e32 v18, v13, v37, vcc
	v_cvt_f32_f16_sdwa v13, v14 dst_sel:DWORD dst_unused:UNUSED_PAD src0_sel:WORD_1
	v_cvt_f32_f16_e32 v14, v15
	v_cndmask_b32_e32 v17, v17, v12, vcc
	v_cvt_f32_f16_sdwa v15, v15 dst_sel:DWORD dst_unused:UNUSED_PAD src0_sel:WORD_1
	v_cmp_lt_f32_e32 vcc, v17, v13
	v_cndmask_b32_e32 v17, v17, v13, vcc
	v_cndmask_b32_e32 v18, v18, v38, vcc
	v_cmp_lt_f32_e32 vcc, v17, v14
	v_cndmask_b32_e32 v17, v17, v14, vcc
	v_cndmask_b32_e32 v18, v18, v39, vcc
	v_cmp_lt_f32_e32 vcc, v17, v15
	v_cndmask_b32_e32 v18, v18, v40, vcc
	v_cndmask_b32_e32 v17, v17, v15, vcc
	s_nop 0
	v_mov_b32_dpp v20, v18 quad_perm:[1,0,3,2] row_mask:0xf bank_mask:0xf
	v_mov_b32_dpp v19, v17 quad_perm:[1,0,3,2] row_mask:0xf bank_mask:0xf
	v_cmp_eq_f32_e64 s[0:1], v17, v19
	v_cmp_lt_i32_e64 s[2:3], v20, v18
	v_cmp_lt_f32_e32 vcc, v17, v19
	s_and_b64 s[0:1], s[0:1], s[2:3]
	s_or_b64 vcc, vcc, s[0:1]
	v_cndmask_b32_e32 v17, v17, v19, vcc
	v_cndmask_b32_e32 v18, v18, v20, vcc
	s_nop 0
	v_mov_b32_dpp v19, v17 quad_perm:[2,3,0,1] row_mask:0xf bank_mask:0xf
	v_mov_b32_dpp v20, v18 quad_perm:[2,3,0,1] row_mask:0xf bank_mask:0xf
	v_cmp_eq_f32_e64 s[0:1], v17, v19
	v_cmp_lt_i32_e64 s[2:3], v20, v18
	v_cmp_lt_f32_e32 vcc, v17, v19
	s_and_b64 s[0:1], s[0:1], s[2:3]
	s_or_b64 vcc, vcc, s[0:1]
	v_cndmask_b32_e32 v17, v17, v19, vcc
	v_cndmask_b32_e32 v18, v18, v20, vcc
	s_cmp_gt_i32 s36, 0
	s_cselect_b64 s[46:47], -1, 0
	s_cmp_lt_i32 s36, 1
	v_cmp_eq_u32_e32 vcc, 0, v24
	v_mov_b32_dpp v20, v18 row_half_mirror row_mask:0xf bank_mask:0xf
	v_mov_b32_dpp v19, v17 row_half_mirror row_mask:0xf bank_mask:0xf
	s_cbranch_scc1 .LBB184_16
; %bb.5:
	s_load_dwordx4 s[40:43], s[4:5], 0x20
	v_cmp_eq_f32_e64 s[2:3], v17, v19
	v_cmp_lt_i32_e64 s[6:7], v20, v18
	v_cmp_lt_f32_e64 s[0:1], v17, v19
	s_and_b64 s[2:3], s[2:3], s[6:7]
	s_or_b64 s[0:1], s[0:1], s[2:3]
	v_cndmask_b32_e64 v44, v18, v20, s[0:1]
	v_cndmask_b32_e64 v42, v17, v19, s[0:1]
	v_mul_lo_u32 v20, v43, s8
	v_mul_lo_u32 v18, v43, s36
	v_mov_b32_e32 v41, 0
	s_and_saveexec_b64 s[4:5], vcc
	s_cbranch_execz .LBB184_7
; %bb.6:
	v_sub_f32_e32 v17, v42, v42
	v_mul_f32_e32 v19, 0x3fb8aa3b, v17
	s_mov_b32 s0, 0x3fb8aa3b
	v_rndne_f32_e32 v21, v19
	v_sub_f32_e32 v41, v19, v21
	v_fma_f32 v19, v17, s0, -v19
	v_fmac_f32_e32 v19, 0x32a5705f, v17
	v_add_f32_e32 v19, v41, v19
	v_exp_f32_e32 v19, v19
	v_cvt_i32_f32_e32 v21, v21
	v_cmp_le_i32_e64 s[0:1], s37, v44
	v_cmp_gt_i32_e64 s[2:3], s38, v44
	s_and_b64 s[2:3], s[0:1], s[2:3]
	s_mov_b32 s0, 0xc2ce8ed0
	v_ldexp_f32 v19, v19, v21
	v_cmp_ngt_f32_e64 s[0:1], s0, v17
	v_cndmask_b32_e64 v19, 0, v19, s[0:1]
	s_mov_b32 s0, 0x42b17218
	v_cmp_nlt_f32_e64 s[0:1], s0, v17
	v_ashrrev_i32_e32 v17, 31, v16
	v_mov_b32_e32 v21, 0x7f800000
	v_lshlrev_b64 v[46:47], 2, v[16:17]
	v_cndmask_b32_e64 v41, v21, v19, s[0:1]
	v_mov_b32_e32 v17, s35
	v_add_co_u32_e64 v46, s[0:1], s34, v46
	v_addc_co_u32_e64 v47, s[0:1], v17, v47, s[0:1]
	v_ashrrev_i32_e32 v21, 31, v20
	global_store_dword v[46:47], v41, off
	v_subrev_u32_e32 v17, s37, v44
	v_mov_b32_e32 v19, 0x80
	s_and_b64 s[0:1], s[44:45], s[2:3]
	v_lshlrev_b64 v[46:47], 2, v[20:21]
	v_cndmask_b32_e64 v17, v19, v17, s[0:1]
	s_waitcnt lgkmcnt(0)
	v_mov_b32_e32 v19, s41
	v_add_co_u32_e64 v46, s[0:1], s40, v46
	v_addc_co_u32_e64 v47, s[0:1], v19, v47, s[0:1]
	v_ashrrev_i32_e32 v19, 31, v18
	global_store_dword v[46:47], v17, off
	v_lshlrev_b64 v[46:47], 2, v[18:19]
	v_mov_b32_e32 v17, s43
	v_add_co_u32_e64 v46, s[0:1], s42, v46
	v_addc_co_u32_e64 v47, s[0:1], v17, v47, s[0:1]
	global_store_dword v[46:47], v43, off
.LBB184_7:
	s_or_b64 exec, exec, s[4:5]
	v_ashrrev_i32_e32 v19, 31, v44
	v_lshrrev_b32_e32 v17, 28, v19
	v_add_u32_e32 v17, v44, v17
	v_ashrrev_i32_e32 v17, 4, v17
	v_lshrrev_b32_e32 v21, 29, v17
	v_add_u32_e32 v21, v17, v21
	v_and_b32_e32 v21, -8, v21
	v_sub_u32_e32 v21, v17, v21
	v_cmp_eq_u32_e64 s[0:1], v24, v21
	s_and_saveexec_b64 s[48:49], s[0:1]
	s_cbranch_execz .LBB184_9
; %bb.8:
	v_lshrrev_b32_e32 v19, 25, v19
	v_add_u32_e32 v19, v44, v19
	v_lshlrev_b32_e32 v17, 4, v17
	v_sub_u32_e32 v17, v44, v17
	v_ashrrev_i32_e32 v19, 7, v19
	v_lshl_add_u32 v17, v19, 4, v17
	v_mov_b32_e32 v19, 0xff800000
	v_cmp_ne_u32_e64 s[0:1], 14, v17
	v_cmp_ne_u32_e64 s[2:3], 13, v17
	;; [unrolled: 1-line block ×16, first 2 shown]
	v_cndmask_b32_e64 v15, v19, v15, s[30:31]
	v_cndmask_b32_e64 v14, v19, v14, s[0:1]
	;; [unrolled: 1-line block ×16, first 2 shown]
.LBB184_9:
	s_or_b64 exec, exec, s[48:49]
	s_cmp_eq_u32 s36, 1
	s_cbranch_scc1 .LBB184_16
; %bb.10:
	s_add_i32 s50, s50, s33
	s_add_i32 s39, s36, -1
	v_add3_u32 v17, s50, v23, v22
	v_add_u32_e32 v18, 1, v18
	v_add_u32_e32 v20, 1, v20
	v_add_u32_e32 v22, 1, v16
	s_mov_b32 s50, 0x3fb8aa3b
	s_mov_b32 s51, 0xc2ce8ed0
	;; [unrolled: 1-line block ×3, first 2 shown]
	v_mov_b32_e32 v43, 0x7f800000
	v_mov_b32_e32 v44, 0x80
	;; [unrolled: 1-line block ×3, first 2 shown]
	s_branch .LBB184_12
.LBB184_11:                             ;   in Loop: Header=BB184_12 Depth=1
	s_or_b64 exec, exec, s[48:49]
	s_add_i32 s39, s39, -1
	v_add_u32_e32 v17, s33, v17
	v_add_u32_e32 v18, 1, v18
	;; [unrolled: 1-line block ×3, first 2 shown]
	s_cmp_eq_u32 s39, 0
	v_add_u32_e32 v22, 1, v22
	s_cbranch_scc1 .LBB184_16
.LBB184_12:                             ; =>This Inner Loop Header: Depth=1
	v_cmp_gt_f32_e64 s[0:1], v1, v0
	v_cndmask_b32_e64 v21, v0, v1, s[0:1]
	v_cndmask_b32_e64 v19, v25, v26, s[0:1]
	v_cmp_gt_f32_e64 s[0:1], v2, v21
	v_cndmask_b32_e64 v21, v21, v2, s[0:1]
	v_cndmask_b32_e64 v19, v19, v27, s[0:1]
	;; [unrolled: 3-line block ×15, first 2 shown]
	s_nop 0
	v_mov_b32_dpp v46, v19 quad_perm:[1,0,3,2] row_mask:0xf bank_mask:0xf
	v_mov_b32_dpp v23, v21 quad_perm:[1,0,3,2] row_mask:0xf bank_mask:0xf
	v_cmp_eq_f32_e64 s[2:3], v21, v23
	v_cmp_lt_i32_e64 s[4:5], v46, v19
	v_cmp_lt_f32_e64 s[0:1], v21, v23
	s_and_b64 s[2:3], s[2:3], s[4:5]
	s_or_b64 s[0:1], s[0:1], s[2:3]
	v_cndmask_b32_e64 v21, v21, v23, s[0:1]
	v_cndmask_b32_e64 v23, v19, v46, s[0:1]
	s_nop 0
	v_mov_b32_dpp v19, v21 quad_perm:[2,3,0,1] row_mask:0xf bank_mask:0xf
	v_mov_b32_dpp v46, v23 quad_perm:[2,3,0,1] row_mask:0xf bank_mask:0xf
	v_cmp_eq_f32_e64 s[2:3], v21, v19
	v_cmp_lt_i32_e64 s[4:5], v46, v23
	v_cmp_lt_f32_e64 s[0:1], v21, v19
	s_and_b64 s[2:3], s[2:3], s[4:5]
	s_or_b64 s[0:1], s[0:1], s[2:3]
	v_cndmask_b32_e64 v19, v21, v19, s[0:1]
	v_cndmask_b32_e64 v23, v23, v46, s[0:1]
	s_nop 0
	v_mov_b32_dpp v21, v19 row_half_mirror row_mask:0xf bank_mask:0xf
	v_mov_b32_dpp v46, v23 row_half_mirror row_mask:0xf bank_mask:0xf
	v_cmp_eq_f32_e64 s[2:3], v19, v21
	v_cmp_lt_i32_e64 s[4:5], v46, v23
	v_cmp_lt_f32_e64 s[0:1], v19, v21
	s_and_b64 s[2:3], s[2:3], s[4:5]
	s_or_b64 s[0:1], s[0:1], s[2:3]
	v_cndmask_b32_e64 v46, v23, v46, s[0:1]
	s_and_saveexec_b64 s[4:5], vcc
	s_cbranch_execz .LBB184_14
; %bb.13:                               ;   in Loop: Header=BB184_12 Depth=1
	v_cndmask_b32_e64 v19, v19, v21, s[0:1]
	v_sub_f32_e32 v19, v19, v42
	v_mul_f32_e32 v21, 0x3fb8aa3b, v19
	v_fma_f32 v23, v19, s50, -v21
	v_rndne_f32_e32 v47, v21
	v_fmac_f32_e32 v23, 0x32a5705f, v19
	v_sub_f32_e32 v21, v21, v47
	v_add_f32_e32 v21, v21, v23
	v_exp_f32_e32 v21, v21
	v_cvt_i32_f32_e32 v23, v47
	v_cmp_le_i32_e64 s[0:1], s37, v46
	v_cmp_gt_i32_e64 s[2:3], s38, v46
	s_and_b64 s[2:3], s[0:1], s[2:3]
	v_ldexp_f32 v21, v21, v23
	v_cmp_ngt_f32_e64 s[0:1], s51, v19
	v_ashrrev_i32_e32 v23, 31, v22
	v_cndmask_b32_e64 v21, 0, v21, s[0:1]
	v_cmp_nlt_f32_e64 s[0:1], s52, v19
	v_lshlrev_b64 v[48:49], 2, v[22:23]
	v_cndmask_b32_e64 v47, v43, v21, s[0:1]
	v_mov_b32_e32 v19, s35
	v_add_co_u32_e64 v48, s[0:1], s34, v48
	v_addc_co_u32_e64 v49, s[0:1], v19, v49, s[0:1]
	v_ashrrev_i32_e32 v21, 31, v20
	global_store_dword v[48:49], v47, off
	v_subrev_u32_e32 v19, s37, v46
	s_and_b64 s[0:1], s[44:45], s[2:3]
	v_lshlrev_b64 v[48:49], 2, v[20:21]
	v_cndmask_b32_e64 v19, v44, v19, s[0:1]
	s_waitcnt lgkmcnt(0)
	v_mov_b32_e32 v21, s41
	v_add_co_u32_e64 v48, s[0:1], s40, v48
	v_addc_co_u32_e64 v49, s[0:1], v21, v49, s[0:1]
	global_store_dword v[48:49], v19, off
	v_ashrrev_i32_e32 v19, 31, v18
	v_lshlrev_b64 v[48:49], 2, v[18:19]
	v_mov_b32_e32 v19, s43
	v_add_co_u32_e64 v48, s[0:1], s42, v48
	v_addc_co_u32_e64 v49, s[0:1], v19, v49, s[0:1]
	v_add_f32_e32 v41, v41, v47
	global_store_dword v[48:49], v17, off
.LBB184_14:                             ;   in Loop: Header=BB184_12 Depth=1
	s_or_b64 exec, exec, s[4:5]
	v_ashrrev_i32_e32 v21, 31, v46
	v_lshrrev_b32_e32 v19, 28, v21
	v_add_u32_e32 v19, v46, v19
	v_ashrrev_i32_e32 v19, 4, v19
	v_lshrrev_b32_e32 v23, 29, v19
	v_add_u32_e32 v23, v19, v23
	v_and_b32_e32 v23, -8, v23
	v_sub_u32_e32 v23, v19, v23
	v_cmp_eq_u32_e64 s[0:1], v24, v23
	s_and_saveexec_b64 s[48:49], s[0:1]
	s_cbranch_execz .LBB184_11
; %bb.15:                               ;   in Loop: Header=BB184_12 Depth=1
	v_lshrrev_b32_e32 v21, 25, v21
	v_add_u32_e32 v21, v46, v21
	v_lshlrev_b32_e32 v19, 4, v19
	v_sub_u32_e32 v19, v46, v19
	v_ashrrev_i32_e32 v21, 7, v21
	v_lshl_add_u32 v19, v21, 4, v19
	v_cmp_ne_u32_e64 s[0:1], 14, v19
	v_cmp_ne_u32_e64 s[2:3], 13, v19
	;; [unrolled: 1-line block ×16, first 2 shown]
	v_cndmask_b32_e64 v15, v45, v15, s[30:31]
	v_cndmask_b32_e64 v14, v45, v14, s[0:1]
	;; [unrolled: 1-line block ×16, first 2 shown]
	s_branch .LBB184_11
.LBB184_16:
	v_cmp_eq_u32_e32 vcc, 0, v24
	v_cmp_neq_f32_e64 s[0:1], 0, v41
	s_and_b64 s[0:1], vcc, s[0:1]
	s_and_b64 exec, exec, s[0:1]
	s_cbranch_execz .LBB184_27
; %bb.17:
	s_andn2_b64 vcc, exec, s[46:47]
	s_cbranch_vccnz .LBB184_27
; %bb.18:
	v_div_scale_f32 v0, s[0:1], v41, v41, 1.0
	v_rcp_f32_e32 v1, v0
	v_div_scale_f32 v2, vcc, 1.0, v41, 1.0
	s_cmp_gt_u32 s36, 3
	v_fma_f32 v3, -v0, v1, 1.0
	v_fmac_f32_e32 v1, v3, v1
	v_mul_f32_e32 v3, v2, v1
	v_fma_f32 v4, -v0, v3, v2
	v_fmac_f32_e32 v3, v4, v1
	v_fma_f32 v0, -v0, v3, v2
	v_div_fmas_f32 v0, v0, v1, v3
	v_div_fixup_f32 v0, v0, v41, 1.0
	v_ashrrev_i32_e32 v17, 31, v16
	s_cbranch_scc0 .LBB184_22
; %bb.19:
	v_lshlrev_b64 v[2:3], 2, v[16:17]
	v_mov_b32_e32 v4, s35
	v_add_co_u32_e32 v2, vcc, s34, v2
	v_addc_co_u32_e32 v3, vcc, v3, v4, vcc
	s_and_b32 s4, s36, 0x7ffffffc
	v_add_co_u32_e32 v2, vcc, 8, v2
	v_mov_b32_e32 v1, v0
	v_addc_co_u32_e32 v3, vcc, 0, v3, vcc
	s_mov_b32 s0, s4
.LBB184_20:                             ; =>This Inner Loop Header: Depth=1
	global_load_dwordx4 v[4:7], v[2:3], off offset:-8
	s_add_i32 s0, s0, -4
	s_cmp_lg_u32 s0, 0
	s_waitcnt vmcnt(0)
	v_pk_mul_f32 v[4:5], v[0:1], v[4:5]
	v_pk_mul_f32 v[6:7], v[0:1], v[6:7]
	global_store_dwordx4 v[2:3], v[4:7], off offset:-8
	v_add_co_u32_e32 v2, vcc, 16, v2
	v_addc_co_u32_e32 v3, vcc, 0, v3, vcc
	s_cbranch_scc1 .LBB184_20
; %bb.21:
	s_cmp_lg_u32 s4, s36
	s_cselect_b64 s[0:1], -1, 0
	s_branch .LBB184_24
.LBB184_22:
	s_mov_b64 s[0:1], 0
                                        ; implicit-def: $sgpr4
	s_cbranch_execz .LBB184_24
; %bb.23:
	s_mov_b64 s[0:1], -1
	s_mov_b32 s4, 0
.LBB184_24:
	s_andn2_b64 vcc, exec, s[0:1]
	s_cbranch_vccnz .LBB184_27
; %bb.25:
	v_add_co_u32_e32 v2, vcc, s4, v16
	v_addc_co_u32_e32 v3, vcc, 0, v17, vcc
	v_lshlrev_b64 v[2:3], 2, v[2:3]
	v_mov_b32_e32 v1, s35
	v_add_co_u32_e32 v2, vcc, s34, v2
	s_sub_i32 s0, s36, s4
	v_addc_co_u32_e32 v3, vcc, v1, v3, vcc
.LBB184_26:                             ; =>This Inner Loop Header: Depth=1
	global_load_dword v1, v[2:3], off
	s_add_i32 s0, s0, -1
	s_cmp_lg_u32 s0, 0
	s_waitcnt vmcnt(0)
	v_mul_f32_e32 v1, v0, v1
	global_store_dword v[2:3], v1, off
	v_add_co_u32_e32 v2, vcc, 4, v2
	v_addc_co_u32_e32 v3, vcc, 0, v3, vcc
	s_cbranch_scc1 .LBB184_26
.LBB184_27:
	s_endpgm
	.section	.rodata,"a",@progbits
	.p2align	6, 0x0
	.amdhsa_kernel _ZN4vllm3moe17topkGatingSoftmaxIDF16_Li16ELi128ELi8ELi32ELb1ELi8ELNS0_23SharedExpertScoringFuncE1EEEvPKT_PKbPfiPiS9_iiiiii
		.amdhsa_group_segment_fixed_size 0
		.amdhsa_private_segment_fixed_size 0
		.amdhsa_kernarg_size 72
		.amdhsa_user_sgpr_count 6
		.amdhsa_user_sgpr_private_segment_buffer 1
		.amdhsa_user_sgpr_dispatch_ptr 0
		.amdhsa_user_sgpr_queue_ptr 0
		.amdhsa_user_sgpr_kernarg_segment_ptr 1
		.amdhsa_user_sgpr_dispatch_id 0
		.amdhsa_user_sgpr_flat_scratch_init 0
		.amdhsa_user_sgpr_kernarg_preload_length 0
		.amdhsa_user_sgpr_kernarg_preload_offset 0
		.amdhsa_user_sgpr_private_segment_size 0
		.amdhsa_uses_dynamic_stack 0
		.amdhsa_system_sgpr_private_segment_wavefront_offset 0
		.amdhsa_system_sgpr_workgroup_id_x 1
		.amdhsa_system_sgpr_workgroup_id_y 0
		.amdhsa_system_sgpr_workgroup_id_z 0
		.amdhsa_system_sgpr_workgroup_info 0
		.amdhsa_system_vgpr_workitem_id 1
		.amdhsa_next_free_vgpr 50
		.amdhsa_next_free_sgpr 53
		.amdhsa_accum_offset 52
		.amdhsa_reserve_vcc 1
		.amdhsa_reserve_flat_scratch 0
		.amdhsa_float_round_mode_32 0
		.amdhsa_float_round_mode_16_64 0
		.amdhsa_float_denorm_mode_32 3
		.amdhsa_float_denorm_mode_16_64 3
		.amdhsa_dx10_clamp 1
		.amdhsa_ieee_mode 1
		.amdhsa_fp16_overflow 0
		.amdhsa_tg_split 0
		.amdhsa_exception_fp_ieee_invalid_op 0
		.amdhsa_exception_fp_denorm_src 0
		.amdhsa_exception_fp_ieee_div_zero 0
		.amdhsa_exception_fp_ieee_overflow 0
		.amdhsa_exception_fp_ieee_underflow 0
		.amdhsa_exception_fp_ieee_inexact 0
		.amdhsa_exception_int_div_zero 0
	.end_amdhsa_kernel
	.section	.text._ZN4vllm3moe17topkGatingSoftmaxIDF16_Li16ELi128ELi8ELi32ELb1ELi8ELNS0_23SharedExpertScoringFuncE1EEEvPKT_PKbPfiPiS9_iiiiii,"axG",@progbits,_ZN4vllm3moe17topkGatingSoftmaxIDF16_Li16ELi128ELi8ELi32ELb1ELi8ELNS0_23SharedExpertScoringFuncE1EEEvPKT_PKbPfiPiS9_iiiiii,comdat
.Lfunc_end184:
	.size	_ZN4vllm3moe17topkGatingSoftmaxIDF16_Li16ELi128ELi8ELi32ELb1ELi8ELNS0_23SharedExpertScoringFuncE1EEEvPKT_PKbPfiPiS9_iiiiii, .Lfunc_end184-_ZN4vllm3moe17topkGatingSoftmaxIDF16_Li16ELi128ELi8ELi32ELb1ELi8ELNS0_23SharedExpertScoringFuncE1EEEvPKT_PKbPfiPiS9_iiiiii
                                        ; -- End function
	.section	.AMDGPU.csdata,"",@progbits
; Kernel info:
; codeLenInByte = 3344
; NumSgprs: 57
; NumVgprs: 50
; NumAgprs: 0
; TotalNumVgprs: 50
; ScratchSize: 0
; MemoryBound: 0
; FloatMode: 240
; IeeeMode: 1
; LDSByteSize: 0 bytes/workgroup (compile time only)
; SGPRBlocks: 7
; VGPRBlocks: 6
; NumSGPRsForWavesPerEU: 57
; NumVGPRsForWavesPerEU: 50
; AccumOffset: 52
; Occupancy: 8
; WaveLimiterHint : 0
; COMPUTE_PGM_RSRC2:SCRATCH_EN: 0
; COMPUTE_PGM_RSRC2:USER_SGPR: 6
; COMPUTE_PGM_RSRC2:TRAP_HANDLER: 0
; COMPUTE_PGM_RSRC2:TGID_X_EN: 1
; COMPUTE_PGM_RSRC2:TGID_Y_EN: 0
; COMPUTE_PGM_RSRC2:TGID_Z_EN: 0
; COMPUTE_PGM_RSRC2:TIDIG_COMP_CNT: 1
; COMPUTE_PGM_RSRC3_GFX90A:ACCUM_OFFSET: 12
; COMPUTE_PGM_RSRC3_GFX90A:TG_SPLIT: 0
	.section	.text._ZN4vllm3moe17topkGatingSoftmaxIDF16_Li16ELi128ELi8ELi32ELb0ELi8ELNS0_23SharedExpertScoringFuncE1EEEvPKT_PKbPfiPiS9_iiiiii,"axG",@progbits,_ZN4vllm3moe17topkGatingSoftmaxIDF16_Li16ELi128ELi8ELi32ELb0ELi8ELNS0_23SharedExpertScoringFuncE1EEEvPKT_PKbPfiPiS9_iiiiii,comdat
	.protected	_ZN4vllm3moe17topkGatingSoftmaxIDF16_Li16ELi128ELi8ELi32ELb0ELi8ELNS0_23SharedExpertScoringFuncE1EEEvPKT_PKbPfiPiS9_iiiiii ; -- Begin function _ZN4vllm3moe17topkGatingSoftmaxIDF16_Li16ELi128ELi8ELi32ELb0ELi8ELNS0_23SharedExpertScoringFuncE1EEEvPKT_PKbPfiPiS9_iiiiii
	.globl	_ZN4vllm3moe17topkGatingSoftmaxIDF16_Li16ELi128ELi8ELi32ELb0ELi8ELNS0_23SharedExpertScoringFuncE1EEEvPKT_PKbPfiPiS9_iiiiii
	.p2align	8
	.type	_ZN4vllm3moe17topkGatingSoftmaxIDF16_Li16ELi128ELi8ELi32ELb0ELi8ELNS0_23SharedExpertScoringFuncE1EEEvPKT_PKbPfiPiS9_iiiiii,@function
_ZN4vllm3moe17topkGatingSoftmaxIDF16_Li16ELi128ELi8ELi32ELb0ELi8ELNS0_23SharedExpertScoringFuncE1EEEvPKT_PKbPfiPiS9_iiiiii: ; @_ZN4vllm3moe17topkGatingSoftmaxIDF16_Li16ELi128ELi8ELi32ELb0ELi8ELNS0_23SharedExpertScoringFuncE1EEEvPKT_PKbPfiPiS9_iiiiii
; %bb.0:
	s_load_dword s33, s[4:5], 0x18
	v_bfe_u32 v1, v0, 10, 10
	v_and_b32_e32 v0, 0x3ff, v0
	s_lshl_b32 s50, s6, 6
	v_lshlrev_b32_e32 v22, 3, v1
	v_lshrrev_b32_e32 v23, 3, v0
	v_add3_u32 v43, s50, v22, v23
	s_waitcnt lgkmcnt(0)
	v_cmp_gt_i32_e32 vcc, s33, v43
	s_and_saveexec_b64 s[0:1], vcc
	s_cbranch_execz .LBB185_29
; %bb.1:
	s_load_dwordx4 s[0:3], s[4:5], 0x0
	s_load_dwordx2 s[34:35], s[4:5], 0x10
	s_waitcnt lgkmcnt(0)
	s_cmp_eq_u64 s[2:3], 0
	s_cbranch_scc1 .LBB185_3
; %bb.2:
	v_ashrrev_i32_e32 v1, 31, v43
	v_mov_b32_e32 v3, s3
	v_add_co_u32_e32 v2, vcc, s2, v43
	v_addc_co_u32_e32 v3, vcc, v3, v1, vcc
	global_load_ubyte v1, v[2:3], off
	s_waitcnt vmcnt(0)
	v_and_b32_e32 v1, 1, v1
	v_cmp_eq_u32_e32 vcc, 1, v1
	s_xor_b64 s[2:3], vcc, -1
	s_orn2_b64 s[46:47], s[2:3], exec
	s_branch .LBB185_4
.LBB185_3:
	s_mov_b64 s[46:47], -1
.LBB185_4:
	s_load_dwordx2 s[6:7], s[4:5], 0x40
	s_load_dwordx4 s[36:39], s[4:5], 0x30
	v_mov_b32_e32 v1, s1
	v_and_b32_e32 v24, 7, v0
	v_lshlrev_b32_e32 v0, 1, v24
	s_waitcnt lgkmcnt(0)
	v_mul_lo_u32 v2, v43, s7
	v_ashrrev_i32_e32 v3, 31, v2
	v_lshlrev_b64 v[2:3], 1, v[2:3]
	v_add_co_u32_e32 v2, vcc, s0, v2
	v_addc_co_u32_e32 v3, vcc, v1, v3, vcc
	v_add_co_u32_e32 v0, vcc, v2, v0
	v_addc_co_u32_e32 v1, vcc, 0, v3, vcc
	global_load_ushort v8, v[0:1], off offset:256
	v_lshlrev_b32_e32 v4, 5, v24
	v_add_co_u32_e32 v0, vcc, v2, v4
	v_addc_co_u32_e32 v1, vcc, 0, v3, vcc
	global_load_dwordx4 v[4:7], v[0:1], off
	global_load_dwordx4 v[12:15], v[0:1], off offset:16
	v_mul_lo_u32 v16, v43, s39
	v_add3_u32 v0, v16, s36, v24
	v_ashrrev_i32_e32 v1, 31, v0
	v_lshlrev_b64 v[0:1], 2, v[0:1]
	v_mov_b32_e32 v3, s35
	v_add_co_u32_e32 v2, vcc, s34, v0
	s_mov_b32 s0, 0x3fb8aa3b
	v_addc_co_u32_e32 v3, vcc, v3, v1, vcc
	s_mov_b32 s1, 0x32a5705f
	s_mov_b32 s2, 0xc2ce8ed0
	s_mov_b32 s3, 0x42b17218
	v_mov_b32_e32 v9, 0x7f800000
	v_lshlrev_b32_e32 v27, 4, v24
	v_or_b32_e32 v28, 1, v27
	v_or_b32_e32 v29, 2, v27
	;; [unrolled: 1-line block ×15, first 2 shown]
	v_mov_b32_e32 v26, 0
	s_waitcnt vmcnt(2)
	v_cvt_f32_f16_e64 v10, -v8
	v_mul_f32_e32 v1, 0x3fb8aa3b, v10
	v_fma_mix_f32 v11, -v8, s0, -v1 op_sel_hi:[1,0,0]
	v_rndne_f32_e32 v17, v1
	v_fma_mix_f32 v8, -v8, s1, v11 op_sel_hi:[1,0,0]
	v_sub_f32_e32 v1, v1, v17
	v_add_f32_e32 v1, v1, v8
	v_cvt_i32_f32_e32 v11, v17
	v_exp_f32_e32 v8, v1
	v_cmp_ngt_f32_e64 s[0:1], s2, v10
	s_waitcnt vmcnt(1)
	v_cvt_f32_f16_e32 v0, v4
	v_cvt_f32_f16_sdwa v1, v4 dst_sel:DWORD dst_unused:UNUSED_PAD src0_sel:WORD_1
	v_ldexp_f32 v8, v8, v11
	v_cndmask_b32_e64 v8, 0, v8, s[0:1]
	v_cmp_nlt_f32_e64 s[0:1], s3, v10
	v_cndmask_b32_e64 v8, v9, v8, s[0:1]
	v_add_f32_e32 v8, 1.0, v8
	v_div_scale_f32 v9, s[0:1], v8, v8, 1.0
	v_rcp_f32_e32 v10, v9
	v_cmp_lt_f16_sdwa vcc, v4, v4 src0_sel:DWORD src1_sel:WORD_1
	v_cndmask_b32_e32 v4, v27, v28, vcc
	v_cndmask_b32_e32 v11, v0, v1, vcc
	v_fma_f32 v18, -v9, v10, 1.0
	v_div_scale_f32 v17, vcc, 1.0, v8, 1.0
	v_fmac_f32_e32 v10, v18, v10
	v_mul_f32_e32 v18, v17, v10
	v_fma_f32 v19, -v9, v18, v17
	v_fmac_f32_e32 v18, v19, v10
	v_fma_f32 v9, -v9, v18, v17
	v_div_fmas_f32 v9, v9, v10, v18
	v_div_fixup_f32 v8, v9, v8, 1.0
	global_store_dword v[2:3], v8, off
	v_cvt_f32_f16_e32 v2, v5
	v_cvt_f32_f16_sdwa v3, v5 dst_sel:DWORD dst_unused:UNUSED_PAD src0_sel:WORD_1
	v_cmp_lt_f32_e32 vcc, v11, v2
	v_cndmask_b32_e32 v8, v11, v2, vcc
	v_cndmask_b32_e32 v4, v4, v29, vcc
	v_cmp_lt_f32_e32 vcc, v8, v3
	v_cndmask_b32_e32 v5, v4, v30, vcc
	v_cvt_f32_f16_e32 v4, v6
	v_cndmask_b32_e32 v8, v8, v3, vcc
	v_cmp_lt_f32_e32 vcc, v8, v4
	v_cndmask_b32_e32 v9, v5, v31, vcc
	v_cvt_f32_f16_sdwa v5, v6 dst_sel:DWORD dst_unused:UNUSED_PAD src0_sel:WORD_1
	v_cvt_f32_f16_e32 v6, v7
	v_cndmask_b32_e32 v8, v8, v4, vcc
	v_cvt_f32_f16_sdwa v7, v7 dst_sel:DWORD dst_unused:UNUSED_PAD src0_sel:WORD_1
	v_cmp_lt_f32_e32 vcc, v8, v5
	v_cndmask_b32_e32 v8, v8, v5, vcc
	v_cndmask_b32_e32 v9, v9, v32, vcc
	v_cmp_lt_f32_e32 vcc, v8, v6
	v_cndmask_b32_e32 v8, v8, v6, vcc
	v_cndmask_b32_e32 v9, v9, v33, vcc
	v_cmp_lt_f32_e32 vcc, v8, v7
	v_cndmask_b32_e32 v10, v8, v7, vcc
	s_waitcnt vmcnt(1)
	v_cvt_f32_f16_e32 v8, v12
	v_cndmask_b32_e32 v9, v9, v34, vcc
	v_cmp_lt_f32_e32 vcc, v10, v8
	v_cndmask_b32_e32 v11, v9, v35, vcc
	v_cvt_f32_f16_sdwa v9, v12 dst_sel:DWORD dst_unused:UNUSED_PAD src0_sel:WORD_1
	v_cndmask_b32_e32 v10, v10, v8, vcc
	v_cmp_lt_f32_e32 vcc, v10, v9
	v_cndmask_b32_e32 v12, v10, v9, vcc
	v_cvt_f32_f16_e32 v10, v13
	v_cndmask_b32_e32 v11, v11, v36, vcc
	v_cmp_lt_f32_e32 vcc, v12, v10
	v_cndmask_b32_e32 v17, v11, v37, vcc
	v_cvt_f32_f16_sdwa v11, v13 dst_sel:DWORD dst_unused:UNUSED_PAD src0_sel:WORD_1
	v_cndmask_b32_e32 v12, v12, v10, vcc
	v_cmp_lt_f32_e32 vcc, v12, v11
	v_cndmask_b32_e32 v13, v17, v38, vcc
	v_cndmask_b32_e32 v17, v12, v11, vcc
	v_cvt_f32_f16_e32 v12, v14
	v_cmp_lt_f32_e32 vcc, v17, v12
	v_cndmask_b32_e32 v18, v13, v39, vcc
	v_cvt_f32_f16_sdwa v13, v14 dst_sel:DWORD dst_unused:UNUSED_PAD src0_sel:WORD_1
	v_cvt_f32_f16_e32 v14, v15
	v_cndmask_b32_e32 v17, v17, v12, vcc
	v_cvt_f32_f16_sdwa v15, v15 dst_sel:DWORD dst_unused:UNUSED_PAD src0_sel:WORD_1
	v_cmp_lt_f32_e32 vcc, v17, v13
	v_cndmask_b32_e32 v17, v17, v13, vcc
	v_cndmask_b32_e32 v18, v18, v40, vcc
	v_cmp_lt_f32_e32 vcc, v17, v14
	v_cndmask_b32_e32 v17, v17, v14, vcc
	v_cndmask_b32_e32 v18, v18, v41, vcc
	;; [unrolled: 3-line block ×3, first 2 shown]
	s_nop 0
	v_mov_b32_dpp v20, v18 quad_perm:[1,0,3,2] row_mask:0xf bank_mask:0xf
	v_mov_b32_dpp v19, v17 quad_perm:[1,0,3,2] row_mask:0xf bank_mask:0xf
	v_cmp_eq_f32_e64 s[0:1], v17, v19
	v_cmp_lt_i32_e64 s[2:3], v20, v18
	v_cmp_lt_f32_e32 vcc, v17, v19
	s_and_b64 s[0:1], s[0:1], s[2:3]
	s_or_b64 vcc, vcc, s[0:1]
	v_cndmask_b32_e32 v17, v17, v19, vcc
	v_cndmask_b32_e32 v18, v18, v20, vcc
	s_nop 0
	v_mov_b32_dpp v19, v17 quad_perm:[2,3,0,1] row_mask:0xf bank_mask:0xf
	v_mov_b32_dpp v20, v18 quad_perm:[2,3,0,1] row_mask:0xf bank_mask:0xf
	v_cmp_eq_f32_e64 s[0:1], v17, v19
	v_cmp_lt_i32_e64 s[2:3], v20, v18
	v_cmp_lt_f32_e32 vcc, v17, v19
	s_and_b64 s[0:1], s[0:1], s[2:3]
	s_or_b64 vcc, vcc, s[0:1]
	v_cndmask_b32_e32 v19, v17, v19, vcc
	v_cndmask_b32_e32 v17, v18, v20, vcc
	s_nop 0
	v_mov_b32_dpp v20, v19 row_half_mirror row_mask:0xf bank_mask:0xf
	v_mov_b32_dpp v18, v17 row_half_mirror row_mask:0xf bank_mask:0xf
	v_cmp_eq_f32_e64 s[0:1], v19, v20
	v_cmp_lt_i32_e64 s[2:3], v18, v17
	v_cmp_lt_f32_e32 vcc, v19, v20
	s_and_b64 s[0:1], s[0:1], s[2:3]
	s_or_b64 s[0:1], vcc, s[0:1]
	s_cmp_gt_i32 s36, 0
	v_cndmask_b32_e64 v25, v19, v20, s[0:1]
	s_cselect_b64 s[44:45], -1, 0
	s_cmp_lt_i32 s36, 1
	v_cmp_eq_u32_e32 vcc, 0, v24
	s_cbranch_scc1 .LBB185_16
; %bb.5:
	s_load_dwordx4 s[40:43], s[4:5], 0x20
	v_cndmask_b32_e64 v44, v17, v18, s[0:1]
	v_mul_lo_u32 v20, v43, s6
	v_mul_lo_u32 v18, v43, s36
	v_mov_b32_e32 v26, 0
	s_and_saveexec_b64 s[4:5], vcc
	s_cbranch_execz .LBB185_7
; %bb.6:
	v_sub_f32_e32 v17, v25, v25
	v_mul_f32_e32 v19, 0x3fb8aa3b, v17
	s_mov_b32 s0, 0x3fb8aa3b
	v_rndne_f32_e32 v21, v19
	v_sub_f32_e32 v26, v19, v21
	v_fma_f32 v19, v17, s0, -v19
	v_fmac_f32_e32 v19, 0x32a5705f, v17
	v_add_f32_e32 v19, v26, v19
	v_exp_f32_e32 v19, v19
	v_cvt_i32_f32_e32 v21, v21
	v_cmp_le_i32_e64 s[0:1], s37, v44
	v_cmp_gt_i32_e64 s[2:3], s38, v44
	s_and_b64 s[2:3], s[0:1], s[2:3]
	s_mov_b32 s0, 0xc2ce8ed0
	v_ldexp_f32 v19, v19, v21
	v_cmp_ngt_f32_e64 s[0:1], s0, v17
	v_cndmask_b32_e64 v19, 0, v19, s[0:1]
	s_mov_b32 s0, 0x42b17218
	v_cmp_nlt_f32_e64 s[0:1], s0, v17
	v_ashrrev_i32_e32 v17, 31, v16
	v_mov_b32_e32 v21, 0x7f800000
	v_lshlrev_b64 v[46:47], 2, v[16:17]
	v_cndmask_b32_e64 v26, v21, v19, s[0:1]
	v_mov_b32_e32 v17, s35
	v_add_co_u32_e64 v46, s[0:1], s34, v46
	v_addc_co_u32_e64 v47, s[0:1], v17, v47, s[0:1]
	v_ashrrev_i32_e32 v21, 31, v20
	global_store_dword v[46:47], v26, off
	v_subrev_u32_e32 v17, s37, v44
	v_mov_b32_e32 v19, 0x80
	s_and_b64 s[0:1], s[46:47], s[2:3]
	v_lshlrev_b64 v[46:47], 2, v[20:21]
	v_cndmask_b32_e64 v17, v19, v17, s[0:1]
	s_waitcnt lgkmcnt(0)
	v_mov_b32_e32 v19, s41
	v_add_co_u32_e64 v46, s[0:1], s40, v46
	v_addc_co_u32_e64 v47, s[0:1], v19, v47, s[0:1]
	v_ashrrev_i32_e32 v19, 31, v18
	global_store_dword v[46:47], v17, off
	v_lshlrev_b64 v[46:47], 2, v[18:19]
	v_mov_b32_e32 v17, s43
	v_add_co_u32_e64 v46, s[0:1], s42, v46
	v_addc_co_u32_e64 v47, s[0:1], v17, v47, s[0:1]
	global_store_dword v[46:47], v43, off
.LBB185_7:
	s_or_b64 exec, exec, s[4:5]
	v_ashrrev_i32_e32 v19, 31, v44
	v_lshrrev_b32_e32 v17, 28, v19
	v_add_u32_e32 v17, v44, v17
	v_ashrrev_i32_e32 v17, 4, v17
	v_lshrrev_b32_e32 v21, 29, v17
	v_add_u32_e32 v21, v17, v21
	v_and_b32_e32 v21, -8, v21
	v_sub_u32_e32 v21, v17, v21
	v_cmp_eq_u32_e64 s[0:1], v24, v21
	s_and_saveexec_b64 s[48:49], s[0:1]
	s_cbranch_execz .LBB185_9
; %bb.8:
	v_lshrrev_b32_e32 v19, 25, v19
	v_add_u32_e32 v19, v44, v19
	v_lshlrev_b32_e32 v17, 4, v17
	v_sub_u32_e32 v17, v44, v17
	v_ashrrev_i32_e32 v19, 7, v19
	v_lshl_add_u32 v17, v19, 4, v17
	v_mov_b32_e32 v19, 0xff800000
	v_cmp_ne_u32_e64 s[0:1], 14, v17
	v_cmp_ne_u32_e64 s[2:3], 13, v17
	v_cmp_ne_u32_e64 s[4:5], 12, v17
	v_cmp_ne_u32_e64 s[6:7], 11, v17
	v_cmp_ne_u32_e64 s[8:9], 10, v17
	v_cmp_ne_u32_e64 s[10:11], 9, v17
	v_cmp_ne_u32_e64 s[12:13], 8, v17
	v_cmp_ne_u32_e64 s[14:15], 7, v17
	v_cmp_ne_u32_e64 s[16:17], 6, v17
	v_cmp_ne_u32_e64 s[18:19], 5, v17
	v_cmp_ne_u32_e64 s[20:21], 4, v17
	v_cmp_ne_u32_e64 s[22:23], 3, v17
	v_cmp_ne_u32_e64 s[24:25], 2, v17
	v_cmp_ne_u32_e64 s[26:27], 1, v17
	v_cmp_ne_u32_e64 s[28:29], 0, v17
	v_cmp_ne_u32_e64 s[30:31], 15, v17
	v_cndmask_b32_e64 v15, v19, v15, s[30:31]
	v_cndmask_b32_e64 v14, v19, v14, s[0:1]
	v_cndmask_b32_e64 v13, v19, v13, s[2:3]
	v_cndmask_b32_e64 v12, v19, v12, s[4:5]
	v_cndmask_b32_e64 v11, v19, v11, s[6:7]
	v_cndmask_b32_e64 v10, v19, v10, s[8:9]
	v_cndmask_b32_e64 v9, v19, v9, s[10:11]
	v_cndmask_b32_e64 v8, v19, v8, s[12:13]
	v_cndmask_b32_e64 v7, v19, v7, s[14:15]
	v_cndmask_b32_e64 v6, v19, v6, s[16:17]
	v_cndmask_b32_e64 v5, v19, v5, s[18:19]
	v_cndmask_b32_e64 v4, v19, v4, s[20:21]
	v_cndmask_b32_e64 v3, v19, v3, s[22:23]
	v_cndmask_b32_e64 v2, v19, v2, s[24:25]
	v_cndmask_b32_e64 v1, v19, v1, s[26:27]
	v_cndmask_b32_e64 v0, v19, v0, s[28:29]
.LBB185_9:
	s_or_b64 exec, exec, s[48:49]
	s_cmp_eq_u32 s36, 1
	s_cbranch_scc1 .LBB185_16
; %bb.10:
	s_add_i32 s50, s50, s33
	s_add_i32 s39, s36, -1
	v_add3_u32 v17, s50, v23, v22
	v_add_u32_e32 v18, 1, v18
	v_add_u32_e32 v20, 1, v20
	;; [unrolled: 1-line block ×3, first 2 shown]
	s_mov_b32 s50, 0x3fb8aa3b
	s_mov_b32 s51, 0xc2ce8ed0
	;; [unrolled: 1-line block ×3, first 2 shown]
	v_mov_b32_e32 v43, 0x7f800000
	v_mov_b32_e32 v44, 0x80
	v_mov_b32_e32 v45, 0xff800000
	s_branch .LBB185_12
.LBB185_11:                             ;   in Loop: Header=BB185_12 Depth=1
	s_or_b64 exec, exec, s[48:49]
	s_add_i32 s39, s39, -1
	v_add_u32_e32 v17, s33, v17
	v_add_u32_e32 v18, 1, v18
	;; [unrolled: 1-line block ×3, first 2 shown]
	s_cmp_eq_u32 s39, 0
	v_add_u32_e32 v22, 1, v22
	s_cbranch_scc1 .LBB185_16
.LBB185_12:                             ; =>This Inner Loop Header: Depth=1
	v_cmp_gt_f32_e64 s[0:1], v1, v0
	v_cndmask_b32_e64 v21, v0, v1, s[0:1]
	v_cndmask_b32_e64 v19, v27, v28, s[0:1]
	v_cmp_gt_f32_e64 s[0:1], v2, v21
	v_cndmask_b32_e64 v21, v21, v2, s[0:1]
	v_cndmask_b32_e64 v19, v19, v29, s[0:1]
	;; [unrolled: 3-line block ×15, first 2 shown]
	s_nop 0
	v_mov_b32_dpp v46, v19 quad_perm:[1,0,3,2] row_mask:0xf bank_mask:0xf
	v_mov_b32_dpp v23, v21 quad_perm:[1,0,3,2] row_mask:0xf bank_mask:0xf
	v_cmp_eq_f32_e64 s[2:3], v21, v23
	v_cmp_lt_i32_e64 s[4:5], v46, v19
	v_cmp_lt_f32_e64 s[0:1], v21, v23
	s_and_b64 s[2:3], s[2:3], s[4:5]
	s_or_b64 s[0:1], s[0:1], s[2:3]
	v_cndmask_b32_e64 v21, v21, v23, s[0:1]
	v_cndmask_b32_e64 v23, v19, v46, s[0:1]
	s_nop 0
	v_mov_b32_dpp v19, v21 quad_perm:[2,3,0,1] row_mask:0xf bank_mask:0xf
	v_mov_b32_dpp v46, v23 quad_perm:[2,3,0,1] row_mask:0xf bank_mask:0xf
	v_cmp_eq_f32_e64 s[2:3], v21, v19
	v_cmp_lt_i32_e64 s[4:5], v46, v23
	v_cmp_lt_f32_e64 s[0:1], v21, v19
	s_and_b64 s[2:3], s[2:3], s[4:5]
	s_or_b64 s[0:1], s[0:1], s[2:3]
	v_cndmask_b32_e64 v19, v21, v19, s[0:1]
	v_cndmask_b32_e64 v23, v23, v46, s[0:1]
	s_nop 0
	v_mov_b32_dpp v21, v19 row_half_mirror row_mask:0xf bank_mask:0xf
	v_mov_b32_dpp v46, v23 row_half_mirror row_mask:0xf bank_mask:0xf
	v_cmp_eq_f32_e64 s[2:3], v19, v21
	v_cmp_lt_i32_e64 s[4:5], v46, v23
	v_cmp_lt_f32_e64 s[0:1], v19, v21
	s_and_b64 s[2:3], s[2:3], s[4:5]
	s_or_b64 s[0:1], s[0:1], s[2:3]
	v_cndmask_b32_e64 v46, v23, v46, s[0:1]
	s_and_saveexec_b64 s[4:5], vcc
	s_cbranch_execz .LBB185_14
; %bb.13:                               ;   in Loop: Header=BB185_12 Depth=1
	v_cndmask_b32_e64 v19, v19, v21, s[0:1]
	v_sub_f32_e32 v19, v19, v25
	v_mul_f32_e32 v21, 0x3fb8aa3b, v19
	v_fma_f32 v23, v19, s50, -v21
	v_rndne_f32_e32 v47, v21
	v_fmac_f32_e32 v23, 0x32a5705f, v19
	v_sub_f32_e32 v21, v21, v47
	v_add_f32_e32 v21, v21, v23
	v_exp_f32_e32 v21, v21
	v_cvt_i32_f32_e32 v23, v47
	v_cmp_le_i32_e64 s[0:1], s37, v46
	v_cmp_gt_i32_e64 s[2:3], s38, v46
	s_and_b64 s[2:3], s[0:1], s[2:3]
	v_ldexp_f32 v21, v21, v23
	v_cmp_ngt_f32_e64 s[0:1], s51, v19
	v_ashrrev_i32_e32 v23, 31, v22
	v_cndmask_b32_e64 v21, 0, v21, s[0:1]
	v_cmp_nlt_f32_e64 s[0:1], s52, v19
	v_lshlrev_b64 v[48:49], 2, v[22:23]
	v_cndmask_b32_e64 v47, v43, v21, s[0:1]
	v_mov_b32_e32 v19, s35
	v_add_co_u32_e64 v48, s[0:1], s34, v48
	v_addc_co_u32_e64 v49, s[0:1], v19, v49, s[0:1]
	v_ashrrev_i32_e32 v21, 31, v20
	global_store_dword v[48:49], v47, off
	v_subrev_u32_e32 v19, s37, v46
	s_and_b64 s[0:1], s[46:47], s[2:3]
	v_lshlrev_b64 v[48:49], 2, v[20:21]
	v_cndmask_b32_e64 v19, v44, v19, s[0:1]
	s_waitcnt lgkmcnt(0)
	v_mov_b32_e32 v21, s41
	v_add_co_u32_e64 v48, s[0:1], s40, v48
	v_addc_co_u32_e64 v49, s[0:1], v21, v49, s[0:1]
	global_store_dword v[48:49], v19, off
	v_ashrrev_i32_e32 v19, 31, v18
	v_lshlrev_b64 v[48:49], 2, v[18:19]
	v_mov_b32_e32 v19, s43
	v_add_co_u32_e64 v48, s[0:1], s42, v48
	v_addc_co_u32_e64 v49, s[0:1], v19, v49, s[0:1]
	v_add_f32_e32 v26, v26, v47
	global_store_dword v[48:49], v17, off
.LBB185_14:                             ;   in Loop: Header=BB185_12 Depth=1
	s_or_b64 exec, exec, s[4:5]
	v_ashrrev_i32_e32 v21, 31, v46
	v_lshrrev_b32_e32 v19, 28, v21
	v_add_u32_e32 v19, v46, v19
	v_ashrrev_i32_e32 v19, 4, v19
	v_lshrrev_b32_e32 v23, 29, v19
	v_add_u32_e32 v23, v19, v23
	v_and_b32_e32 v23, -8, v23
	v_sub_u32_e32 v23, v19, v23
	v_cmp_eq_u32_e64 s[0:1], v24, v23
	s_and_saveexec_b64 s[48:49], s[0:1]
	s_cbranch_execz .LBB185_11
; %bb.15:                               ;   in Loop: Header=BB185_12 Depth=1
	v_lshrrev_b32_e32 v21, 25, v21
	v_add_u32_e32 v21, v46, v21
	v_lshlrev_b32_e32 v19, 4, v19
	v_sub_u32_e32 v19, v46, v19
	v_ashrrev_i32_e32 v21, 7, v21
	v_lshl_add_u32 v19, v21, 4, v19
	v_cmp_ne_u32_e64 s[0:1], 14, v19
	v_cmp_ne_u32_e64 s[2:3], 13, v19
	;; [unrolled: 1-line block ×16, first 2 shown]
	v_cndmask_b32_e64 v15, v45, v15, s[30:31]
	v_cndmask_b32_e64 v14, v45, v14, s[0:1]
	v_cndmask_b32_e64 v13, v45, v13, s[2:3]
	v_cndmask_b32_e64 v12, v45, v12, s[4:5]
	v_cndmask_b32_e64 v11, v45, v11, s[6:7]
	v_cndmask_b32_e64 v10, v45, v10, s[8:9]
	v_cndmask_b32_e64 v9, v45, v9, s[10:11]
	v_cndmask_b32_e64 v8, v45, v8, s[12:13]
	v_cndmask_b32_e64 v7, v45, v7, s[14:15]
	v_cndmask_b32_e64 v6, v45, v6, s[16:17]
	v_cndmask_b32_e64 v5, v45, v5, s[18:19]
	v_cndmask_b32_e64 v4, v45, v4, s[20:21]
	v_cndmask_b32_e64 v3, v45, v3, s[22:23]
	v_cndmask_b32_e64 v2, v45, v2, s[24:25]
	v_cndmask_b32_e64 v1, v45, v1, s[26:27]
	v_cndmask_b32_e64 v0, v45, v0, s[28:29]
	s_branch .LBB185_11
.LBB185_16:
	v_sub_f32_e32 v0, v0, v25
	s_mov_b32 s2, 0x3fb8aa3b
	v_mul_f32_e32 v17, 0x3fb8aa3b, v0
	v_fma_f32 v18, v0, s2, -v17
	v_rndne_f32_e32 v19, v17
	v_fmac_f32_e32 v18, 0x32a5705f, v0
	v_sub_f32_e32 v17, v17, v19
	v_add_f32_e32 v17, v17, v18
	v_exp_f32_e32 v17, v17
	v_cvt_i32_f32_e32 v18, v19
	v_sub_f32_e32 v1, v1, v25
	s_mov_b32 s4, 0xc2ce8ed0
	s_mov_b32 s3, 0x42b17218
	v_ldexp_f32 v17, v17, v18
	v_mul_f32_e32 v18, 0x3fb8aa3b, v1
	v_fma_f32 v19, v1, s2, -v18
	v_rndne_f32_e32 v20, v18
	v_fmac_f32_e32 v19, 0x32a5705f, v1
	v_sub_f32_e32 v18, v18, v20
	v_add_f32_e32 v18, v18, v19
	v_exp_f32_e32 v18, v18
	v_cvt_i32_f32_e32 v19, v20
	v_cmp_ngt_f32_e32 vcc, s4, v1
	v_cmp_ngt_f32_e64 s[0:1], s4, v0
	v_sub_f32_e32 v2, v2, v25
	v_ldexp_f32 v18, v18, v19
	v_cndmask_b32_e32 v18, 0, v18, vcc
	v_mov_b32_e32 v19, 0x7f800000
	v_cmp_nlt_f32_e32 vcc, s3, v1
	v_cndmask_b32_e64 v1, 0, v17, s[0:1]
	v_cmp_nlt_f32_e64 s[0:1], s3, v0
	v_cndmask_b32_e64 v0, v19, v1, s[0:1]
	v_cndmask_b32_e32 v1, v19, v18, vcc
	v_add_f32_e32 v0, v0, v1
	v_mul_f32_e32 v1, 0x3fb8aa3b, v2
	v_fma_f32 v17, v2, s2, -v1
	v_rndne_f32_e32 v18, v1
	v_fmac_f32_e32 v17, 0x32a5705f, v2
	v_sub_f32_e32 v1, v1, v18
	v_add_f32_e32 v1, v1, v17
	v_exp_f32_e32 v1, v1
	v_cvt_i32_f32_e32 v17, v18
	v_cmp_ngt_f32_e32 vcc, s4, v2
	v_sub_f32_e32 v3, v3, v25
	v_sub_f32_e32 v4, v4, v25
	v_ldexp_f32 v1, v1, v17
	v_cndmask_b32_e32 v1, 0, v1, vcc
	v_cmp_nlt_f32_e32 vcc, s3, v2
	v_cndmask_b32_e32 v1, v19, v1, vcc
	v_add_f32_e32 v0, v0, v1
	v_mul_f32_e32 v1, 0x3fb8aa3b, v3
	v_fma_f32 v2, v3, s2, -v1
	v_rndne_f32_e32 v17, v1
	v_fmac_f32_e32 v2, 0x32a5705f, v3
	v_sub_f32_e32 v1, v1, v17
	v_add_f32_e32 v1, v1, v2
	v_exp_f32_e32 v1, v1
	v_cvt_i32_f32_e32 v2, v17
	v_cmp_ngt_f32_e32 vcc, s4, v3
	v_sub_f32_e32 v5, v5, v25
	v_sub_f32_e32 v6, v6, v25
	v_ldexp_f32 v1, v1, v2
	v_cndmask_b32_e32 v1, 0, v1, vcc
	v_cmp_nlt_f32_e32 vcc, s3, v3
	v_cndmask_b32_e32 v1, v19, v1, vcc
	v_add_f32_e32 v0, v0, v1
	v_mul_f32_e32 v1, 0x3fb8aa3b, v4
	v_fma_f32 v2, v4, s2, -v1
	v_rndne_f32_e32 v3, v1
	v_fmac_f32_e32 v2, 0x32a5705f, v4
	v_sub_f32_e32 v1, v1, v3
	v_add_f32_e32 v1, v1, v2
	v_exp_f32_e32 v1, v1
	v_cvt_i32_f32_e32 v2, v3
	v_cmp_ngt_f32_e32 vcc, s4, v4
	v_sub_f32_e32 v7, v7, v25
	v_sub_f32_e32 v8, v8, v25
	v_ldexp_f32 v1, v1, v2
	v_cndmask_b32_e32 v1, 0, v1, vcc
	v_cmp_nlt_f32_e32 vcc, s3, v4
	v_cndmask_b32_e32 v1, v19, v1, vcc
	v_add_f32_e32 v0, v0, v1
	v_mul_f32_e32 v1, 0x3fb8aa3b, v5
	v_fma_f32 v2, v5, s2, -v1
	v_rndne_f32_e32 v3, v1
	v_fmac_f32_e32 v2, 0x32a5705f, v5
	v_sub_f32_e32 v1, v1, v3
	v_add_f32_e32 v1, v1, v2
	v_exp_f32_e32 v1, v1
	v_cvt_i32_f32_e32 v2, v3
	v_cmp_ngt_f32_e32 vcc, s4, v5
	v_sub_f32_e32 v9, v9, v25
	v_sub_f32_e32 v10, v10, v25
	v_ldexp_f32 v1, v1, v2
	v_cndmask_b32_e32 v1, 0, v1, vcc
	v_cmp_nlt_f32_e32 vcc, s3, v5
	v_cndmask_b32_e32 v1, v19, v1, vcc
	v_add_f32_e32 v0, v0, v1
	v_mul_f32_e32 v1, 0x3fb8aa3b, v6
	v_fma_f32 v2, v6, s2, -v1
	v_rndne_f32_e32 v3, v1
	v_fmac_f32_e32 v2, 0x32a5705f, v6
	v_sub_f32_e32 v1, v1, v3
	v_add_f32_e32 v1, v1, v2
	v_exp_f32_e32 v1, v1
	v_cvt_i32_f32_e32 v2, v3
	v_cmp_ngt_f32_e32 vcc, s4, v6
	v_sub_f32_e32 v11, v11, v25
	v_sub_f32_e32 v12, v12, v25
	v_ldexp_f32 v1, v1, v2
	v_cndmask_b32_e32 v1, 0, v1, vcc
	v_cmp_nlt_f32_e32 vcc, s3, v6
	v_cndmask_b32_e32 v1, v19, v1, vcc
	v_add_f32_e32 v0, v0, v1
	v_mul_f32_e32 v1, 0x3fb8aa3b, v7
	v_fma_f32 v2, v7, s2, -v1
	v_rndne_f32_e32 v3, v1
	v_fmac_f32_e32 v2, 0x32a5705f, v7
	v_sub_f32_e32 v1, v1, v3
	v_add_f32_e32 v1, v1, v2
	v_exp_f32_e32 v1, v1
	v_cvt_i32_f32_e32 v2, v3
	v_cmp_ngt_f32_e32 vcc, s4, v7
	v_ldexp_f32 v1, v1, v2
	v_mul_f32_e32 v2, 0x3fb8aa3b, v8
	v_fma_f32 v3, v8, s2, -v2
	v_rndne_f32_e32 v4, v2
	v_fmac_f32_e32 v3, 0x32a5705f, v8
	v_sub_f32_e32 v2, v2, v4
	v_add_f32_e32 v2, v2, v3
	v_exp_f32_e32 v2, v2
	v_cvt_i32_f32_e32 v3, v4
	v_cndmask_b32_e32 v1, 0, v1, vcc
	v_cmp_nlt_f32_e32 vcc, s3, v7
	v_cndmask_b32_e32 v1, v19, v1, vcc
	v_add_f32_e32 v0, v0, v1
	v_ldexp_f32 v1, v2, v3
	v_mul_f32_e32 v2, 0x3fb8aa3b, v9
	v_fma_f32 v3, v9, s2, -v2
	v_rndne_f32_e32 v4, v2
	v_fmac_f32_e32 v3, 0x32a5705f, v9
	v_sub_f32_e32 v2, v2, v4
	v_add_f32_e32 v2, v2, v3
	v_exp_f32_e32 v2, v2
	v_cvt_i32_f32_e32 v3, v4
	v_cmp_ngt_f32_e32 vcc, s4, v8
	v_cndmask_b32_e32 v1, 0, v1, vcc
	v_cmp_nlt_f32_e32 vcc, s3, v8
	v_cndmask_b32_e32 v1, v19, v1, vcc
	v_add_f32_e32 v0, v0, v1
	v_ldexp_f32 v1, v2, v3
	v_mul_f32_e32 v2, 0x3fb8aa3b, v10
	v_fma_f32 v3, v10, s2, -v2
	v_rndne_f32_e32 v4, v2
	v_fmac_f32_e32 v3, 0x32a5705f, v10
	v_sub_f32_e32 v2, v2, v4
	v_add_f32_e32 v2, v2, v3
	v_exp_f32_e32 v2, v2
	v_cvt_i32_f32_e32 v3, v4
	v_cmp_ngt_f32_e32 vcc, s4, v9
	;; [unrolled: 14-line block ×4, first 2 shown]
	v_cndmask_b32_e32 v1, 0, v1, vcc
	v_cmp_nlt_f32_e32 vcc, s3, v11
	v_cndmask_b32_e32 v1, v19, v1, vcc
	v_add_f32_e32 v0, v0, v1
	v_ldexp_f32 v1, v2, v3
	v_sub_f32_e32 v2, v13, v25
	v_mul_f32_e32 v3, 0x3fb8aa3b, v2
	v_fma_f32 v4, v2, s2, -v3
	v_rndne_f32_e32 v5, v3
	v_fmac_f32_e32 v4, 0x32a5705f, v2
	v_sub_f32_e32 v3, v3, v5
	v_add_f32_e32 v3, v3, v4
	v_exp_f32_e32 v3, v3
	v_cvt_i32_f32_e32 v4, v5
	v_cmp_ngt_f32_e32 vcc, s4, v12
	v_cndmask_b32_e32 v1, 0, v1, vcc
	v_cmp_nlt_f32_e32 vcc, s3, v12
	v_cndmask_b32_e32 v1, v19, v1, vcc
	v_add_f32_e32 v0, v0, v1
	v_ldexp_f32 v1, v3, v4
	v_sub_f32_e32 v3, v14, v25
	v_mul_f32_e32 v4, 0x3fb8aa3b, v3
	v_fma_f32 v5, v3, s2, -v4
	v_rndne_f32_e32 v6, v4
	v_fmac_f32_e32 v5, 0x32a5705f, v3
	v_sub_f32_e32 v4, v4, v6
	v_add_f32_e32 v4, v4, v5
	v_exp_f32_e32 v4, v4
	v_cvt_i32_f32_e32 v5, v6
	v_cmp_ngt_f32_e32 vcc, s4, v2
	v_cndmask_b32_e32 v1, 0, v1, vcc
	v_cmp_nlt_f32_e32 vcc, s3, v2
	v_cndmask_b32_e32 v1, v19, v1, vcc
	v_sub_f32_e32 v2, v15, v25
	v_add_f32_e32 v0, v0, v1
	v_ldexp_f32 v1, v4, v5
	v_mul_f32_e32 v4, 0x3fb8aa3b, v2
	v_fma_f32 v5, v2, s2, -v4
	v_rndne_f32_e32 v6, v4
	v_fmac_f32_e32 v5, 0x32a5705f, v2
	v_sub_f32_e32 v4, v4, v6
	v_add_f32_e32 v4, v4, v5
	v_exp_f32_e32 v4, v4
	v_cvt_i32_f32_e32 v5, v6
	v_cmp_ngt_f32_e32 vcc, s4, v3
	v_cndmask_b32_e32 v1, 0, v1, vcc
	v_cmp_nlt_f32_e32 vcc, s3, v3
	v_cndmask_b32_e32 v1, v19, v1, vcc
	v_add_f32_e32 v0, v0, v1
	v_ldexp_f32 v1, v4, v5
	v_cmp_ngt_f32_e32 vcc, s4, v2
	v_cndmask_b32_e32 v1, 0, v1, vcc
	v_cmp_nlt_f32_e32 vcc, s3, v2
	v_cndmask_b32_e32 v1, v19, v1, vcc
	v_add_f32_e32 v0, v0, v1
	v_cmp_eq_u32_e32 vcc, 0, v24
	s_nop 0
	v_mov_b32_dpp v1, v0 quad_perm:[1,0,3,2] row_mask:0xf bank_mask:0xf
	v_add_f32_e32 v0, v0, v1
	s_nop 1
	v_mov_b32_dpp v1, v0 quad_perm:[2,3,0,1] row_mask:0xf bank_mask:0xf
	v_add_f32_e32 v0, v0, v1
	s_nop 1
	v_mov_b32_dpp v1, v0 row_half_mirror row_mask:0xf bank_mask:0xf
	s_and_b64 exec, exec, vcc
	s_cbranch_execz .LBB185_29
; %bb.17:
	v_add_f32_e32 v0, v0, v1
	v_add_f32_e32 v0, v26, v0
	v_cmp_neq_f32_e32 vcc, 0, v0
	s_and_b64 exec, exec, vcc
	s_cbranch_execz .LBB185_29
; %bb.18:
	s_andn2_b64 vcc, exec, s[44:45]
	s_cbranch_vccnz .LBB185_29
; %bb.19:
	v_div_scale_f32 v1, s[0:1], v0, v0, 1.0
	v_rcp_f32_e32 v2, v1
	v_div_scale_f32 v3, vcc, 1.0, v0, 1.0
	s_cmp_gt_u32 s36, 3
	v_fma_f32 v4, -v1, v2, 1.0
	v_fmac_f32_e32 v2, v4, v2
	v_mul_f32_e32 v4, v3, v2
	v_fma_f32 v5, -v1, v4, v3
	v_fmac_f32_e32 v4, v5, v2
	v_fma_f32 v1, -v1, v4, v3
	v_div_fmas_f32 v1, v1, v2, v4
	v_div_fixup_f32 v0, v1, v0, 1.0
	v_ashrrev_i32_e32 v17, 31, v16
	s_cbranch_scc0 .LBB185_23
; %bb.20:
	v_lshlrev_b64 v[2:3], 2, v[16:17]
	v_mov_b32_e32 v4, s35
	v_add_co_u32_e32 v2, vcc, s34, v2
	v_addc_co_u32_e32 v3, vcc, v3, v4, vcc
	s_and_b32 s4, s36, 0x7ffffffc
	v_add_co_u32_e32 v2, vcc, 8, v2
	v_mov_b32_e32 v1, v0
	v_addc_co_u32_e32 v3, vcc, 0, v3, vcc
	s_mov_b32 s0, s4
.LBB185_21:                             ; =>This Inner Loop Header: Depth=1
	global_load_dwordx4 v[4:7], v[2:3], off offset:-8
	s_add_i32 s0, s0, -4
	s_cmp_lg_u32 s0, 0
	s_waitcnt vmcnt(0)
	v_pk_mul_f32 v[4:5], v[0:1], v[4:5]
	v_pk_mul_f32 v[6:7], v[0:1], v[6:7]
	global_store_dwordx4 v[2:3], v[4:7], off offset:-8
	v_add_co_u32_e32 v2, vcc, 16, v2
	v_addc_co_u32_e32 v3, vcc, 0, v3, vcc
	s_cbranch_scc1 .LBB185_21
; %bb.22:
	s_cmp_lg_u32 s4, s36
	s_mov_b64 s[2:3], 0
	s_cselect_b64 s[0:1], -1, 0
	s_branch .LBB185_24
.LBB185_23:
	s_mov_b64 s[2:3], -1
	s_mov_b64 s[0:1], 0
                                        ; implicit-def: $sgpr4
.LBB185_24:
	s_and_b64 vcc, exec, s[2:3]
	s_cbranch_vccz .LBB185_26
; %bb.25:
	s_mov_b64 s[0:1], -1
	s_mov_b32 s4, 0
.LBB185_26:
	s_andn2_b64 vcc, exec, s[0:1]
	s_cbranch_vccnz .LBB185_29
; %bb.27:
	v_add_co_u32_e32 v2, vcc, s4, v16
	v_addc_co_u32_e32 v3, vcc, 0, v17, vcc
	v_lshlrev_b64 v[2:3], 2, v[2:3]
	v_mov_b32_e32 v1, s35
	v_add_co_u32_e32 v2, vcc, s34, v2
	s_sub_i32 s0, s36, s4
	v_addc_co_u32_e32 v3, vcc, v1, v3, vcc
.LBB185_28:                             ; =>This Inner Loop Header: Depth=1
	global_load_dword v1, v[2:3], off
	s_add_i32 s0, s0, -1
	s_cmp_lg_u32 s0, 0
	s_waitcnt vmcnt(0)
	v_mul_f32_e32 v1, v0, v1
	global_store_dword v[2:3], v1, off
	v_add_co_u32_e32 v2, vcc, 4, v2
	v_addc_co_u32_e32 v3, vcc, 0, v3, vcc
	s_cbranch_scc1 .LBB185_28
.LBB185_29:
	s_endpgm
	.section	.rodata,"a",@progbits
	.p2align	6, 0x0
	.amdhsa_kernel _ZN4vllm3moe17topkGatingSoftmaxIDF16_Li16ELi128ELi8ELi32ELb0ELi8ELNS0_23SharedExpertScoringFuncE1EEEvPKT_PKbPfiPiS9_iiiiii
		.amdhsa_group_segment_fixed_size 0
		.amdhsa_private_segment_fixed_size 0
		.amdhsa_kernarg_size 72
		.amdhsa_user_sgpr_count 6
		.amdhsa_user_sgpr_private_segment_buffer 1
		.amdhsa_user_sgpr_dispatch_ptr 0
		.amdhsa_user_sgpr_queue_ptr 0
		.amdhsa_user_sgpr_kernarg_segment_ptr 1
		.amdhsa_user_sgpr_dispatch_id 0
		.amdhsa_user_sgpr_flat_scratch_init 0
		.amdhsa_user_sgpr_kernarg_preload_length 0
		.amdhsa_user_sgpr_kernarg_preload_offset 0
		.amdhsa_user_sgpr_private_segment_size 0
		.amdhsa_uses_dynamic_stack 0
		.amdhsa_system_sgpr_private_segment_wavefront_offset 0
		.amdhsa_system_sgpr_workgroup_id_x 1
		.amdhsa_system_sgpr_workgroup_id_y 0
		.amdhsa_system_sgpr_workgroup_id_z 0
		.amdhsa_system_sgpr_workgroup_info 0
		.amdhsa_system_vgpr_workitem_id 1
		.amdhsa_next_free_vgpr 50
		.amdhsa_next_free_sgpr 53
		.amdhsa_accum_offset 52
		.amdhsa_reserve_vcc 1
		.amdhsa_reserve_flat_scratch 0
		.amdhsa_float_round_mode_32 0
		.amdhsa_float_round_mode_16_64 0
		.amdhsa_float_denorm_mode_32 3
		.amdhsa_float_denorm_mode_16_64 3
		.amdhsa_dx10_clamp 1
		.amdhsa_ieee_mode 1
		.amdhsa_fp16_overflow 0
		.amdhsa_tg_split 0
		.amdhsa_exception_fp_ieee_invalid_op 0
		.amdhsa_exception_fp_denorm_src 0
		.amdhsa_exception_fp_ieee_div_zero 0
		.amdhsa_exception_fp_ieee_overflow 0
		.amdhsa_exception_fp_ieee_underflow 0
		.amdhsa_exception_fp_ieee_inexact 0
		.amdhsa_exception_int_div_zero 0
	.end_amdhsa_kernel
	.section	.text._ZN4vllm3moe17topkGatingSoftmaxIDF16_Li16ELi128ELi8ELi32ELb0ELi8ELNS0_23SharedExpertScoringFuncE1EEEvPKT_PKbPfiPiS9_iiiiii,"axG",@progbits,_ZN4vllm3moe17topkGatingSoftmaxIDF16_Li16ELi128ELi8ELi32ELb0ELi8ELNS0_23SharedExpertScoringFuncE1EEEvPKT_PKbPfiPiS9_iiiiii,comdat
.Lfunc_end185:
	.size	_ZN4vllm3moe17topkGatingSoftmaxIDF16_Li16ELi128ELi8ELi32ELb0ELi8ELNS0_23SharedExpertScoringFuncE1EEEvPKT_PKbPfiPiS9_iiiiii, .Lfunc_end185-_ZN4vllm3moe17topkGatingSoftmaxIDF16_Li16ELi128ELi8ELi32ELb0ELi8ELNS0_23SharedExpertScoringFuncE1EEEvPKT_PKbPfiPiS9_iiiiii
                                        ; -- End function
	.section	.AMDGPU.csdata,"",@progbits
; Kernel info:
; codeLenInByte = 4668
; NumSgprs: 57
; NumVgprs: 50
; NumAgprs: 0
; TotalNumVgprs: 50
; ScratchSize: 0
; MemoryBound: 0
; FloatMode: 240
; IeeeMode: 1
; LDSByteSize: 0 bytes/workgroup (compile time only)
; SGPRBlocks: 7
; VGPRBlocks: 6
; NumSGPRsForWavesPerEU: 57
; NumVGPRsForWavesPerEU: 50
; AccumOffset: 52
; Occupancy: 8
; WaveLimiterHint : 0
; COMPUTE_PGM_RSRC2:SCRATCH_EN: 0
; COMPUTE_PGM_RSRC2:USER_SGPR: 6
; COMPUTE_PGM_RSRC2:TRAP_HANDLER: 0
; COMPUTE_PGM_RSRC2:TGID_X_EN: 1
; COMPUTE_PGM_RSRC2:TGID_Y_EN: 0
; COMPUTE_PGM_RSRC2:TGID_Z_EN: 0
; COMPUTE_PGM_RSRC2:TIDIG_COMP_CNT: 1
; COMPUTE_PGM_RSRC3_GFX90A:ACCUM_OFFSET: 12
; COMPUTE_PGM_RSRC3_GFX90A:TG_SPLIT: 0
	.section	.text._ZN4vllm3moe17topkGatingSoftmaxIDF16_Li16ELi256ELi8ELi32ELb1ELi0ELNS0_23SharedExpertScoringFuncE0EEEvPKT_PKbPfiPiS9_iiiiii,"axG",@progbits,_ZN4vllm3moe17topkGatingSoftmaxIDF16_Li16ELi256ELi8ELi32ELb1ELi0ELNS0_23SharedExpertScoringFuncE0EEEvPKT_PKbPfiPiS9_iiiiii,comdat
	.protected	_ZN4vllm3moe17topkGatingSoftmaxIDF16_Li16ELi256ELi8ELi32ELb1ELi0ELNS0_23SharedExpertScoringFuncE0EEEvPKT_PKbPfiPiS9_iiiiii ; -- Begin function _ZN4vllm3moe17topkGatingSoftmaxIDF16_Li16ELi256ELi8ELi32ELb1ELi0ELNS0_23SharedExpertScoringFuncE0EEEvPKT_PKbPfiPiS9_iiiiii
	.globl	_ZN4vllm3moe17topkGatingSoftmaxIDF16_Li16ELi256ELi8ELi32ELb1ELi0ELNS0_23SharedExpertScoringFuncE0EEEvPKT_PKbPfiPiS9_iiiiii
	.p2align	8
	.type	_ZN4vllm3moe17topkGatingSoftmaxIDF16_Li16ELi256ELi8ELi32ELb1ELi0ELNS0_23SharedExpertScoringFuncE0EEEvPKT_PKbPfiPiS9_iiiiii,@function
_ZN4vllm3moe17topkGatingSoftmaxIDF16_Li16ELi256ELi8ELi32ELb1ELi0ELNS0_23SharedExpertScoringFuncE0EEEvPKT_PKbPfiPiS9_iiiiii: ; @_ZN4vllm3moe17topkGatingSoftmaxIDF16_Li16ELi256ELi8ELi32ELb1ELi0ELNS0_23SharedExpertScoringFuncE0EEEvPKT_PKbPfiPiS9_iiiiii
; %bb.0:
	s_load_dword s33, s[4:5], 0x18
	v_bfe_u32 v1, v0, 10, 10
	v_and_b32_e32 v0, 0x3ff, v0
	s_lshl_b32 s50, s6, 5
	v_lshlrev_b32_e32 v42, 2, v1
	v_lshrrev_b32_e32 v43, 4, v0
	v_add3_u32 v22, s50, v42, v43
	s_waitcnt lgkmcnt(0)
	v_cmp_gt_i32_e32 vcc, s33, v22
	s_and_saveexec_b64 s[0:1], vcc
	s_cbranch_execz .LBB186_27
; %bb.1:
	s_load_dwordx4 s[0:3], s[4:5], 0x0
	s_load_dwordx2 s[34:35], s[4:5], 0x10
	s_waitcnt lgkmcnt(0)
	s_cmp_eq_u64 s[2:3], 0
	s_cbranch_scc1 .LBB186_3
; %bb.2:
	v_ashrrev_i32_e32 v1, 31, v22
	v_mov_b32_e32 v3, s3
	v_add_co_u32_e32 v2, vcc, s2, v22
	v_addc_co_u32_e32 v3, vcc, v3, v1, vcc
	global_load_ubyte v1, v[2:3], off
	s_waitcnt vmcnt(0)
	v_and_b32_e32 v1, 1, v1
	v_cmp_eq_u32_e32 vcc, 1, v1
	s_xor_b64 s[2:3], vcc, -1
	s_orn2_b64 s[44:45], s[2:3], exec
	s_branch .LBB186_4
.LBB186_3:
	s_mov_b64 s[44:45], -1
.LBB186_4:
	s_load_dwordx2 s[8:9], s[4:5], 0x40
	s_load_dwordx4 s[36:39], s[4:5], 0x30
	v_mov_b32_e32 v1, s1
	v_and_b32_e32 v23, 15, v0
	v_lshlrev_b32_e32 v0, 5, v23
	s_waitcnt lgkmcnt(0)
	v_mul_lo_u32 v2, v22, s9
	v_ashrrev_i32_e32 v3, 31, v2
	v_lshlrev_b64 v[2:3], 1, v[2:3]
	v_add_co_u32_e32 v2, vcc, s0, v2
	v_addc_co_u32_e32 v1, vcc, v1, v3, vcc
	v_add_co_u32_e32 v8, vcc, v2, v0
	v_addc_co_u32_e32 v9, vcc, 0, v1, vcc
	global_load_dwordx4 v[4:7], v[8:9], off
	global_load_dwordx4 v[12:15], v[8:9], off offset:16
	v_lshlrev_b32_e32 v24, 4, v23
	v_or_b32_e32 v25, 1, v24
	v_or_b32_e32 v26, 2, v24
	;; [unrolled: 1-line block ×15, first 2 shown]
	v_mov_b32_e32 v40, 0
	s_waitcnt vmcnt(1)
	v_cvt_f32_f16_e32 v0, v4
	v_cvt_f32_f16_sdwa v1, v4 dst_sel:DWORD dst_unused:UNUSED_PAD src0_sel:WORD_1
	v_cvt_f32_f16_e32 v2, v5
	v_cmp_lt_f16_sdwa vcc, v4, v4 src0_sel:DWORD src1_sel:WORD_1
	v_cndmask_b32_e32 v3, v24, v25, vcc
	v_cndmask_b32_e32 v4, v0, v1, vcc
	v_cmp_lt_f32_e32 vcc, v4, v2
	v_cndmask_b32_e32 v10, v3, v26, vcc
	v_cvt_f32_f16_sdwa v3, v5 dst_sel:DWORD dst_unused:UNUSED_PAD src0_sel:WORD_1
	v_cndmask_b32_e32 v4, v4, v2, vcc
	s_waitcnt vmcnt(0)
	v_cvt_f32_f16_e32 v8, v12
	v_cvt_f32_f16_sdwa v9, v12 dst_sel:DWORD dst_unused:UNUSED_PAD src0_sel:WORD_1
	v_cmp_lt_f32_e32 vcc, v4, v3
	v_cndmask_b32_e32 v5, v10, v27, vcc
	v_cndmask_b32_e32 v10, v4, v3, vcc
	v_cvt_f32_f16_e32 v4, v6
	v_cmp_lt_f32_e32 vcc, v10, v4
	v_cndmask_b32_e32 v11, v5, v28, vcc
	v_cvt_f32_f16_sdwa v5, v6 dst_sel:DWORD dst_unused:UNUSED_PAD src0_sel:WORD_1
	v_cvt_f32_f16_e32 v6, v7
	v_cndmask_b32_e32 v10, v10, v4, vcc
	v_cvt_f32_f16_sdwa v7, v7 dst_sel:DWORD dst_unused:UNUSED_PAD src0_sel:WORD_1
	v_cmp_lt_f32_e32 vcc, v10, v5
	v_cndmask_b32_e32 v10, v10, v5, vcc
	v_cndmask_b32_e32 v11, v11, v29, vcc
	v_cmp_lt_f32_e32 vcc, v10, v6
	v_cndmask_b32_e32 v10, v10, v6, vcc
	v_cndmask_b32_e32 v11, v11, v30, vcc
	v_cmp_lt_f32_e32 vcc, v10, v7
	v_cndmask_b32_e32 v10, v10, v7, vcc
	v_cndmask_b32_e32 v11, v11, v31, vcc
	v_cmp_lt_f32_e32 vcc, v10, v8
	v_cndmask_b32_e32 v10, v10, v8, vcc
	v_cndmask_b32_e32 v11, v11, v32, vcc
	v_cmp_lt_f32_e32 vcc, v10, v9
	v_cndmask_b32_e32 v12, v10, v9, vcc
	v_cvt_f32_f16_e32 v10, v13
	v_cndmask_b32_e32 v11, v11, v33, vcc
	v_cmp_lt_f32_e32 vcc, v12, v10
	v_cndmask_b32_e32 v16, v11, v34, vcc
	v_cvt_f32_f16_sdwa v11, v13 dst_sel:DWORD dst_unused:UNUSED_PAD src0_sel:WORD_1
	v_cndmask_b32_e32 v12, v12, v10, vcc
	v_cmp_lt_f32_e32 vcc, v12, v11
	v_cndmask_b32_e32 v13, v16, v35, vcc
	v_cndmask_b32_e32 v16, v12, v11, vcc
	v_cvt_f32_f16_e32 v12, v14
	v_cmp_lt_f32_e32 vcc, v16, v12
	v_cndmask_b32_e32 v17, v13, v36, vcc
	v_cvt_f32_f16_sdwa v13, v14 dst_sel:DWORD dst_unused:UNUSED_PAD src0_sel:WORD_1
	v_cvt_f32_f16_e32 v14, v15
	v_cndmask_b32_e32 v16, v16, v12, vcc
	v_cvt_f32_f16_sdwa v15, v15 dst_sel:DWORD dst_unused:UNUSED_PAD src0_sel:WORD_1
	v_cmp_lt_f32_e32 vcc, v16, v13
	v_cndmask_b32_e32 v16, v16, v13, vcc
	v_cndmask_b32_e32 v17, v17, v37, vcc
	v_cmp_lt_f32_e32 vcc, v16, v14
	v_cndmask_b32_e32 v16, v16, v14, vcc
	v_cndmask_b32_e32 v17, v17, v38, vcc
	;; [unrolled: 3-line block ×3, first 2 shown]
	s_nop 0
	v_mov_b32_dpp v18, v17 quad_perm:[1,0,3,2] row_mask:0xf bank_mask:0xf
	v_mov_b32_dpp v19, v16 quad_perm:[1,0,3,2] row_mask:0xf bank_mask:0xf
	v_cmp_lt_i32_e32 vcc, v18, v17
	v_cmp_eq_f32_e64 s[2:3], v16, v19
	v_cmp_lt_f32_e64 s[0:1], v16, v19
	s_and_b64 s[2:3], s[2:3], vcc
	s_or_b64 vcc, s[0:1], s[2:3]
	v_cndmask_b32_e32 v16, v16, v19, vcc
	v_cndmask_b32_e32 v17, v17, v18, vcc
	s_nop 0
	v_mov_b32_dpp v18, v16 quad_perm:[2,3,0,1] row_mask:0xf bank_mask:0xf
	v_mov_b32_dpp v19, v17 quad_perm:[2,3,0,1] row_mask:0xf bank_mask:0xf
	v_cmp_eq_f32_e64 s[0:1], v16, v18
	v_cmp_lt_i32_e64 s[2:3], v19, v17
	v_cmp_lt_f32_e32 vcc, v16, v18
	s_and_b64 s[0:1], s[0:1], s[2:3]
	s_or_b64 vcc, vcc, s[0:1]
	v_cndmask_b32_e32 v16, v16, v18, vcc
	v_cndmask_b32_e32 v17, v17, v19, vcc
	s_nop 0
	v_mov_b32_dpp v18, v16 row_half_mirror row_mask:0xf bank_mask:0xf
	v_mov_b32_dpp v19, v17 row_half_mirror row_mask:0xf bank_mask:0xf
	v_cmp_eq_f32_e64 s[0:1], v16, v18
	v_cmp_lt_i32_e64 s[2:3], v19, v17
	v_cmp_lt_f32_e32 vcc, v16, v18
	s_and_b64 s[0:1], s[0:1], s[2:3]
	s_or_b64 vcc, vcc, s[0:1]
	v_cndmask_b32_e32 v16, v16, v18, vcc
	v_cndmask_b32_e32 v17, v17, v19, vcc
	s_cmp_gt_i32 s36, 0
	v_cmp_eq_u32_e32 vcc, 0, v23
	s_cselect_b64 s[46:47], -1, 0
	s_cmp_lt_i32 s36, 1
	v_mov_b32_dpp v18, v17 row_mirror row_mask:0xf bank_mask:0xf
	v_mov_b32_dpp v19, v16 row_mirror row_mask:0xf bank_mask:0xf
	s_cbranch_scc1 .LBB186_16
; %bb.5:
	s_load_dwordx4 s[40:43], s[4:5], 0x20
	v_cmp_eq_f32_e64 s[2:3], v16, v19
	v_cmp_lt_i32_e64 s[6:7], v18, v17
	v_cmp_lt_f32_e64 s[0:1], v16, v19
	s_and_b64 s[2:3], s[2:3], s[6:7]
	s_or_b64 s[0:1], s[0:1], s[2:3]
	v_cndmask_b32_e64 v44, v17, v18, s[0:1]
	v_cndmask_b32_e64 v41, v16, v19, s[0:1]
	v_mul_lo_u32 v20, v22, s39
	v_mul_lo_u32 v18, v22, s8
	;; [unrolled: 1-line block ×3, first 2 shown]
	v_mov_b32_e32 v40, 0
	s_and_saveexec_b64 s[4:5], vcc
	s_cbranch_execz .LBB186_7
; %bb.6:
	v_sub_f32_e32 v17, v41, v41
	v_mul_f32_e32 v19, 0x3fb8aa3b, v17
	s_mov_b32 s0, 0x3fb8aa3b
	v_rndne_f32_e32 v21, v19
	v_sub_f32_e32 v40, v19, v21
	v_fma_f32 v19, v17, s0, -v19
	v_fmac_f32_e32 v19, 0x32a5705f, v17
	v_add_f32_e32 v19, v40, v19
	v_exp_f32_e32 v19, v19
	v_cvt_i32_f32_e32 v21, v21
	v_cmp_le_i32_e64 s[0:1], s37, v44
	v_cmp_gt_i32_e64 s[2:3], s38, v44
	s_and_b64 s[2:3], s[0:1], s[2:3]
	s_mov_b32 s0, 0xc2ce8ed0
	v_ldexp_f32 v19, v19, v21
	v_cmp_ngt_f32_e64 s[0:1], s0, v17
	v_cndmask_b32_e64 v19, 0, v19, s[0:1]
	s_mov_b32 s0, 0x42b17218
	v_mov_b32_e32 v21, 0x7f800000
	v_cmp_nlt_f32_e64 s[0:1], s0, v17
	v_cndmask_b32_e64 v40, v21, v19, s[0:1]
	v_ashrrev_i32_e32 v21, 31, v20
	v_lshlrev_b64 v[46:47], 2, v[20:21]
	v_mov_b32_e32 v17, s35
	v_add_co_u32_e64 v46, s[0:1], s34, v46
	v_addc_co_u32_e64 v47, s[0:1], v17, v47, s[0:1]
	v_subrev_u32_e32 v17, s37, v44
	v_mov_b32_e32 v19, 0x100
	s_and_b64 s[0:1], s[44:45], s[2:3]
	v_cndmask_b32_e64 v17, v19, v17, s[0:1]
	v_ashrrev_i32_e32 v19, 31, v18
	global_store_dword v[46:47], v40, off
	v_lshlrev_b64 v[46:47], 2, v[18:19]
	s_waitcnt lgkmcnt(0)
	v_mov_b32_e32 v19, s41
	v_add_co_u32_e64 v46, s[0:1], s40, v46
	v_addc_co_u32_e64 v47, s[0:1], v19, v47, s[0:1]
	global_store_dword v[46:47], v17, off
	v_ashrrev_i32_e32 v17, 31, v16
	v_lshlrev_b64 v[46:47], 2, v[16:17]
	v_mov_b32_e32 v17, s43
	v_add_co_u32_e64 v46, s[0:1], s42, v46
	v_addc_co_u32_e64 v47, s[0:1], v17, v47, s[0:1]
	global_store_dword v[46:47], v22, off
.LBB186_7:
	s_or_b64 exec, exec, s[4:5]
	v_ashrrev_i32_e32 v17, 31, v44
	v_lshrrev_b32_e32 v19, 28, v17
	v_add_u32_e32 v19, v44, v19
	v_ashrrev_i32_e32 v19, 4, v19
	v_lshrrev_b32_e32 v21, 28, v19
	v_add_u32_e32 v21, v19, v21
	v_and_b32_e32 v21, -16, v21
	v_sub_u32_e32 v21, v19, v21
	v_cmp_eq_u32_e64 s[0:1], v23, v21
	s_and_saveexec_b64 s[48:49], s[0:1]
	s_cbranch_execz .LBB186_9
; %bb.8:
	v_add_u32_sdwa v17, v44, v17 dst_sel:DWORD dst_unused:UNUSED_PAD src0_sel:DWORD src1_sel:BYTE_3
	v_lshlrev_b32_e32 v19, 4, v19
	v_sub_u32_e32 v19, v44, v19
	v_ashrrev_i32_e32 v17, 8, v17
	v_lshl_add_u32 v17, v17, 4, v19
	v_mov_b32_e32 v19, 0xff800000
	v_cmp_ne_u32_e64 s[0:1], 14, v17
	v_cmp_ne_u32_e64 s[2:3], 13, v17
	;; [unrolled: 1-line block ×16, first 2 shown]
	v_cndmask_b32_e64 v15, v19, v15, s[30:31]
	v_cndmask_b32_e64 v14, v19, v14, s[0:1]
	;; [unrolled: 1-line block ×16, first 2 shown]
.LBB186_9:
	s_or_b64 exec, exec, s[48:49]
	s_cmp_eq_u32 s36, 1
	s_cbranch_scc1 .LBB186_16
; %bb.10:
	s_add_i32 s50, s50, s33
	s_add_i32 s51, s36, -1
	v_add3_u32 v42, s50, v43, v42
	v_add_u32_e32 v16, 1, v16
	v_add_u32_e32 v18, 1, v18
	;; [unrolled: 1-line block ×3, first 2 shown]
	s_mov_b32 s50, 0x3fb8aa3b
	s_mov_b32 s52, 0xc2ce8ed0
	;; [unrolled: 1-line block ×3, first 2 shown]
	v_mov_b32_e32 v43, 0x7f800000
	v_mov_b32_e32 v44, 0x100
	;; [unrolled: 1-line block ×3, first 2 shown]
	s_branch .LBB186_12
.LBB186_11:                             ;   in Loop: Header=BB186_12 Depth=1
	s_or_b64 exec, exec, s[48:49]
	s_add_i32 s51, s51, -1
	v_add_u32_e32 v42, s33, v42
	v_add_u32_e32 v16, 1, v16
	;; [unrolled: 1-line block ×3, first 2 shown]
	s_cmp_eq_u32 s51, 0
	v_add_u32_e32 v20, 1, v20
	s_cbranch_scc1 .LBB186_16
.LBB186_12:                             ; =>This Inner Loop Header: Depth=1
	v_cmp_gt_f32_e64 s[0:1], v1, v0
	v_cndmask_b32_e64 v19, v0, v1, s[0:1]
	v_cndmask_b32_e64 v17, v24, v25, s[0:1]
	v_cmp_gt_f32_e64 s[0:1], v2, v19
	v_cndmask_b32_e64 v19, v19, v2, s[0:1]
	v_cndmask_b32_e64 v17, v17, v26, s[0:1]
	v_cmp_gt_f32_e64 s[0:1], v3, v19
	v_cndmask_b32_e64 v19, v19, v3, s[0:1]
	v_cndmask_b32_e64 v17, v17, v27, s[0:1]
	v_cmp_gt_f32_e64 s[0:1], v4, v19
	v_cndmask_b32_e64 v19, v19, v4, s[0:1]
	v_cndmask_b32_e64 v17, v17, v28, s[0:1]
	v_cmp_gt_f32_e64 s[0:1], v5, v19
	v_cndmask_b32_e64 v19, v19, v5, s[0:1]
	v_cndmask_b32_e64 v17, v17, v29, s[0:1]
	v_cmp_gt_f32_e64 s[0:1], v6, v19
	v_cndmask_b32_e64 v19, v19, v6, s[0:1]
	v_cndmask_b32_e64 v17, v17, v30, s[0:1]
	v_cmp_gt_f32_e64 s[0:1], v7, v19
	v_cndmask_b32_e64 v19, v19, v7, s[0:1]
	v_cndmask_b32_e64 v17, v17, v31, s[0:1]
	v_cmp_gt_f32_e64 s[0:1], v8, v19
	v_cndmask_b32_e64 v19, v19, v8, s[0:1]
	v_cndmask_b32_e64 v17, v17, v32, s[0:1]
	v_cmp_gt_f32_e64 s[0:1], v9, v19
	v_cndmask_b32_e64 v19, v19, v9, s[0:1]
	v_cndmask_b32_e64 v17, v17, v33, s[0:1]
	v_cmp_gt_f32_e64 s[0:1], v10, v19
	v_cndmask_b32_e64 v19, v19, v10, s[0:1]
	v_cndmask_b32_e64 v17, v17, v34, s[0:1]
	v_cmp_gt_f32_e64 s[0:1], v11, v19
	v_cndmask_b32_e64 v19, v19, v11, s[0:1]
	v_cndmask_b32_e64 v17, v17, v35, s[0:1]
	v_cmp_gt_f32_e64 s[0:1], v12, v19
	v_cndmask_b32_e64 v19, v19, v12, s[0:1]
	v_cndmask_b32_e64 v17, v17, v36, s[0:1]
	v_cmp_gt_f32_e64 s[0:1], v13, v19
	v_cndmask_b32_e64 v19, v19, v13, s[0:1]
	v_cndmask_b32_e64 v17, v17, v37, s[0:1]
	v_cmp_gt_f32_e64 s[0:1], v14, v19
	v_cndmask_b32_e64 v19, v19, v14, s[0:1]
	v_cndmask_b32_e64 v17, v17, v38, s[0:1]
	v_cmp_gt_f32_e64 s[0:1], v15, v19
	v_cndmask_b32_e64 v17, v17, v39, s[0:1]
	v_cndmask_b32_e64 v19, v19, v15, s[0:1]
	s_nop 0
	v_mov_b32_dpp v46, v17 quad_perm:[1,0,3,2] row_mask:0xf bank_mask:0xf
	v_mov_b32_dpp v21, v19 quad_perm:[1,0,3,2] row_mask:0xf bank_mask:0xf
	v_cmp_eq_f32_e64 s[2:3], v19, v21
	v_cmp_lt_i32_e64 s[4:5], v46, v17
	v_cmp_lt_f32_e64 s[0:1], v19, v21
	s_and_b64 s[2:3], s[2:3], s[4:5]
	s_or_b64 s[0:1], s[0:1], s[2:3]
	v_cndmask_b32_e64 v19, v19, v21, s[0:1]
	v_cndmask_b32_e64 v17, v17, v46, s[0:1]
	s_nop 0
	v_mov_b32_dpp v21, v19 quad_perm:[2,3,0,1] row_mask:0xf bank_mask:0xf
	v_mov_b32_dpp v46, v17 quad_perm:[2,3,0,1] row_mask:0xf bank_mask:0xf
	v_cmp_eq_f32_e64 s[2:3], v19, v21
	v_cmp_lt_i32_e64 s[4:5], v46, v17
	v_cmp_lt_f32_e64 s[0:1], v19, v21
	s_and_b64 s[2:3], s[2:3], s[4:5]
	s_or_b64 s[0:1], s[0:1], s[2:3]
	v_cndmask_b32_e64 v19, v19, v21, s[0:1]
	v_cndmask_b32_e64 v21, v17, v46, s[0:1]
	s_nop 0
	v_mov_b32_dpp v17, v19 row_half_mirror row_mask:0xf bank_mask:0xf
	v_mov_b32_dpp v46, v21 row_half_mirror row_mask:0xf bank_mask:0xf
	v_cmp_eq_f32_e64 s[2:3], v19, v17
	v_cmp_lt_i32_e64 s[4:5], v46, v21
	v_cmp_lt_f32_e64 s[0:1], v19, v17
	s_and_b64 s[2:3], s[2:3], s[4:5]
	s_or_b64 s[0:1], s[0:1], s[2:3]
	v_cndmask_b32_e64 v17, v19, v17, s[0:1]
	v_cndmask_b32_e64 v21, v21, v46, s[0:1]
	s_nop 0
	v_mov_b32_dpp v19, v17 row_mirror row_mask:0xf bank_mask:0xf
	v_mov_b32_dpp v46, v21 row_mirror row_mask:0xf bank_mask:0xf
	v_cmp_eq_f32_e64 s[2:3], v17, v19
	v_cmp_lt_i32_e64 s[4:5], v46, v21
	v_cmp_lt_f32_e64 s[0:1], v17, v19
	s_and_b64 s[2:3], s[2:3], s[4:5]
	s_or_b64 s[0:1], s[0:1], s[2:3]
	v_cndmask_b32_e64 v46, v21, v46, s[0:1]
	s_and_saveexec_b64 s[4:5], vcc
	s_cbranch_execz .LBB186_14
; %bb.13:                               ;   in Loop: Header=BB186_12 Depth=1
	v_cndmask_b32_e64 v17, v17, v19, s[0:1]
	v_sub_f32_e32 v17, v17, v41
	v_mul_f32_e32 v19, 0x3fb8aa3b, v17
	v_fma_f32 v21, v17, s50, -v19
	v_rndne_f32_e32 v47, v19
	v_fmac_f32_e32 v21, 0x32a5705f, v17
	v_sub_f32_e32 v19, v19, v47
	v_add_f32_e32 v19, v19, v21
	v_exp_f32_e32 v19, v19
	v_cvt_i32_f32_e32 v21, v47
	v_cmp_le_i32_e64 s[0:1], s37, v46
	v_cmp_gt_i32_e64 s[2:3], s38, v46
	s_and_b64 s[2:3], s[0:1], s[2:3]
	v_ldexp_f32 v19, v19, v21
	v_cmp_ngt_f32_e64 s[0:1], s52, v17
	v_ashrrev_i32_e32 v21, 31, v20
	v_cndmask_b32_e64 v19, 0, v19, s[0:1]
	v_cmp_nlt_f32_e64 s[0:1], s53, v17
	v_lshlrev_b64 v[48:49], 2, v[20:21]
	v_cndmask_b32_e64 v47, v43, v19, s[0:1]
	v_mov_b32_e32 v17, s35
	v_add_co_u32_e64 v48, s[0:1], s34, v48
	v_addc_co_u32_e64 v49, s[0:1], v17, v49, s[0:1]
	v_ashrrev_i32_e32 v19, 31, v18
	global_store_dword v[48:49], v47, off
	v_subrev_u32_e32 v17, s37, v46
	s_and_b64 s[0:1], s[44:45], s[2:3]
	v_lshlrev_b64 v[48:49], 2, v[18:19]
	v_cndmask_b32_e64 v17, v44, v17, s[0:1]
	s_waitcnt lgkmcnt(0)
	v_mov_b32_e32 v19, s41
	v_add_co_u32_e64 v48, s[0:1], s40, v48
	v_addc_co_u32_e64 v49, s[0:1], v19, v49, s[0:1]
	global_store_dword v[48:49], v17, off
	v_ashrrev_i32_e32 v17, 31, v16
	v_lshlrev_b64 v[48:49], 2, v[16:17]
	v_mov_b32_e32 v17, s43
	v_add_co_u32_e64 v48, s[0:1], s42, v48
	v_addc_co_u32_e64 v49, s[0:1], v17, v49, s[0:1]
	v_add_f32_e32 v40, v40, v47
	global_store_dword v[48:49], v42, off
.LBB186_14:                             ;   in Loop: Header=BB186_12 Depth=1
	s_or_b64 exec, exec, s[4:5]
	v_ashrrev_i32_e32 v17, 31, v46
	v_lshrrev_b32_e32 v19, 28, v17
	v_add_u32_e32 v19, v46, v19
	v_ashrrev_i32_e32 v19, 4, v19
	v_lshrrev_b32_e32 v21, 28, v19
	v_add_u32_e32 v21, v19, v21
	v_and_b32_e32 v21, -16, v21
	v_sub_u32_e32 v21, v19, v21
	v_cmp_eq_u32_e64 s[0:1], v23, v21
	s_and_saveexec_b64 s[48:49], s[0:1]
	s_cbranch_execz .LBB186_11
; %bb.15:                               ;   in Loop: Header=BB186_12 Depth=1
	v_add_u32_sdwa v17, v46, v17 dst_sel:DWORD dst_unused:UNUSED_PAD src0_sel:DWORD src1_sel:BYTE_3
	v_lshlrev_b32_e32 v19, 4, v19
	v_sub_u32_e32 v19, v46, v19
	v_ashrrev_i32_e32 v17, 8, v17
	v_lshl_add_u32 v17, v17, 4, v19
	v_cmp_ne_u32_e64 s[0:1], 14, v17
	v_cmp_ne_u32_e64 s[2:3], 13, v17
	;; [unrolled: 1-line block ×16, first 2 shown]
	v_cndmask_b32_e64 v15, v45, v15, s[30:31]
	v_cndmask_b32_e64 v14, v45, v14, s[0:1]
	;; [unrolled: 1-line block ×16, first 2 shown]
	s_branch .LBB186_11
.LBB186_16:
	v_cmp_eq_u32_e32 vcc, 0, v23
	v_cmp_neq_f32_e64 s[0:1], 0, v40
	s_and_b64 s[0:1], vcc, s[0:1]
	s_and_b64 exec, exec, s[0:1]
	s_cbranch_execz .LBB186_27
; %bb.17:
	s_andn2_b64 vcc, exec, s[46:47]
	s_cbranch_vccnz .LBB186_27
; %bb.18:
	v_div_scale_f32 v0, s[0:1], v40, v40, 1.0
	v_rcp_f32_e32 v1, v0
	v_div_scale_f32 v2, vcc, 1.0, v40, 1.0
	s_cmp_gt_u32 s36, 3
	v_fma_f32 v3, -v0, v1, 1.0
	v_fmac_f32_e32 v1, v3, v1
	v_mul_f32_e32 v3, v2, v1
	v_fma_f32 v4, -v0, v3, v2
	v_fmac_f32_e32 v3, v4, v1
	v_fma_f32 v0, -v0, v3, v2
	v_div_fmas_f32 v0, v0, v1, v3
	v_mul_lo_u32 v2, v22, s39
	v_div_fixup_f32 v0, v0, v40, 1.0
	v_ashrrev_i32_e32 v3, 31, v2
	s_cbranch_scc0 .LBB186_22
; %bb.19:
	v_lshlrev_b64 v[4:5], 2, v[2:3]
	v_mov_b32_e32 v6, s35
	v_add_co_u32_e32 v4, vcc, s34, v4
	v_addc_co_u32_e32 v5, vcc, v5, v6, vcc
	s_and_b32 s4, s36, 0x7ffffffc
	v_add_co_u32_e32 v4, vcc, 8, v4
	v_mov_b32_e32 v1, v0
	v_addc_co_u32_e32 v5, vcc, 0, v5, vcc
	s_mov_b32 s0, s4
.LBB186_20:                             ; =>This Inner Loop Header: Depth=1
	global_load_dwordx4 v[6:9], v[4:5], off offset:-8
	s_add_i32 s0, s0, -4
	s_cmp_lg_u32 s0, 0
	s_waitcnt vmcnt(0)
	v_pk_mul_f32 v[6:7], v[0:1], v[6:7]
	v_pk_mul_f32 v[8:9], v[0:1], v[8:9]
	global_store_dwordx4 v[4:5], v[6:9], off offset:-8
	v_add_co_u32_e32 v4, vcc, 16, v4
	v_addc_co_u32_e32 v5, vcc, 0, v5, vcc
	s_cbranch_scc1 .LBB186_20
; %bb.21:
	s_cmp_lg_u32 s4, s36
	s_cselect_b64 s[0:1], -1, 0
	s_branch .LBB186_24
.LBB186_22:
	s_mov_b64 s[0:1], 0
                                        ; implicit-def: $sgpr4
	s_cbranch_execz .LBB186_24
; %bb.23:
	s_mov_b64 s[0:1], -1
	s_mov_b32 s4, 0
.LBB186_24:
	s_andn2_b64 vcc, exec, s[0:1]
	s_cbranch_vccnz .LBB186_27
; %bb.25:
	v_add_co_u32_e32 v2, vcc, s4, v2
	v_addc_co_u32_e32 v3, vcc, 0, v3, vcc
	v_lshlrev_b64 v[2:3], 2, v[2:3]
	v_mov_b32_e32 v1, s35
	v_add_co_u32_e32 v2, vcc, s34, v2
	s_sub_i32 s0, s36, s4
	v_addc_co_u32_e32 v3, vcc, v1, v3, vcc
.LBB186_26:                             ; =>This Inner Loop Header: Depth=1
	global_load_dword v1, v[2:3], off
	s_add_i32 s0, s0, -1
	s_cmp_lg_u32 s0, 0
	s_waitcnt vmcnt(0)
	v_mul_f32_e32 v1, v0, v1
	global_store_dword v[2:3], v1, off
	v_add_co_u32_e32 v2, vcc, 4, v2
	v_addc_co_u32_e32 v3, vcc, 0, v3, vcc
	s_cbranch_scc1 .LBB186_26
.LBB186_27:
	s_endpgm
	.section	.rodata,"a",@progbits
	.p2align	6, 0x0
	.amdhsa_kernel _ZN4vllm3moe17topkGatingSoftmaxIDF16_Li16ELi256ELi8ELi32ELb1ELi0ELNS0_23SharedExpertScoringFuncE0EEEvPKT_PKbPfiPiS9_iiiiii
		.amdhsa_group_segment_fixed_size 0
		.amdhsa_private_segment_fixed_size 0
		.amdhsa_kernarg_size 72
		.amdhsa_user_sgpr_count 6
		.amdhsa_user_sgpr_private_segment_buffer 1
		.amdhsa_user_sgpr_dispatch_ptr 0
		.amdhsa_user_sgpr_queue_ptr 0
		.amdhsa_user_sgpr_kernarg_segment_ptr 1
		.amdhsa_user_sgpr_dispatch_id 0
		.amdhsa_user_sgpr_flat_scratch_init 0
		.amdhsa_user_sgpr_kernarg_preload_length 0
		.amdhsa_user_sgpr_kernarg_preload_offset 0
		.amdhsa_user_sgpr_private_segment_size 0
		.amdhsa_uses_dynamic_stack 0
		.amdhsa_system_sgpr_private_segment_wavefront_offset 0
		.amdhsa_system_sgpr_workgroup_id_x 1
		.amdhsa_system_sgpr_workgroup_id_y 0
		.amdhsa_system_sgpr_workgroup_id_z 0
		.amdhsa_system_sgpr_workgroup_info 0
		.amdhsa_system_vgpr_workitem_id 1
		.amdhsa_next_free_vgpr 50
		.amdhsa_next_free_sgpr 54
		.amdhsa_accum_offset 52
		.amdhsa_reserve_vcc 1
		.amdhsa_reserve_flat_scratch 0
		.amdhsa_float_round_mode_32 0
		.amdhsa_float_round_mode_16_64 0
		.amdhsa_float_denorm_mode_32 3
		.amdhsa_float_denorm_mode_16_64 3
		.amdhsa_dx10_clamp 1
		.amdhsa_ieee_mode 1
		.amdhsa_fp16_overflow 0
		.amdhsa_tg_split 0
		.amdhsa_exception_fp_ieee_invalid_op 0
		.amdhsa_exception_fp_denorm_src 0
		.amdhsa_exception_fp_ieee_div_zero 0
		.amdhsa_exception_fp_ieee_overflow 0
		.amdhsa_exception_fp_ieee_underflow 0
		.amdhsa_exception_fp_ieee_inexact 0
		.amdhsa_exception_int_div_zero 0
	.end_amdhsa_kernel
	.section	.text._ZN4vllm3moe17topkGatingSoftmaxIDF16_Li16ELi256ELi8ELi32ELb1ELi0ELNS0_23SharedExpertScoringFuncE0EEEvPKT_PKbPfiPiS9_iiiiii,"axG",@progbits,_ZN4vllm3moe17topkGatingSoftmaxIDF16_Li16ELi256ELi8ELi32ELb1ELi0ELNS0_23SharedExpertScoringFuncE0EEEvPKT_PKbPfiPiS9_iiiiii,comdat
.Lfunc_end186:
	.size	_ZN4vllm3moe17topkGatingSoftmaxIDF16_Li16ELi256ELi8ELi32ELb1ELi0ELNS0_23SharedExpertScoringFuncE0EEEvPKT_PKbPfiPiS9_iiiiii, .Lfunc_end186-_ZN4vllm3moe17topkGatingSoftmaxIDF16_Li16ELi256ELi8ELi32ELb1ELi0ELNS0_23SharedExpertScoringFuncE0EEEvPKT_PKbPfiPiS9_iiiiii
                                        ; -- End function
	.section	.AMDGPU.csdata,"",@progbits
; Kernel info:
; codeLenInByte = 3204
; NumSgprs: 58
; NumVgprs: 50
; NumAgprs: 0
; TotalNumVgprs: 50
; ScratchSize: 0
; MemoryBound: 0
; FloatMode: 240
; IeeeMode: 1
; LDSByteSize: 0 bytes/workgroup (compile time only)
; SGPRBlocks: 7
; VGPRBlocks: 6
; NumSGPRsForWavesPerEU: 58
; NumVGPRsForWavesPerEU: 50
; AccumOffset: 52
; Occupancy: 8
; WaveLimiterHint : 0
; COMPUTE_PGM_RSRC2:SCRATCH_EN: 0
; COMPUTE_PGM_RSRC2:USER_SGPR: 6
; COMPUTE_PGM_RSRC2:TRAP_HANDLER: 0
; COMPUTE_PGM_RSRC2:TGID_X_EN: 1
; COMPUTE_PGM_RSRC2:TGID_Y_EN: 0
; COMPUTE_PGM_RSRC2:TGID_Z_EN: 0
; COMPUTE_PGM_RSRC2:TIDIG_COMP_CNT: 1
; COMPUTE_PGM_RSRC3_GFX90A:ACCUM_OFFSET: 12
; COMPUTE_PGM_RSRC3_GFX90A:TG_SPLIT: 0
	.section	.text._ZN4vllm3moe17topkGatingSoftmaxIDF16_Li16ELi256ELi8ELi32ELb0ELi0ELNS0_23SharedExpertScoringFuncE0EEEvPKT_PKbPfiPiS9_iiiiii,"axG",@progbits,_ZN4vllm3moe17topkGatingSoftmaxIDF16_Li16ELi256ELi8ELi32ELb0ELi0ELNS0_23SharedExpertScoringFuncE0EEEvPKT_PKbPfiPiS9_iiiiii,comdat
	.protected	_ZN4vllm3moe17topkGatingSoftmaxIDF16_Li16ELi256ELi8ELi32ELb0ELi0ELNS0_23SharedExpertScoringFuncE0EEEvPKT_PKbPfiPiS9_iiiiii ; -- Begin function _ZN4vllm3moe17topkGatingSoftmaxIDF16_Li16ELi256ELi8ELi32ELb0ELi0ELNS0_23SharedExpertScoringFuncE0EEEvPKT_PKbPfiPiS9_iiiiii
	.globl	_ZN4vllm3moe17topkGatingSoftmaxIDF16_Li16ELi256ELi8ELi32ELb0ELi0ELNS0_23SharedExpertScoringFuncE0EEEvPKT_PKbPfiPiS9_iiiiii
	.p2align	8
	.type	_ZN4vllm3moe17topkGatingSoftmaxIDF16_Li16ELi256ELi8ELi32ELb0ELi0ELNS0_23SharedExpertScoringFuncE0EEEvPKT_PKbPfiPiS9_iiiiii,@function
_ZN4vllm3moe17topkGatingSoftmaxIDF16_Li16ELi256ELi8ELi32ELb0ELi0ELNS0_23SharedExpertScoringFuncE0EEEvPKT_PKbPfiPiS9_iiiiii: ; @_ZN4vllm3moe17topkGatingSoftmaxIDF16_Li16ELi256ELi8ELi32ELb0ELi0ELNS0_23SharedExpertScoringFuncE0EEEvPKT_PKbPfiPiS9_iiiiii
; %bb.0:
	s_load_dword s33, s[4:5], 0x18
	v_bfe_u32 v1, v0, 10, 10
	v_and_b32_e32 v0, 0x3ff, v0
	s_lshl_b32 s50, s6, 5
	v_lshlrev_b32_e32 v42, 2, v1
	v_lshrrev_b32_e32 v43, 4, v0
	v_add3_u32 v22, s50, v42, v43
	s_waitcnt lgkmcnt(0)
	v_cmp_gt_i32_e32 vcc, s33, v22
	s_and_saveexec_b64 s[0:1], vcc
	s_cbranch_execz .LBB187_29
; %bb.1:
	s_load_dwordx4 s[0:3], s[4:5], 0x0
	s_load_dwordx2 s[34:35], s[4:5], 0x10
	s_waitcnt lgkmcnt(0)
	s_cmp_eq_u64 s[2:3], 0
	s_cbranch_scc1 .LBB187_3
; %bb.2:
	v_ashrrev_i32_e32 v1, 31, v22
	v_mov_b32_e32 v3, s3
	v_add_co_u32_e32 v2, vcc, s2, v22
	v_addc_co_u32_e32 v3, vcc, v3, v1, vcc
	global_load_ubyte v1, v[2:3], off
	s_waitcnt vmcnt(0)
	v_and_b32_e32 v1, 1, v1
	v_cmp_eq_u32_e32 vcc, 1, v1
	s_xor_b64 s[2:3], vcc, -1
	s_orn2_b64 s[46:47], s[2:3], exec
	s_branch .LBB187_4
.LBB187_3:
	s_mov_b64 s[46:47], -1
.LBB187_4:
	s_load_dwordx2 s[6:7], s[4:5], 0x40
	s_load_dwordx4 s[36:39], s[4:5], 0x30
	v_mov_b32_e32 v1, s1
	v_and_b32_e32 v23, 15, v0
	v_lshlrev_b32_e32 v0, 5, v23
	s_waitcnt lgkmcnt(0)
	v_mul_lo_u32 v2, v22, s7
	v_ashrrev_i32_e32 v3, 31, v2
	v_lshlrev_b64 v[2:3], 1, v[2:3]
	v_add_co_u32_e32 v2, vcc, s0, v2
	v_addc_co_u32_e32 v1, vcc, v1, v3, vcc
	v_add_co_u32_e32 v8, vcc, v2, v0
	v_addc_co_u32_e32 v9, vcc, 0, v1, vcc
	global_load_dwordx4 v[4:7], v[8:9], off
	global_load_dwordx4 v[12:15], v[8:9], off offset:16
	v_lshlrev_b32_e32 v26, 4, v23
	v_or_b32_e32 v27, 1, v26
	v_or_b32_e32 v28, 2, v26
	;; [unrolled: 1-line block ×15, first 2 shown]
	v_mov_b32_e32 v25, 0
	s_waitcnt vmcnt(1)
	v_cvt_f32_f16_e32 v0, v4
	v_cvt_f32_f16_sdwa v1, v4 dst_sel:DWORD dst_unused:UNUSED_PAD src0_sel:WORD_1
	v_cvt_f32_f16_e32 v2, v5
	v_cmp_lt_f16_sdwa vcc, v4, v4 src0_sel:DWORD src1_sel:WORD_1
	v_cndmask_b32_e32 v3, v26, v27, vcc
	v_cndmask_b32_e32 v4, v0, v1, vcc
	v_cmp_lt_f32_e32 vcc, v4, v2
	v_cndmask_b32_e32 v10, v3, v28, vcc
	v_cvt_f32_f16_sdwa v3, v5 dst_sel:DWORD dst_unused:UNUSED_PAD src0_sel:WORD_1
	v_cndmask_b32_e32 v4, v4, v2, vcc
	s_waitcnt vmcnt(0)
	v_cvt_f32_f16_e32 v8, v12
	v_cvt_f32_f16_sdwa v9, v12 dst_sel:DWORD dst_unused:UNUSED_PAD src0_sel:WORD_1
	v_cmp_lt_f32_e32 vcc, v4, v3
	v_cndmask_b32_e32 v5, v10, v29, vcc
	v_cndmask_b32_e32 v10, v4, v3, vcc
	v_cvt_f32_f16_e32 v4, v6
	v_cmp_lt_f32_e32 vcc, v10, v4
	v_cndmask_b32_e32 v11, v5, v30, vcc
	v_cvt_f32_f16_sdwa v5, v6 dst_sel:DWORD dst_unused:UNUSED_PAD src0_sel:WORD_1
	v_cvt_f32_f16_e32 v6, v7
	v_cndmask_b32_e32 v10, v10, v4, vcc
	v_cvt_f32_f16_sdwa v7, v7 dst_sel:DWORD dst_unused:UNUSED_PAD src0_sel:WORD_1
	v_cmp_lt_f32_e32 vcc, v10, v5
	v_cndmask_b32_e32 v10, v10, v5, vcc
	v_cndmask_b32_e32 v11, v11, v31, vcc
	v_cmp_lt_f32_e32 vcc, v10, v6
	v_cndmask_b32_e32 v10, v10, v6, vcc
	v_cndmask_b32_e32 v11, v11, v32, vcc
	;; [unrolled: 3-line block ×4, first 2 shown]
	v_cmp_lt_f32_e32 vcc, v10, v9
	v_cndmask_b32_e32 v12, v10, v9, vcc
	v_cvt_f32_f16_e32 v10, v13
	v_cndmask_b32_e32 v11, v11, v35, vcc
	v_cmp_lt_f32_e32 vcc, v12, v10
	v_cndmask_b32_e32 v16, v11, v36, vcc
	v_cvt_f32_f16_sdwa v11, v13 dst_sel:DWORD dst_unused:UNUSED_PAD src0_sel:WORD_1
	v_cndmask_b32_e32 v12, v12, v10, vcc
	v_cmp_lt_f32_e32 vcc, v12, v11
	v_cndmask_b32_e32 v13, v16, v37, vcc
	v_cndmask_b32_e32 v16, v12, v11, vcc
	v_cvt_f32_f16_e32 v12, v14
	v_cmp_lt_f32_e32 vcc, v16, v12
	v_cndmask_b32_e32 v17, v13, v38, vcc
	v_cvt_f32_f16_sdwa v13, v14 dst_sel:DWORD dst_unused:UNUSED_PAD src0_sel:WORD_1
	v_cvt_f32_f16_e32 v14, v15
	v_cndmask_b32_e32 v16, v16, v12, vcc
	v_cvt_f32_f16_sdwa v15, v15 dst_sel:DWORD dst_unused:UNUSED_PAD src0_sel:WORD_1
	v_cmp_lt_f32_e32 vcc, v16, v13
	v_cndmask_b32_e32 v16, v16, v13, vcc
	v_cndmask_b32_e32 v17, v17, v39, vcc
	v_cmp_lt_f32_e32 vcc, v16, v14
	v_cndmask_b32_e32 v16, v16, v14, vcc
	v_cndmask_b32_e32 v17, v17, v40, vcc
	;; [unrolled: 3-line block ×3, first 2 shown]
	s_nop 0
	v_mov_b32_dpp v18, v17 quad_perm:[1,0,3,2] row_mask:0xf bank_mask:0xf
	v_mov_b32_dpp v19, v16 quad_perm:[1,0,3,2] row_mask:0xf bank_mask:0xf
	v_cmp_lt_i32_e32 vcc, v18, v17
	v_cmp_eq_f32_e64 s[2:3], v16, v19
	v_cmp_lt_f32_e64 s[0:1], v16, v19
	s_and_b64 s[2:3], s[2:3], vcc
	s_or_b64 vcc, s[0:1], s[2:3]
	v_cndmask_b32_e32 v16, v16, v19, vcc
	v_cndmask_b32_e32 v17, v17, v18, vcc
	s_nop 0
	v_mov_b32_dpp v18, v16 quad_perm:[2,3,0,1] row_mask:0xf bank_mask:0xf
	v_mov_b32_dpp v19, v17 quad_perm:[2,3,0,1] row_mask:0xf bank_mask:0xf
	v_cmp_eq_f32_e64 s[0:1], v16, v18
	v_cmp_lt_i32_e64 s[2:3], v19, v17
	v_cmp_lt_f32_e32 vcc, v16, v18
	s_and_b64 s[0:1], s[0:1], s[2:3]
	s_or_b64 vcc, vcc, s[0:1]
	v_cndmask_b32_e32 v16, v16, v18, vcc
	v_cndmask_b32_e32 v17, v17, v19, vcc
	s_nop 0
	v_mov_b32_dpp v18, v16 row_half_mirror row_mask:0xf bank_mask:0xf
	v_mov_b32_dpp v19, v17 row_half_mirror row_mask:0xf bank_mask:0xf
	v_cmp_eq_f32_e64 s[0:1], v16, v18
	v_cmp_lt_i32_e64 s[2:3], v19, v17
	v_cmp_lt_f32_e32 vcc, v16, v18
	s_and_b64 s[0:1], s[0:1], s[2:3]
	s_or_b64 vcc, vcc, s[0:1]
	v_cndmask_b32_e32 v18, v16, v18, vcc
	v_cndmask_b32_e32 v16, v17, v19, vcc
	s_nop 0
	v_mov_b32_dpp v19, v18 row_mirror row_mask:0xf bank_mask:0xf
	v_mov_b32_dpp v17, v16 row_mirror row_mask:0xf bank_mask:0xf
	v_cmp_eq_f32_e64 s[0:1], v18, v19
	v_cmp_lt_i32_e64 s[2:3], v17, v16
	v_cmp_lt_f32_e32 vcc, v18, v19
	s_and_b64 s[0:1], s[0:1], s[2:3]
	s_or_b64 s[0:1], vcc, s[0:1]
	s_cmp_gt_i32 s36, 0
	v_cndmask_b32_e64 v24, v18, v19, s[0:1]
	s_cselect_b64 s[44:45], -1, 0
	s_cmp_lt_i32 s36, 1
	v_cmp_eq_u32_e32 vcc, 0, v23
	s_cbranch_scc1 .LBB187_16
; %bb.5:
	s_load_dwordx4 s[40:43], s[4:5], 0x20
	v_cndmask_b32_e64 v44, v16, v17, s[0:1]
	v_mul_lo_u32 v20, v22, s39
	v_mul_lo_u32 v18, v22, s6
	;; [unrolled: 1-line block ×3, first 2 shown]
	v_mov_b32_e32 v25, 0
	s_and_saveexec_b64 s[4:5], vcc
	s_cbranch_execz .LBB187_7
; %bb.6:
	v_sub_f32_e32 v17, v24, v24
	v_mul_f32_e32 v19, 0x3fb8aa3b, v17
	s_mov_b32 s0, 0x3fb8aa3b
	v_rndne_f32_e32 v21, v19
	v_sub_f32_e32 v25, v19, v21
	v_fma_f32 v19, v17, s0, -v19
	v_fmac_f32_e32 v19, 0x32a5705f, v17
	v_add_f32_e32 v19, v25, v19
	v_exp_f32_e32 v19, v19
	v_cvt_i32_f32_e32 v21, v21
	v_cmp_le_i32_e64 s[0:1], s37, v44
	v_cmp_gt_i32_e64 s[2:3], s38, v44
	s_and_b64 s[2:3], s[0:1], s[2:3]
	s_mov_b32 s0, 0xc2ce8ed0
	v_ldexp_f32 v19, v19, v21
	v_cmp_ngt_f32_e64 s[0:1], s0, v17
	v_cndmask_b32_e64 v19, 0, v19, s[0:1]
	s_mov_b32 s0, 0x42b17218
	v_mov_b32_e32 v21, 0x7f800000
	v_cmp_nlt_f32_e64 s[0:1], s0, v17
	v_cndmask_b32_e64 v25, v21, v19, s[0:1]
	v_ashrrev_i32_e32 v21, 31, v20
	v_lshlrev_b64 v[46:47], 2, v[20:21]
	v_mov_b32_e32 v17, s35
	v_add_co_u32_e64 v46, s[0:1], s34, v46
	v_addc_co_u32_e64 v47, s[0:1], v17, v47, s[0:1]
	v_subrev_u32_e32 v17, s37, v44
	v_mov_b32_e32 v19, 0x100
	s_and_b64 s[0:1], s[46:47], s[2:3]
	v_cndmask_b32_e64 v17, v19, v17, s[0:1]
	v_ashrrev_i32_e32 v19, 31, v18
	global_store_dword v[46:47], v25, off
	v_lshlrev_b64 v[46:47], 2, v[18:19]
	s_waitcnt lgkmcnt(0)
	v_mov_b32_e32 v19, s41
	v_add_co_u32_e64 v46, s[0:1], s40, v46
	v_addc_co_u32_e64 v47, s[0:1], v19, v47, s[0:1]
	global_store_dword v[46:47], v17, off
	v_ashrrev_i32_e32 v17, 31, v16
	v_lshlrev_b64 v[46:47], 2, v[16:17]
	v_mov_b32_e32 v17, s43
	v_add_co_u32_e64 v46, s[0:1], s42, v46
	v_addc_co_u32_e64 v47, s[0:1], v17, v47, s[0:1]
	global_store_dword v[46:47], v22, off
.LBB187_7:
	s_or_b64 exec, exec, s[4:5]
	v_ashrrev_i32_e32 v17, 31, v44
	v_lshrrev_b32_e32 v19, 28, v17
	v_add_u32_e32 v19, v44, v19
	v_ashrrev_i32_e32 v19, 4, v19
	v_lshrrev_b32_e32 v21, 28, v19
	v_add_u32_e32 v21, v19, v21
	v_and_b32_e32 v21, -16, v21
	v_sub_u32_e32 v21, v19, v21
	v_cmp_eq_u32_e64 s[0:1], v23, v21
	s_and_saveexec_b64 s[48:49], s[0:1]
	s_cbranch_execz .LBB187_9
; %bb.8:
	v_add_u32_sdwa v17, v44, v17 dst_sel:DWORD dst_unused:UNUSED_PAD src0_sel:DWORD src1_sel:BYTE_3
	v_lshlrev_b32_e32 v19, 4, v19
	v_sub_u32_e32 v19, v44, v19
	v_ashrrev_i32_e32 v17, 8, v17
	v_lshl_add_u32 v17, v17, 4, v19
	v_mov_b32_e32 v19, 0xff800000
	v_cmp_ne_u32_e64 s[0:1], 14, v17
	v_cmp_ne_u32_e64 s[2:3], 13, v17
	;; [unrolled: 1-line block ×16, first 2 shown]
	v_cndmask_b32_e64 v15, v19, v15, s[30:31]
	v_cndmask_b32_e64 v14, v19, v14, s[0:1]
	;; [unrolled: 1-line block ×16, first 2 shown]
.LBB187_9:
	s_or_b64 exec, exec, s[48:49]
	s_cmp_eq_u32 s36, 1
	s_cbranch_scc1 .LBB187_16
; %bb.10:
	s_add_i32 s50, s50, s33
	s_add_i32 s51, s36, -1
	v_add3_u32 v42, s50, v43, v42
	v_add_u32_e32 v16, 1, v16
	v_add_u32_e32 v18, 1, v18
	;; [unrolled: 1-line block ×3, first 2 shown]
	s_mov_b32 s50, 0x3fb8aa3b
	s_mov_b32 s52, 0xc2ce8ed0
	;; [unrolled: 1-line block ×3, first 2 shown]
	v_mov_b32_e32 v43, 0x7f800000
	v_mov_b32_e32 v44, 0x100
	;; [unrolled: 1-line block ×3, first 2 shown]
	s_branch .LBB187_12
.LBB187_11:                             ;   in Loop: Header=BB187_12 Depth=1
	s_or_b64 exec, exec, s[48:49]
	s_add_i32 s51, s51, -1
	v_add_u32_e32 v42, s33, v42
	v_add_u32_e32 v16, 1, v16
	;; [unrolled: 1-line block ×3, first 2 shown]
	s_cmp_eq_u32 s51, 0
	v_add_u32_e32 v20, 1, v20
	s_cbranch_scc1 .LBB187_16
.LBB187_12:                             ; =>This Inner Loop Header: Depth=1
	v_cmp_gt_f32_e64 s[0:1], v1, v0
	v_cndmask_b32_e64 v19, v0, v1, s[0:1]
	v_cndmask_b32_e64 v17, v26, v27, s[0:1]
	v_cmp_gt_f32_e64 s[0:1], v2, v19
	v_cndmask_b32_e64 v19, v19, v2, s[0:1]
	v_cndmask_b32_e64 v17, v17, v28, s[0:1]
	;; [unrolled: 3-line block ×15, first 2 shown]
	s_nop 0
	v_mov_b32_dpp v46, v17 quad_perm:[1,0,3,2] row_mask:0xf bank_mask:0xf
	v_mov_b32_dpp v21, v19 quad_perm:[1,0,3,2] row_mask:0xf bank_mask:0xf
	v_cmp_eq_f32_e64 s[2:3], v19, v21
	v_cmp_lt_i32_e64 s[4:5], v46, v17
	v_cmp_lt_f32_e64 s[0:1], v19, v21
	s_and_b64 s[2:3], s[2:3], s[4:5]
	s_or_b64 s[0:1], s[0:1], s[2:3]
	v_cndmask_b32_e64 v19, v19, v21, s[0:1]
	v_cndmask_b32_e64 v17, v17, v46, s[0:1]
	s_nop 0
	v_mov_b32_dpp v21, v19 quad_perm:[2,3,0,1] row_mask:0xf bank_mask:0xf
	v_mov_b32_dpp v46, v17 quad_perm:[2,3,0,1] row_mask:0xf bank_mask:0xf
	v_cmp_eq_f32_e64 s[2:3], v19, v21
	v_cmp_lt_i32_e64 s[4:5], v46, v17
	v_cmp_lt_f32_e64 s[0:1], v19, v21
	s_and_b64 s[2:3], s[2:3], s[4:5]
	s_or_b64 s[0:1], s[0:1], s[2:3]
	v_cndmask_b32_e64 v19, v19, v21, s[0:1]
	v_cndmask_b32_e64 v21, v17, v46, s[0:1]
	s_nop 0
	v_mov_b32_dpp v17, v19 row_half_mirror row_mask:0xf bank_mask:0xf
	v_mov_b32_dpp v46, v21 row_half_mirror row_mask:0xf bank_mask:0xf
	v_cmp_eq_f32_e64 s[2:3], v19, v17
	v_cmp_lt_i32_e64 s[4:5], v46, v21
	v_cmp_lt_f32_e64 s[0:1], v19, v17
	s_and_b64 s[2:3], s[2:3], s[4:5]
	s_or_b64 s[0:1], s[0:1], s[2:3]
	v_cndmask_b32_e64 v17, v19, v17, s[0:1]
	v_cndmask_b32_e64 v21, v21, v46, s[0:1]
	s_nop 0
	v_mov_b32_dpp v19, v17 row_mirror row_mask:0xf bank_mask:0xf
	v_mov_b32_dpp v46, v21 row_mirror row_mask:0xf bank_mask:0xf
	v_cmp_eq_f32_e64 s[2:3], v17, v19
	v_cmp_lt_i32_e64 s[4:5], v46, v21
	v_cmp_lt_f32_e64 s[0:1], v17, v19
	s_and_b64 s[2:3], s[2:3], s[4:5]
	s_or_b64 s[0:1], s[0:1], s[2:3]
	v_cndmask_b32_e64 v46, v21, v46, s[0:1]
	s_and_saveexec_b64 s[4:5], vcc
	s_cbranch_execz .LBB187_14
; %bb.13:                               ;   in Loop: Header=BB187_12 Depth=1
	v_cndmask_b32_e64 v17, v17, v19, s[0:1]
	v_sub_f32_e32 v17, v17, v24
	v_mul_f32_e32 v19, 0x3fb8aa3b, v17
	v_fma_f32 v21, v17, s50, -v19
	v_rndne_f32_e32 v47, v19
	v_fmac_f32_e32 v21, 0x32a5705f, v17
	v_sub_f32_e32 v19, v19, v47
	v_add_f32_e32 v19, v19, v21
	v_exp_f32_e32 v19, v19
	v_cvt_i32_f32_e32 v21, v47
	v_cmp_le_i32_e64 s[0:1], s37, v46
	v_cmp_gt_i32_e64 s[2:3], s38, v46
	s_and_b64 s[2:3], s[0:1], s[2:3]
	v_ldexp_f32 v19, v19, v21
	v_cmp_ngt_f32_e64 s[0:1], s52, v17
	v_ashrrev_i32_e32 v21, 31, v20
	v_cndmask_b32_e64 v19, 0, v19, s[0:1]
	v_cmp_nlt_f32_e64 s[0:1], s53, v17
	v_lshlrev_b64 v[48:49], 2, v[20:21]
	v_cndmask_b32_e64 v47, v43, v19, s[0:1]
	v_mov_b32_e32 v17, s35
	v_add_co_u32_e64 v48, s[0:1], s34, v48
	v_addc_co_u32_e64 v49, s[0:1], v17, v49, s[0:1]
	v_ashrrev_i32_e32 v19, 31, v18
	global_store_dword v[48:49], v47, off
	v_subrev_u32_e32 v17, s37, v46
	s_and_b64 s[0:1], s[46:47], s[2:3]
	v_lshlrev_b64 v[48:49], 2, v[18:19]
	v_cndmask_b32_e64 v17, v44, v17, s[0:1]
	s_waitcnt lgkmcnt(0)
	v_mov_b32_e32 v19, s41
	v_add_co_u32_e64 v48, s[0:1], s40, v48
	v_addc_co_u32_e64 v49, s[0:1], v19, v49, s[0:1]
	global_store_dword v[48:49], v17, off
	v_ashrrev_i32_e32 v17, 31, v16
	v_lshlrev_b64 v[48:49], 2, v[16:17]
	v_mov_b32_e32 v17, s43
	v_add_co_u32_e64 v48, s[0:1], s42, v48
	v_addc_co_u32_e64 v49, s[0:1], v17, v49, s[0:1]
	v_add_f32_e32 v25, v25, v47
	global_store_dword v[48:49], v42, off
.LBB187_14:                             ;   in Loop: Header=BB187_12 Depth=1
	s_or_b64 exec, exec, s[4:5]
	v_ashrrev_i32_e32 v17, 31, v46
	v_lshrrev_b32_e32 v19, 28, v17
	v_add_u32_e32 v19, v46, v19
	v_ashrrev_i32_e32 v19, 4, v19
	v_lshrrev_b32_e32 v21, 28, v19
	v_add_u32_e32 v21, v19, v21
	v_and_b32_e32 v21, -16, v21
	v_sub_u32_e32 v21, v19, v21
	v_cmp_eq_u32_e64 s[0:1], v23, v21
	s_and_saveexec_b64 s[48:49], s[0:1]
	s_cbranch_execz .LBB187_11
; %bb.15:                               ;   in Loop: Header=BB187_12 Depth=1
	v_add_u32_sdwa v17, v46, v17 dst_sel:DWORD dst_unused:UNUSED_PAD src0_sel:DWORD src1_sel:BYTE_3
	v_lshlrev_b32_e32 v19, 4, v19
	v_sub_u32_e32 v19, v46, v19
	v_ashrrev_i32_e32 v17, 8, v17
	v_lshl_add_u32 v17, v17, 4, v19
	v_cmp_ne_u32_e64 s[0:1], 14, v17
	v_cmp_ne_u32_e64 s[2:3], 13, v17
	v_cmp_ne_u32_e64 s[4:5], 12, v17
	v_cmp_ne_u32_e64 s[6:7], 11, v17
	v_cmp_ne_u32_e64 s[8:9], 10, v17
	v_cmp_ne_u32_e64 s[10:11], 9, v17
	v_cmp_ne_u32_e64 s[12:13], 8, v17
	v_cmp_ne_u32_e64 s[14:15], 7, v17
	v_cmp_ne_u32_e64 s[16:17], 6, v17
	v_cmp_ne_u32_e64 s[18:19], 5, v17
	v_cmp_ne_u32_e64 s[20:21], 4, v17
	v_cmp_ne_u32_e64 s[22:23], 3, v17
	v_cmp_ne_u32_e64 s[24:25], 2, v17
	v_cmp_ne_u32_e64 s[26:27], 1, v17
	v_cmp_ne_u32_e64 s[28:29], 0, v17
	v_cmp_ne_u32_e64 s[30:31], 15, v17
	v_cndmask_b32_e64 v15, v45, v15, s[30:31]
	v_cndmask_b32_e64 v14, v45, v14, s[0:1]
	;; [unrolled: 1-line block ×16, first 2 shown]
	s_branch .LBB187_11
.LBB187_16:
	v_sub_f32_e32 v0, v0, v24
	s_mov_b32 s2, 0x3fb8aa3b
	v_mul_f32_e32 v16, 0x3fb8aa3b, v0
	v_fma_f32 v17, v0, s2, -v16
	v_rndne_f32_e32 v18, v16
	v_fmac_f32_e32 v17, 0x32a5705f, v0
	v_sub_f32_e32 v16, v16, v18
	v_add_f32_e32 v16, v16, v17
	v_exp_f32_e32 v16, v16
	v_cvt_i32_f32_e32 v17, v18
	v_sub_f32_e32 v1, v1, v24
	s_mov_b32 s4, 0xc2ce8ed0
	s_mov_b32 s3, 0x42b17218
	v_ldexp_f32 v16, v16, v17
	v_mul_f32_e32 v17, 0x3fb8aa3b, v1
	v_fma_f32 v18, v1, s2, -v17
	v_rndne_f32_e32 v19, v17
	v_fmac_f32_e32 v18, 0x32a5705f, v1
	v_sub_f32_e32 v17, v17, v19
	v_add_f32_e32 v17, v17, v18
	v_exp_f32_e32 v17, v17
	v_cvt_i32_f32_e32 v18, v19
	v_cmp_ngt_f32_e32 vcc, s4, v1
	v_cmp_ngt_f32_e64 s[0:1], s4, v0
	v_sub_f32_e32 v2, v2, v24
	v_ldexp_f32 v17, v17, v18
	v_cndmask_b32_e32 v17, 0, v17, vcc
	v_mov_b32_e32 v18, 0x7f800000
	v_cmp_nlt_f32_e32 vcc, s3, v1
	v_cndmask_b32_e64 v1, 0, v16, s[0:1]
	v_cmp_nlt_f32_e64 s[0:1], s3, v0
	v_cndmask_b32_e64 v0, v18, v1, s[0:1]
	v_cndmask_b32_e32 v1, v18, v17, vcc
	v_add_f32_e32 v0, v0, v1
	v_mul_f32_e32 v1, 0x3fb8aa3b, v2
	v_fma_f32 v16, v2, s2, -v1
	v_rndne_f32_e32 v17, v1
	v_fmac_f32_e32 v16, 0x32a5705f, v2
	v_sub_f32_e32 v1, v1, v17
	v_add_f32_e32 v1, v1, v16
	v_exp_f32_e32 v1, v1
	v_cvt_i32_f32_e32 v16, v17
	v_cmp_ngt_f32_e32 vcc, s4, v2
	v_sub_f32_e32 v3, v3, v24
	v_sub_f32_e32 v4, v4, v24
	v_ldexp_f32 v1, v1, v16
	v_cndmask_b32_e32 v1, 0, v1, vcc
	v_cmp_nlt_f32_e32 vcc, s3, v2
	v_cndmask_b32_e32 v1, v18, v1, vcc
	v_add_f32_e32 v0, v0, v1
	v_mul_f32_e32 v1, 0x3fb8aa3b, v3
	v_fma_f32 v2, v3, s2, -v1
	v_rndne_f32_e32 v16, v1
	v_fmac_f32_e32 v2, 0x32a5705f, v3
	v_sub_f32_e32 v1, v1, v16
	v_add_f32_e32 v1, v1, v2
	v_exp_f32_e32 v1, v1
	v_cvt_i32_f32_e32 v2, v16
	v_cmp_ngt_f32_e32 vcc, s4, v3
	v_sub_f32_e32 v5, v5, v24
	v_sub_f32_e32 v6, v6, v24
	v_ldexp_f32 v1, v1, v2
	v_cndmask_b32_e32 v1, 0, v1, vcc
	v_cmp_nlt_f32_e32 vcc, s3, v3
	;; [unrolled: 16-line block ×5, first 2 shown]
	v_cndmask_b32_e32 v1, v18, v1, vcc
	v_add_f32_e32 v0, v0, v1
	v_mul_f32_e32 v1, 0x3fb8aa3b, v7
	v_fma_f32 v2, v7, s2, -v1
	v_rndne_f32_e32 v3, v1
	v_fmac_f32_e32 v2, 0x32a5705f, v7
	v_sub_f32_e32 v1, v1, v3
	v_add_f32_e32 v1, v1, v2
	v_exp_f32_e32 v1, v1
	v_cvt_i32_f32_e32 v2, v3
	v_cmp_ngt_f32_e32 vcc, s4, v7
	v_ldexp_f32 v1, v1, v2
	v_mul_f32_e32 v2, 0x3fb8aa3b, v8
	v_fma_f32 v3, v8, s2, -v2
	v_rndne_f32_e32 v4, v2
	v_fmac_f32_e32 v3, 0x32a5705f, v8
	v_sub_f32_e32 v2, v2, v4
	v_add_f32_e32 v2, v2, v3
	v_exp_f32_e32 v2, v2
	v_cvt_i32_f32_e32 v3, v4
	v_cndmask_b32_e32 v1, 0, v1, vcc
	v_cmp_nlt_f32_e32 vcc, s3, v7
	v_cndmask_b32_e32 v1, v18, v1, vcc
	v_add_f32_e32 v0, v0, v1
	v_ldexp_f32 v1, v2, v3
	v_mul_f32_e32 v2, 0x3fb8aa3b, v9
	v_fma_f32 v3, v9, s2, -v2
	v_rndne_f32_e32 v4, v2
	v_fmac_f32_e32 v3, 0x32a5705f, v9
	v_sub_f32_e32 v2, v2, v4
	v_add_f32_e32 v2, v2, v3
	v_exp_f32_e32 v2, v2
	v_cvt_i32_f32_e32 v3, v4
	v_cmp_ngt_f32_e32 vcc, s4, v8
	v_cndmask_b32_e32 v1, 0, v1, vcc
	v_cmp_nlt_f32_e32 vcc, s3, v8
	v_cndmask_b32_e32 v1, v18, v1, vcc
	v_add_f32_e32 v0, v0, v1
	v_ldexp_f32 v1, v2, v3
	v_mul_f32_e32 v2, 0x3fb8aa3b, v10
	v_fma_f32 v3, v10, s2, -v2
	v_rndne_f32_e32 v4, v2
	v_fmac_f32_e32 v3, 0x32a5705f, v10
	v_sub_f32_e32 v2, v2, v4
	v_add_f32_e32 v2, v2, v3
	v_exp_f32_e32 v2, v2
	v_cvt_i32_f32_e32 v3, v4
	v_cmp_ngt_f32_e32 vcc, s4, v9
	;; [unrolled: 14-line block ×4, first 2 shown]
	v_cndmask_b32_e32 v1, 0, v1, vcc
	v_cmp_nlt_f32_e32 vcc, s3, v11
	v_cndmask_b32_e32 v1, v18, v1, vcc
	v_add_f32_e32 v0, v0, v1
	v_ldexp_f32 v1, v2, v3
	v_sub_f32_e32 v2, v13, v24
	v_mul_f32_e32 v3, 0x3fb8aa3b, v2
	v_fma_f32 v4, v2, s2, -v3
	v_rndne_f32_e32 v5, v3
	v_fmac_f32_e32 v4, 0x32a5705f, v2
	v_sub_f32_e32 v3, v3, v5
	v_add_f32_e32 v3, v3, v4
	v_exp_f32_e32 v3, v3
	v_cvt_i32_f32_e32 v4, v5
	v_cmp_ngt_f32_e32 vcc, s4, v12
	v_cndmask_b32_e32 v1, 0, v1, vcc
	v_cmp_nlt_f32_e32 vcc, s3, v12
	v_cndmask_b32_e32 v1, v18, v1, vcc
	v_add_f32_e32 v0, v0, v1
	v_ldexp_f32 v1, v3, v4
	v_sub_f32_e32 v3, v14, v24
	v_mul_f32_e32 v4, 0x3fb8aa3b, v3
	v_fma_f32 v5, v3, s2, -v4
	v_rndne_f32_e32 v6, v4
	v_fmac_f32_e32 v5, 0x32a5705f, v3
	v_sub_f32_e32 v4, v4, v6
	v_add_f32_e32 v4, v4, v5
	v_exp_f32_e32 v4, v4
	v_cvt_i32_f32_e32 v5, v6
	v_cmp_ngt_f32_e32 vcc, s4, v2
	v_cndmask_b32_e32 v1, 0, v1, vcc
	v_cmp_nlt_f32_e32 vcc, s3, v2
	v_cndmask_b32_e32 v1, v18, v1, vcc
	v_sub_f32_e32 v2, v15, v24
	v_add_f32_e32 v0, v0, v1
	v_ldexp_f32 v1, v4, v5
	v_mul_f32_e32 v4, 0x3fb8aa3b, v2
	v_fma_f32 v5, v2, s2, -v4
	v_rndne_f32_e32 v6, v4
	v_fmac_f32_e32 v5, 0x32a5705f, v2
	v_sub_f32_e32 v4, v4, v6
	v_add_f32_e32 v4, v4, v5
	v_exp_f32_e32 v4, v4
	v_cvt_i32_f32_e32 v5, v6
	v_cmp_ngt_f32_e32 vcc, s4, v3
	v_cndmask_b32_e32 v1, 0, v1, vcc
	v_cmp_nlt_f32_e32 vcc, s3, v3
	v_cndmask_b32_e32 v1, v18, v1, vcc
	v_add_f32_e32 v0, v0, v1
	v_ldexp_f32 v1, v4, v5
	v_cmp_ngt_f32_e32 vcc, s4, v2
	v_cndmask_b32_e32 v1, 0, v1, vcc
	v_cmp_nlt_f32_e32 vcc, s3, v2
	v_cndmask_b32_e32 v1, v18, v1, vcc
	v_add_f32_e32 v0, v0, v1
	v_cmp_eq_u32_e32 vcc, 0, v23
	s_nop 0
	v_mov_b32_dpp v1, v0 quad_perm:[1,0,3,2] row_mask:0xf bank_mask:0xf
	v_add_f32_e32 v0, v0, v1
	s_nop 1
	v_mov_b32_dpp v1, v0 quad_perm:[2,3,0,1] row_mask:0xf bank_mask:0xf
	v_add_f32_e32 v0, v0, v1
	s_nop 1
	v_mov_b32_dpp v1, v0 row_half_mirror row_mask:0xf bank_mask:0xf
	v_add_f32_e32 v0, v0, v1
	s_nop 1
	v_mov_b32_dpp v1, v0 row_mirror row_mask:0xf bank_mask:0xf
	s_and_b64 exec, exec, vcc
	s_cbranch_execz .LBB187_29
; %bb.17:
	v_add_f32_e32 v0, v0, v1
	v_add_f32_e32 v0, v25, v0
	v_cmp_neq_f32_e32 vcc, 0, v0
	s_and_b64 exec, exec, vcc
	s_cbranch_execz .LBB187_29
; %bb.18:
	s_andn2_b64 vcc, exec, s[44:45]
	s_cbranch_vccnz .LBB187_29
; %bb.19:
	v_div_scale_f32 v1, s[0:1], v0, v0, 1.0
	v_rcp_f32_e32 v2, v1
	v_div_scale_f32 v3, vcc, 1.0, v0, 1.0
	s_cmp_gt_u32 s36, 3
	v_fma_f32 v4, -v1, v2, 1.0
	v_fmac_f32_e32 v2, v4, v2
	v_mul_f32_e32 v4, v3, v2
	v_fma_f32 v5, -v1, v4, v3
	v_fmac_f32_e32 v4, v5, v2
	v_fma_f32 v1, -v1, v4, v3
	v_div_fmas_f32 v1, v1, v2, v4
	v_mul_lo_u32 v2, v22, s39
	v_div_fixup_f32 v0, v1, v0, 1.0
	v_ashrrev_i32_e32 v3, 31, v2
	s_cbranch_scc0 .LBB187_23
; %bb.20:
	v_lshlrev_b64 v[4:5], 2, v[2:3]
	v_mov_b32_e32 v6, s35
	v_add_co_u32_e32 v4, vcc, s34, v4
	v_addc_co_u32_e32 v5, vcc, v5, v6, vcc
	s_and_b32 s4, s36, 0x7ffffffc
	v_add_co_u32_e32 v4, vcc, 8, v4
	v_mov_b32_e32 v1, v0
	v_addc_co_u32_e32 v5, vcc, 0, v5, vcc
	s_mov_b32 s0, s4
.LBB187_21:                             ; =>This Inner Loop Header: Depth=1
	global_load_dwordx4 v[6:9], v[4:5], off offset:-8
	s_add_i32 s0, s0, -4
	s_cmp_lg_u32 s0, 0
	s_waitcnt vmcnt(0)
	v_pk_mul_f32 v[6:7], v[0:1], v[6:7]
	v_pk_mul_f32 v[8:9], v[0:1], v[8:9]
	global_store_dwordx4 v[4:5], v[6:9], off offset:-8
	v_add_co_u32_e32 v4, vcc, 16, v4
	v_addc_co_u32_e32 v5, vcc, 0, v5, vcc
	s_cbranch_scc1 .LBB187_21
; %bb.22:
	s_cmp_lg_u32 s4, s36
	s_mov_b64 s[2:3], 0
	s_cselect_b64 s[0:1], -1, 0
	s_branch .LBB187_24
.LBB187_23:
	s_mov_b64 s[2:3], -1
	s_mov_b64 s[0:1], 0
                                        ; implicit-def: $sgpr4
.LBB187_24:
	s_and_b64 vcc, exec, s[2:3]
	s_cbranch_vccz .LBB187_26
; %bb.25:
	s_mov_b64 s[0:1], -1
	s_mov_b32 s4, 0
.LBB187_26:
	s_andn2_b64 vcc, exec, s[0:1]
	s_cbranch_vccnz .LBB187_29
; %bb.27:
	v_add_co_u32_e32 v2, vcc, s4, v2
	v_addc_co_u32_e32 v3, vcc, 0, v3, vcc
	v_lshlrev_b64 v[2:3], 2, v[2:3]
	v_mov_b32_e32 v1, s35
	v_add_co_u32_e32 v2, vcc, s34, v2
	s_sub_i32 s0, s36, s4
	v_addc_co_u32_e32 v3, vcc, v1, v3, vcc
.LBB187_28:                             ; =>This Inner Loop Header: Depth=1
	global_load_dword v1, v[2:3], off
	s_add_i32 s0, s0, -1
	s_cmp_lg_u32 s0, 0
	s_waitcnt vmcnt(0)
	v_mul_f32_e32 v1, v0, v1
	global_store_dword v[2:3], v1, off
	v_add_co_u32_e32 v2, vcc, 4, v2
	v_addc_co_u32_e32 v3, vcc, 0, v3, vcc
	s_cbranch_scc1 .LBB187_28
.LBB187_29:
	s_endpgm
	.section	.rodata,"a",@progbits
	.p2align	6, 0x0
	.amdhsa_kernel _ZN4vllm3moe17topkGatingSoftmaxIDF16_Li16ELi256ELi8ELi32ELb0ELi0ELNS0_23SharedExpertScoringFuncE0EEEvPKT_PKbPfiPiS9_iiiiii
		.amdhsa_group_segment_fixed_size 0
		.amdhsa_private_segment_fixed_size 0
		.amdhsa_kernarg_size 72
		.amdhsa_user_sgpr_count 6
		.amdhsa_user_sgpr_private_segment_buffer 1
		.amdhsa_user_sgpr_dispatch_ptr 0
		.amdhsa_user_sgpr_queue_ptr 0
		.amdhsa_user_sgpr_kernarg_segment_ptr 1
		.amdhsa_user_sgpr_dispatch_id 0
		.amdhsa_user_sgpr_flat_scratch_init 0
		.amdhsa_user_sgpr_kernarg_preload_length 0
		.amdhsa_user_sgpr_kernarg_preload_offset 0
		.amdhsa_user_sgpr_private_segment_size 0
		.amdhsa_uses_dynamic_stack 0
		.amdhsa_system_sgpr_private_segment_wavefront_offset 0
		.amdhsa_system_sgpr_workgroup_id_x 1
		.amdhsa_system_sgpr_workgroup_id_y 0
		.amdhsa_system_sgpr_workgroup_id_z 0
		.amdhsa_system_sgpr_workgroup_info 0
		.amdhsa_system_vgpr_workitem_id 1
		.amdhsa_next_free_vgpr 50
		.amdhsa_next_free_sgpr 54
		.amdhsa_accum_offset 52
		.amdhsa_reserve_vcc 1
		.amdhsa_reserve_flat_scratch 0
		.amdhsa_float_round_mode_32 0
		.amdhsa_float_round_mode_16_64 0
		.amdhsa_float_denorm_mode_32 3
		.amdhsa_float_denorm_mode_16_64 3
		.amdhsa_dx10_clamp 1
		.amdhsa_ieee_mode 1
		.amdhsa_fp16_overflow 0
		.amdhsa_tg_split 0
		.amdhsa_exception_fp_ieee_invalid_op 0
		.amdhsa_exception_fp_denorm_src 0
		.amdhsa_exception_fp_ieee_div_zero 0
		.amdhsa_exception_fp_ieee_overflow 0
		.amdhsa_exception_fp_ieee_underflow 0
		.amdhsa_exception_fp_ieee_inexact 0
		.amdhsa_exception_int_div_zero 0
	.end_amdhsa_kernel
	.section	.text._ZN4vllm3moe17topkGatingSoftmaxIDF16_Li16ELi256ELi8ELi32ELb0ELi0ELNS0_23SharedExpertScoringFuncE0EEEvPKT_PKbPfiPiS9_iiiiii,"axG",@progbits,_ZN4vllm3moe17topkGatingSoftmaxIDF16_Li16ELi256ELi8ELi32ELb0ELi0ELNS0_23SharedExpertScoringFuncE0EEEvPKT_PKbPfiPiS9_iiiiii,comdat
.Lfunc_end187:
	.size	_ZN4vllm3moe17topkGatingSoftmaxIDF16_Li16ELi256ELi8ELi32ELb0ELi0ELNS0_23SharedExpertScoringFuncE0EEEvPKT_PKbPfiPiS9_iiiiii, .Lfunc_end187-_ZN4vllm3moe17topkGatingSoftmaxIDF16_Li16ELi256ELi8ELi32ELb0ELi0ELNS0_23SharedExpertScoringFuncE0EEEvPKT_PKbPfiPiS9_iiiiii
                                        ; -- End function
	.section	.AMDGPU.csdata,"",@progbits
; Kernel info:
; codeLenInByte = 4544
; NumSgprs: 58
; NumVgprs: 50
; NumAgprs: 0
; TotalNumVgprs: 50
; ScratchSize: 0
; MemoryBound: 0
; FloatMode: 240
; IeeeMode: 1
; LDSByteSize: 0 bytes/workgroup (compile time only)
; SGPRBlocks: 7
; VGPRBlocks: 6
; NumSGPRsForWavesPerEU: 58
; NumVGPRsForWavesPerEU: 50
; AccumOffset: 52
; Occupancy: 8
; WaveLimiterHint : 0
; COMPUTE_PGM_RSRC2:SCRATCH_EN: 0
; COMPUTE_PGM_RSRC2:USER_SGPR: 6
; COMPUTE_PGM_RSRC2:TRAP_HANDLER: 0
; COMPUTE_PGM_RSRC2:TGID_X_EN: 1
; COMPUTE_PGM_RSRC2:TGID_Y_EN: 0
; COMPUTE_PGM_RSRC2:TGID_Z_EN: 0
; COMPUTE_PGM_RSRC2:TIDIG_COMP_CNT: 1
; COMPUTE_PGM_RSRC3_GFX90A:ACCUM_OFFSET: 12
; COMPUTE_PGM_RSRC3_GFX90A:TG_SPLIT: 0
	.section	.text._ZN4vllm3moe17topkGatingSoftmaxIDF16_Li16ELi256ELi8ELi32ELb1ELi1ELNS0_23SharedExpertScoringFuncE1EEEvPKT_PKbPfiPiS9_iiiiii,"axG",@progbits,_ZN4vllm3moe17topkGatingSoftmaxIDF16_Li16ELi256ELi8ELi32ELb1ELi1ELNS0_23SharedExpertScoringFuncE1EEEvPKT_PKbPfiPiS9_iiiiii,comdat
	.protected	_ZN4vllm3moe17topkGatingSoftmaxIDF16_Li16ELi256ELi8ELi32ELb1ELi1ELNS0_23SharedExpertScoringFuncE1EEEvPKT_PKbPfiPiS9_iiiiii ; -- Begin function _ZN4vllm3moe17topkGatingSoftmaxIDF16_Li16ELi256ELi8ELi32ELb1ELi1ELNS0_23SharedExpertScoringFuncE1EEEvPKT_PKbPfiPiS9_iiiiii
	.globl	_ZN4vllm3moe17topkGatingSoftmaxIDF16_Li16ELi256ELi8ELi32ELb1ELi1ELNS0_23SharedExpertScoringFuncE1EEEvPKT_PKbPfiPiS9_iiiiii
	.p2align	8
	.type	_ZN4vllm3moe17topkGatingSoftmaxIDF16_Li16ELi256ELi8ELi32ELb1ELi1ELNS0_23SharedExpertScoringFuncE1EEEvPKT_PKbPfiPiS9_iiiiii,@function
_ZN4vllm3moe17topkGatingSoftmaxIDF16_Li16ELi256ELi8ELi32ELb1ELi1ELNS0_23SharedExpertScoringFuncE1EEEvPKT_PKbPfiPiS9_iiiiii: ; @_ZN4vllm3moe17topkGatingSoftmaxIDF16_Li16ELi256ELi8ELi32ELb1ELi1ELNS0_23SharedExpertScoringFuncE1EEEvPKT_PKbPfiPiS9_iiiiii
; %bb.0:
	s_load_dword s33, s[4:5], 0x18
	v_bfe_u32 v1, v0, 10, 10
	v_and_b32_e32 v2, 0x3ff, v0
	s_lshl_b32 s50, s6, 5
	v_lshlrev_b32_e32 v41, 2, v1
	v_lshrrev_b32_e32 v42, 4, v2
	v_add3_u32 v22, s50, v41, v42
	s_waitcnt lgkmcnt(0)
	v_cmp_gt_i32_e32 vcc, s33, v22
	s_and_saveexec_b64 s[0:1], vcc
	s_cbranch_execz .LBB188_29
; %bb.1:
	s_load_dwordx4 s[0:3], s[4:5], 0x0
	s_load_dwordx2 s[34:35], s[4:5], 0x10
	s_waitcnt lgkmcnt(0)
	s_cmp_eq_u64 s[2:3], 0
	s_cbranch_scc1 .LBB188_3
; %bb.2:
	v_ashrrev_i32_e32 v1, 31, v22
	v_mov_b32_e32 v3, s3
	v_add_co_u32_e32 v0, vcc, s2, v22
	v_addc_co_u32_e32 v1, vcc, v3, v1, vcc
	global_load_ubyte v0, v[0:1], off
	s_waitcnt vmcnt(0)
	v_and_b32_e32 v0, 1, v0
	v_cmp_eq_u32_e32 vcc, 1, v0
	s_xor_b64 s[2:3], vcc, -1
	s_orn2_b64 s[44:45], s[2:3], exec
	s_branch .LBB188_4
.LBB188_3:
	s_mov_b64 s[44:45], -1
.LBB188_4:
	s_load_dwordx2 s[8:9], s[4:5], 0x40
	s_load_dwordx4 s[36:39], s[4:5], 0x30
	v_mov_b32_e32 v3, s1
	v_and_b32_e32 v23, 15, v2
	v_lshlrev_b32_e32 v2, 5, v23
	s_waitcnt lgkmcnt(0)
	v_mul_lo_u32 v0, v22, s9
	v_ashrrev_i32_e32 v1, 31, v0
	v_lshlrev_b64 v[0:1], 1, v[0:1]
	v_add_co_u32_e32 v0, vcc, s0, v0
	v_addc_co_u32_e32 v1, vcc, v3, v1, vcc
	v_add_co_u32_e32 v2, vcc, v0, v2
	v_addc_co_u32_e32 v3, vcc, 0, v1, vcc
	global_load_dwordx4 v[12:15], v[2:3], off offset:16
	global_load_dwordx4 v[4:7], v[2:3], off
	v_lshlrev_b32_e32 v25, 4, v23
	v_mov_b32_e32 v24, 0
	v_cmp_eq_u32_e64 s[0:1], 0, v23
	s_and_saveexec_b64 s[2:3], s[0:1]
	s_cbranch_execz .LBB188_6
; %bb.5:
	global_load_ushort v0, v[0:1], off offset:512
	s_mov_b32 s6, 0x3fb8aa3b
	s_mov_b32 s7, 0x32a5705f
	;; [unrolled: 1-line block ×4, first 2 shown]
	v_mov_b32_e32 v3, 0x7f800000
	v_mul_lo_u32 v1, v22, s39
	s_waitcnt vmcnt(0)
	v_cvt_f32_f16_e64 v2, -v0
	v_mul_f32_e32 v8, 0x3fb8aa3b, v2
	v_rndne_f32_e32 v9, v8
	v_fma_mix_f32 v10, -v0, s6, -v8 op_sel_hi:[1,0,0]
	v_sub_f32_e32 v8, v8, v9
	v_fma_mix_f32 v0, -v0, s7, v10 op_sel_hi:[1,0,0]
	v_add_f32_e32 v0, v8, v0
	v_cvt_i32_f32_e32 v9, v9
	v_exp_f32_e32 v8, v0
	v_cmp_ngt_f32_e32 vcc, s9, v2
	v_add_u32_e32 v0, s36, v1
	v_ashrrev_i32_e32 v1, 31, v0
	v_ldexp_f32 v8, v8, v9
	v_cndmask_b32_e32 v8, 0, v8, vcc
	v_cmp_nlt_f32_e32 vcc, s10, v2
	v_cndmask_b32_e32 v2, v3, v8, vcc
	v_add_f32_e32 v2, 1.0, v2
	v_div_scale_f32 v3, s[6:7], v2, v2, 1.0
	v_rcp_f32_e32 v8, v3
	v_div_scale_f32 v9, vcc, 1.0, v2, 1.0
	v_lshlrev_b64 v[0:1], 2, v[0:1]
	v_fma_f32 v11, -v3, v8, 1.0
	v_fmac_f32_e32 v8, v11, v8
	v_mul_f32_e32 v11, v9, v8
	v_fma_f32 v16, -v3, v11, v9
	v_fmac_f32_e32 v11, v16, v8
	v_fma_f32 v3, -v3, v11, v9
	v_mov_b32_e32 v10, s35
	v_div_fmas_f32 v3, v3, v8, v11
	v_add_co_u32_e32 v0, vcc, s34, v0
	v_div_fixup_f32 v2, v3, v2, 1.0
	v_addc_co_u32_e32 v1, vcc, v10, v1, vcc
	global_store_dword v[0:1], v2, off
.LBB188_6:
	s_or_b64 exec, exec, s[2:3]
	s_waitcnt vmcnt(0)
	v_cvt_f32_f16_e32 v0, v4
	v_cvt_f32_f16_sdwa v1, v4 dst_sel:DWORD dst_unused:UNUSED_PAD src0_sel:WORD_1
	v_cvt_f32_f16_e32 v2, v5
	v_cmp_lt_f16_sdwa vcc, v4, v4 src0_sel:DWORD src1_sel:WORD_1
	v_or_b32_e32 v26, 1, v25
	v_cndmask_b32_e32 v4, v0, v1, vcc
	v_cndmask_b32_e32 v3, v25, v26, vcc
	v_or_b32_e32 v27, 2, v25
	v_cmp_lt_f32_e32 vcc, v4, v2
	v_cndmask_b32_e32 v8, v3, v27, vcc
	v_cvt_f32_f16_sdwa v3, v5 dst_sel:DWORD dst_unused:UNUSED_PAD src0_sel:WORD_1
	v_cndmask_b32_e32 v4, v4, v2, vcc
	v_or_b32_e32 v28, 3, v25
	v_or_b32_e32 v29, 4, v25
	v_cmp_lt_f32_e32 vcc, v4, v3
	v_cndmask_b32_e32 v5, v8, v28, vcc
	v_cndmask_b32_e32 v8, v4, v3, vcc
	v_cvt_f32_f16_e32 v4, v6
	v_or_b32_e32 v30, 5, v25
	v_or_b32_e32 v31, 6, v25
	;; [unrolled: 1-line block ×3, first 2 shown]
	v_cmp_lt_f32_e32 vcc, v8, v4
	v_cndmask_b32_e32 v9, v5, v29, vcc
	v_cvt_f32_f16_sdwa v5, v6 dst_sel:DWORD dst_unused:UNUSED_PAD src0_sel:WORD_1
	v_cvt_f32_f16_e32 v6, v7
	v_cndmask_b32_e32 v8, v8, v4, vcc
	v_cvt_f32_f16_sdwa v7, v7 dst_sel:DWORD dst_unused:UNUSED_PAD src0_sel:WORD_1
	v_cmp_lt_f32_e32 vcc, v8, v5
	v_cndmask_b32_e32 v8, v8, v5, vcc
	v_cndmask_b32_e32 v9, v9, v30, vcc
	v_cmp_lt_f32_e32 vcc, v8, v6
	v_cndmask_b32_e32 v8, v8, v6, vcc
	v_cndmask_b32_e32 v9, v9, v31, vcc
	v_cmp_lt_f32_e32 vcc, v8, v7
	v_cndmask_b32_e32 v10, v8, v7, vcc
	v_cvt_f32_f16_e32 v8, v12
	v_cndmask_b32_e32 v9, v9, v32, vcc
	v_or_b32_e32 v33, 8, v25
	v_or_b32_e32 v34, 9, v25
	v_cmp_lt_f32_e32 vcc, v10, v8
	v_cndmask_b32_e32 v11, v9, v33, vcc
	v_cvt_f32_f16_sdwa v9, v12 dst_sel:DWORD dst_unused:UNUSED_PAD src0_sel:WORD_1
	v_cndmask_b32_e32 v10, v10, v8, vcc
	v_or_b32_e32 v35, 10, v25
	v_or_b32_e32 v36, 11, v25
	v_cmp_lt_f32_e32 vcc, v10, v9
	v_cndmask_b32_e32 v12, v10, v9, vcc
	v_cvt_f32_f16_e32 v10, v13
	v_cndmask_b32_e32 v11, v11, v34, vcc
	v_or_b32_e32 v37, 12, v25
	v_or_b32_e32 v38, 13, v25
	v_cmp_lt_f32_e32 vcc, v12, v10
	v_cndmask_b32_e32 v16, v11, v35, vcc
	v_cvt_f32_f16_sdwa v11, v13 dst_sel:DWORD dst_unused:UNUSED_PAD src0_sel:WORD_1
	v_cndmask_b32_e32 v12, v12, v10, vcc
	v_or_b32_e32 v39, 14, v25
	v_or_b32_e32 v40, 15, v25
	v_cmp_lt_f32_e32 vcc, v12, v11
	v_cndmask_b32_e32 v13, v16, v36, vcc
	v_cndmask_b32_e32 v16, v12, v11, vcc
	v_cvt_f32_f16_e32 v12, v14
	v_cmp_lt_f32_e32 vcc, v16, v12
	v_cndmask_b32_e32 v17, v13, v37, vcc
	v_cvt_f32_f16_sdwa v13, v14 dst_sel:DWORD dst_unused:UNUSED_PAD src0_sel:WORD_1
	v_cvt_f32_f16_e32 v14, v15
	v_cndmask_b32_e32 v16, v16, v12, vcc
	v_cvt_f32_f16_sdwa v15, v15 dst_sel:DWORD dst_unused:UNUSED_PAD src0_sel:WORD_1
	v_cmp_lt_f32_e32 vcc, v16, v13
	v_cndmask_b32_e32 v16, v16, v13, vcc
	v_cndmask_b32_e32 v17, v17, v38, vcc
	v_cmp_lt_f32_e32 vcc, v16, v14
	v_cndmask_b32_e32 v16, v16, v14, vcc
	v_cndmask_b32_e32 v17, v17, v39, vcc
	;; [unrolled: 3-line block ×3, first 2 shown]
	s_nop 0
	v_mov_b32_dpp v19, v17 quad_perm:[1,0,3,2] row_mask:0xf bank_mask:0xf
	v_mov_b32_dpp v18, v16 quad_perm:[1,0,3,2] row_mask:0xf bank_mask:0xf
	v_cmp_eq_f32_e64 s[2:3], v16, v18
	v_cmp_lt_i32_e64 s[6:7], v19, v17
	v_cmp_lt_f32_e32 vcc, v16, v18
	s_and_b64 s[2:3], s[2:3], s[6:7]
	s_or_b64 vcc, vcc, s[2:3]
	v_cndmask_b32_e32 v16, v16, v18, vcc
	v_cndmask_b32_e32 v17, v17, v19, vcc
	s_nop 0
	v_mov_b32_dpp v18, v16 quad_perm:[2,3,0,1] row_mask:0xf bank_mask:0xf
	v_mov_b32_dpp v19, v17 quad_perm:[2,3,0,1] row_mask:0xf bank_mask:0xf
	v_cmp_eq_f32_e64 s[2:3], v16, v18
	v_cmp_lt_i32_e64 s[6:7], v19, v17
	v_cmp_lt_f32_e32 vcc, v16, v18
	s_and_b64 s[2:3], s[2:3], s[6:7]
	s_or_b64 vcc, vcc, s[2:3]
	v_cndmask_b32_e32 v16, v16, v18, vcc
	v_cndmask_b32_e32 v17, v17, v19, vcc
	s_nop 0
	v_mov_b32_dpp v18, v16 row_half_mirror row_mask:0xf bank_mask:0xf
	v_mov_b32_dpp v19, v17 row_half_mirror row_mask:0xf bank_mask:0xf
	v_cmp_eq_f32_e64 s[2:3], v16, v18
	v_cmp_lt_i32_e64 s[6:7], v19, v17
	v_cmp_lt_f32_e32 vcc, v16, v18
	s_and_b64 s[2:3], s[2:3], s[6:7]
	s_or_b64 vcc, vcc, s[2:3]
	s_cmp_gt_i32 s36, 0
	v_cndmask_b32_e32 v16, v16, v18, vcc
	v_cndmask_b32_e32 v17, v17, v19, vcc
	s_cselect_b64 s[46:47], -1, 0
	s_and_b64 vcc, exec, s[46:47]
	v_mov_b32_dpp v18, v17 row_mirror row_mask:0xf bank_mask:0xf
	v_mov_b32_dpp v19, v16 row_mirror row_mask:0xf bank_mask:0xf
	s_cbranch_vccz .LBB188_18
; %bb.7:
	s_load_dwordx4 s[40:43], s[4:5], 0x20
	v_cmp_eq_f32_e64 s[2:3], v16, v19
	v_cmp_lt_i32_e64 s[6:7], v18, v17
	v_cmp_lt_f32_e32 vcc, v16, v19
	s_and_b64 s[2:3], s[2:3], s[6:7]
	s_or_b64 vcc, vcc, s[2:3]
	v_cndmask_b32_e32 v44, v17, v18, vcc
	v_cndmask_b32_e32 v43, v16, v19, vcc
	v_mul_lo_u32 v20, v22, s39
	v_mul_lo_u32 v18, v22, s8
	;; [unrolled: 1-line block ×3, first 2 shown]
	v_mov_b32_e32 v24, 0
	s_and_saveexec_b64 s[4:5], s[0:1]
	s_cbranch_execz .LBB188_9
; %bb.8:
	v_sub_f32_e32 v17, v43, v43
	v_mul_f32_e32 v19, 0x3fb8aa3b, v17
	s_mov_b32 s2, 0x3fb8aa3b
	v_rndne_f32_e32 v21, v19
	v_sub_f32_e32 v24, v19, v21
	v_fma_f32 v19, v17, s2, -v19
	v_fmac_f32_e32 v19, 0x32a5705f, v17
	v_add_f32_e32 v19, v24, v19
	v_exp_f32_e32 v19, v19
	v_cvt_i32_f32_e32 v21, v21
	v_cmp_le_i32_e32 vcc, s37, v44
	v_cmp_gt_i32_e64 s[2:3], s38, v44
	s_mov_b32 s6, 0xc2ce8ed0
	s_and_b64 s[2:3], vcc, s[2:3]
	v_ldexp_f32 v19, v19, v21
	v_cmp_ngt_f32_e32 vcc, s6, v17
	s_mov_b32 s6, 0x42b17218
	v_cndmask_b32_e32 v19, 0, v19, vcc
	v_mov_b32_e32 v21, 0x7f800000
	v_cmp_nlt_f32_e32 vcc, s6, v17
	v_cndmask_b32_e32 v24, v21, v19, vcc
	v_ashrrev_i32_e32 v21, 31, v20
	v_lshlrev_b64 v[46:47], 2, v[20:21]
	v_mov_b32_e32 v17, s35
	v_add_co_u32_e32 v46, vcc, s34, v46
	v_addc_co_u32_e32 v47, vcc, v17, v47, vcc
	v_subrev_u32_e32 v17, s37, v44
	v_mov_b32_e32 v19, 0x100
	s_and_b64 vcc, s[44:45], s[2:3]
	v_cndmask_b32_e32 v17, v19, v17, vcc
	v_ashrrev_i32_e32 v19, 31, v18
	global_store_dword v[46:47], v24, off
	v_lshlrev_b64 v[46:47], 2, v[18:19]
	s_waitcnt lgkmcnt(0)
	v_mov_b32_e32 v19, s41
	v_add_co_u32_e32 v46, vcc, s40, v46
	v_addc_co_u32_e32 v47, vcc, v19, v47, vcc
	global_store_dword v[46:47], v17, off
	v_ashrrev_i32_e32 v17, 31, v16
	v_lshlrev_b64 v[46:47], 2, v[16:17]
	v_mov_b32_e32 v17, s43
	v_add_co_u32_e32 v46, vcc, s42, v46
	v_addc_co_u32_e32 v47, vcc, v17, v47, vcc
	global_store_dword v[46:47], v22, off
.LBB188_9:
	s_or_b64 exec, exec, s[4:5]
	v_ashrrev_i32_e32 v17, 31, v44
	v_lshrrev_b32_e32 v19, 28, v17
	v_add_u32_e32 v19, v44, v19
	v_ashrrev_i32_e32 v19, 4, v19
	v_lshrrev_b32_e32 v21, 28, v19
	v_add_u32_e32 v21, v19, v21
	v_and_b32_e32 v21, -16, v21
	v_sub_u32_e32 v21, v19, v21
	v_cmp_eq_u32_e32 vcc, v23, v21
	s_and_saveexec_b64 s[48:49], vcc
	s_cbranch_execz .LBB188_11
; %bb.10:
	v_add_u32_sdwa v17, v44, v17 dst_sel:DWORD dst_unused:UNUSED_PAD src0_sel:DWORD src1_sel:BYTE_3
	v_lshlrev_b32_e32 v19, 4, v19
	v_sub_u32_e32 v19, v44, v19
	v_ashrrev_i32_e32 v17, 8, v17
	v_lshl_add_u32 v17, v17, 4, v19
	v_mov_b32_e32 v19, 0xff800000
	v_cmp_ne_u32_e32 vcc, 14, v17
	v_cmp_ne_u32_e64 s[2:3], 13, v17
	v_cmp_ne_u32_e64 s[4:5], 12, v17
	;; [unrolled: 1-line block ×15, first 2 shown]
	v_cndmask_b32_e64 v15, v19, v15, s[30:31]
	v_cndmask_b32_e32 v14, v19, v14, vcc
	v_cndmask_b32_e64 v13, v19, v13, s[2:3]
	v_cndmask_b32_e64 v12, v19, v12, s[4:5]
	;; [unrolled: 1-line block ×14, first 2 shown]
.LBB188_11:
	s_or_b64 exec, exec, s[48:49]
	s_cmp_eq_u32 s36, 1
	s_cbranch_scc1 .LBB188_18
; %bb.12:
	s_add_i32 s50, s50, s33
	s_add_i32 s51, s36, -1
	v_add3_u32 v41, s50, v42, v41
	v_add_u32_e32 v16, 1, v16
	v_add_u32_e32 v18, 1, v18
	;; [unrolled: 1-line block ×3, first 2 shown]
	s_mov_b32 s50, 0x3fb8aa3b
	s_mov_b32 s52, 0xc2ce8ed0
	;; [unrolled: 1-line block ×3, first 2 shown]
	v_mov_b32_e32 v42, 0x7f800000
	v_mov_b32_e32 v44, 0x100
	;; [unrolled: 1-line block ×3, first 2 shown]
	s_branch .LBB188_14
.LBB188_13:                             ;   in Loop: Header=BB188_14 Depth=1
	s_or_b64 exec, exec, s[48:49]
	s_add_i32 s51, s51, -1
	v_add_u32_e32 v41, s33, v41
	v_add_u32_e32 v16, 1, v16
	v_add_u32_e32 v18, 1, v18
	s_cmp_eq_u32 s51, 0
	v_add_u32_e32 v20, 1, v20
	s_cbranch_scc1 .LBB188_18
.LBB188_14:                             ; =>This Inner Loop Header: Depth=1
	v_cmp_gt_f32_e32 vcc, v1, v0
	v_cndmask_b32_e32 v19, v0, v1, vcc
	v_cndmask_b32_e32 v17, v25, v26, vcc
	v_cmp_gt_f32_e32 vcc, v2, v19
	v_cndmask_b32_e32 v19, v19, v2, vcc
	v_cndmask_b32_e32 v17, v17, v27, vcc
	;; [unrolled: 3-line block ×15, first 2 shown]
	s_nop 0
	v_mov_b32_dpp v46, v17 quad_perm:[1,0,3,2] row_mask:0xf bank_mask:0xf
	v_mov_b32_dpp v21, v19 quad_perm:[1,0,3,2] row_mask:0xf bank_mask:0xf
	v_cmp_eq_f32_e64 s[2:3], v19, v21
	v_cmp_lt_i32_e64 s[4:5], v46, v17
	v_cmp_lt_f32_e32 vcc, v19, v21
	s_and_b64 s[2:3], s[2:3], s[4:5]
	s_or_b64 vcc, vcc, s[2:3]
	v_cndmask_b32_e32 v19, v19, v21, vcc
	v_cndmask_b32_e32 v17, v17, v46, vcc
	s_nop 0
	v_mov_b32_dpp v21, v19 quad_perm:[2,3,0,1] row_mask:0xf bank_mask:0xf
	v_mov_b32_dpp v46, v17 quad_perm:[2,3,0,1] row_mask:0xf bank_mask:0xf
	v_cmp_eq_f32_e64 s[2:3], v19, v21
	v_cmp_lt_i32_e64 s[4:5], v46, v17
	v_cmp_lt_f32_e32 vcc, v19, v21
	s_and_b64 s[2:3], s[2:3], s[4:5]
	s_or_b64 vcc, vcc, s[2:3]
	v_cndmask_b32_e32 v19, v19, v21, vcc
	v_cndmask_b32_e32 v21, v17, v46, vcc
	s_nop 0
	v_mov_b32_dpp v17, v19 row_half_mirror row_mask:0xf bank_mask:0xf
	v_mov_b32_dpp v46, v21 row_half_mirror row_mask:0xf bank_mask:0xf
	v_cmp_eq_f32_e64 s[2:3], v19, v17
	v_cmp_lt_i32_e64 s[4:5], v46, v21
	v_cmp_lt_f32_e32 vcc, v19, v17
	s_and_b64 s[2:3], s[2:3], s[4:5]
	s_or_b64 vcc, vcc, s[2:3]
	v_cndmask_b32_e32 v17, v19, v17, vcc
	v_cndmask_b32_e32 v21, v21, v46, vcc
	s_nop 0
	v_mov_b32_dpp v19, v17 row_mirror row_mask:0xf bank_mask:0xf
	v_mov_b32_dpp v46, v21 row_mirror row_mask:0xf bank_mask:0xf
	v_cmp_eq_f32_e64 s[2:3], v17, v19
	v_cmp_lt_i32_e64 s[4:5], v46, v21
	v_cmp_lt_f32_e32 vcc, v17, v19
	s_and_b64 s[2:3], s[2:3], s[4:5]
	s_or_b64 vcc, vcc, s[2:3]
	v_cndmask_b32_e32 v46, v21, v46, vcc
	s_and_saveexec_b64 s[4:5], s[0:1]
	s_cbranch_execz .LBB188_16
; %bb.15:                               ;   in Loop: Header=BB188_14 Depth=1
	v_cndmask_b32_e32 v17, v17, v19, vcc
	v_sub_f32_e32 v17, v17, v43
	v_mul_f32_e32 v19, 0x3fb8aa3b, v17
	v_fma_f32 v21, v17, s50, -v19
	v_rndne_f32_e32 v47, v19
	v_fmac_f32_e32 v21, 0x32a5705f, v17
	v_sub_f32_e32 v19, v19, v47
	v_add_f32_e32 v19, v19, v21
	v_exp_f32_e32 v19, v19
	v_cvt_i32_f32_e32 v21, v47
	v_cmp_le_i32_e32 vcc, s37, v46
	v_cmp_gt_i32_e64 s[2:3], s38, v46
	s_and_b64 s[2:3], vcc, s[2:3]
	v_ldexp_f32 v19, v19, v21
	v_cmp_ngt_f32_e32 vcc, s52, v17
	v_ashrrev_i32_e32 v21, 31, v20
	v_cndmask_b32_e32 v19, 0, v19, vcc
	v_cmp_nlt_f32_e32 vcc, s53, v17
	v_lshlrev_b64 v[48:49], 2, v[20:21]
	v_cndmask_b32_e32 v47, v42, v19, vcc
	v_mov_b32_e32 v17, s35
	v_add_co_u32_e32 v48, vcc, s34, v48
	v_addc_co_u32_e32 v49, vcc, v17, v49, vcc
	v_ashrrev_i32_e32 v19, 31, v18
	global_store_dword v[48:49], v47, off
	v_subrev_u32_e32 v17, s37, v46
	s_and_b64 vcc, s[44:45], s[2:3]
	v_lshlrev_b64 v[48:49], 2, v[18:19]
	v_cndmask_b32_e32 v17, v44, v17, vcc
	s_waitcnt lgkmcnt(0)
	v_mov_b32_e32 v19, s41
	v_add_co_u32_e32 v48, vcc, s40, v48
	v_addc_co_u32_e32 v49, vcc, v19, v49, vcc
	global_store_dword v[48:49], v17, off
	v_ashrrev_i32_e32 v17, 31, v16
	v_lshlrev_b64 v[48:49], 2, v[16:17]
	v_mov_b32_e32 v17, s43
	v_add_co_u32_e32 v48, vcc, s42, v48
	v_addc_co_u32_e32 v49, vcc, v17, v49, vcc
	v_add_f32_e32 v24, v24, v47
	global_store_dword v[48:49], v41, off
.LBB188_16:                             ;   in Loop: Header=BB188_14 Depth=1
	s_or_b64 exec, exec, s[4:5]
	v_ashrrev_i32_e32 v17, 31, v46
	v_lshrrev_b32_e32 v19, 28, v17
	v_add_u32_e32 v19, v46, v19
	v_ashrrev_i32_e32 v19, 4, v19
	v_lshrrev_b32_e32 v21, 28, v19
	v_add_u32_e32 v21, v19, v21
	v_and_b32_e32 v21, -16, v21
	v_sub_u32_e32 v21, v19, v21
	v_cmp_eq_u32_e32 vcc, v23, v21
	s_and_saveexec_b64 s[48:49], vcc
	s_cbranch_execz .LBB188_13
; %bb.17:                               ;   in Loop: Header=BB188_14 Depth=1
	v_add_u32_sdwa v17, v46, v17 dst_sel:DWORD dst_unused:UNUSED_PAD src0_sel:DWORD src1_sel:BYTE_3
	v_lshlrev_b32_e32 v19, 4, v19
	v_sub_u32_e32 v19, v46, v19
	v_ashrrev_i32_e32 v17, 8, v17
	v_lshl_add_u32 v17, v17, 4, v19
	v_cmp_ne_u32_e32 vcc, 14, v17
	v_cmp_ne_u32_e64 s[2:3], 13, v17
	v_cmp_ne_u32_e64 s[4:5], 12, v17
	;; [unrolled: 1-line block ×15, first 2 shown]
	v_cndmask_b32_e64 v15, v45, v15, s[30:31]
	v_cndmask_b32_e32 v14, v45, v14, vcc
	v_cndmask_b32_e64 v13, v45, v13, s[2:3]
	v_cndmask_b32_e64 v12, v45, v12, s[4:5]
	;; [unrolled: 1-line block ×14, first 2 shown]
	s_branch .LBB188_13
.LBB188_18:
	v_cmp_neq_f32_e32 vcc, 0, v24
	s_and_b64 s[0:1], s[0:1], vcc
	s_and_b64 exec, exec, s[0:1]
	s_cbranch_execz .LBB188_29
; %bb.19:
	s_andn2_b64 vcc, exec, s[46:47]
	s_cbranch_vccnz .LBB188_29
; %bb.20:
	v_div_scale_f32 v0, s[0:1], v24, v24, 1.0
	v_rcp_f32_e32 v1, v0
	v_div_scale_f32 v2, vcc, 1.0, v24, 1.0
	s_cmp_gt_u32 s36, 3
	v_fma_f32 v3, -v0, v1, 1.0
	v_fmac_f32_e32 v1, v3, v1
	v_mul_f32_e32 v3, v2, v1
	v_fma_f32 v4, -v0, v3, v2
	v_fmac_f32_e32 v3, v4, v1
	v_fma_f32 v0, -v0, v3, v2
	v_div_fmas_f32 v0, v0, v1, v3
	v_mul_lo_u32 v2, v22, s39
	v_div_fixup_f32 v0, v0, v24, 1.0
	v_ashrrev_i32_e32 v3, 31, v2
	s_cbranch_scc0 .LBB188_24
; %bb.21:
	v_lshlrev_b64 v[4:5], 2, v[2:3]
	v_mov_b32_e32 v6, s35
	v_add_co_u32_e32 v4, vcc, s34, v4
	v_addc_co_u32_e32 v5, vcc, v5, v6, vcc
	s_and_b32 s4, s36, 0x7ffffffc
	v_add_co_u32_e32 v4, vcc, 8, v4
	v_mov_b32_e32 v1, v0
	v_addc_co_u32_e32 v5, vcc, 0, v5, vcc
	s_mov_b32 s0, s4
.LBB188_22:                             ; =>This Inner Loop Header: Depth=1
	global_load_dwordx4 v[6:9], v[4:5], off offset:-8
	s_add_i32 s0, s0, -4
	s_cmp_lg_u32 s0, 0
	s_waitcnt vmcnt(0)
	v_pk_mul_f32 v[6:7], v[0:1], v[6:7]
	v_pk_mul_f32 v[8:9], v[0:1], v[8:9]
	global_store_dwordx4 v[4:5], v[6:9], off offset:-8
	v_add_co_u32_e32 v4, vcc, 16, v4
	v_addc_co_u32_e32 v5, vcc, 0, v5, vcc
	s_cbranch_scc1 .LBB188_22
; %bb.23:
	s_cmp_lg_u32 s4, s36
	s_cselect_b64 s[0:1], -1, 0
	s_branch .LBB188_26
.LBB188_24:
	s_mov_b64 s[0:1], 0
                                        ; implicit-def: $sgpr4
	s_cbranch_execz .LBB188_26
; %bb.25:
	s_mov_b64 s[0:1], -1
	s_mov_b32 s4, 0
.LBB188_26:
	s_andn2_b64 vcc, exec, s[0:1]
	s_cbranch_vccnz .LBB188_29
; %bb.27:
	v_add_co_u32_e32 v2, vcc, s4, v2
	v_addc_co_u32_e32 v3, vcc, 0, v3, vcc
	v_lshlrev_b64 v[2:3], 2, v[2:3]
	v_mov_b32_e32 v1, s35
	v_add_co_u32_e32 v2, vcc, s34, v2
	s_sub_i32 s0, s36, s4
	v_addc_co_u32_e32 v3, vcc, v1, v3, vcc
.LBB188_28:                             ; =>This Inner Loop Header: Depth=1
	global_load_dword v1, v[2:3], off
	s_add_i32 s0, s0, -1
	s_cmp_lg_u32 s0, 0
	s_waitcnt vmcnt(0)
	v_mul_f32_e32 v1, v0, v1
	global_store_dword v[2:3], v1, off
	v_add_co_u32_e32 v2, vcc, 4, v2
	v_addc_co_u32_e32 v3, vcc, 0, v3, vcc
	s_cbranch_scc1 .LBB188_28
.LBB188_29:
	s_endpgm
	.section	.rodata,"a",@progbits
	.p2align	6, 0x0
	.amdhsa_kernel _ZN4vllm3moe17topkGatingSoftmaxIDF16_Li16ELi256ELi8ELi32ELb1ELi1ELNS0_23SharedExpertScoringFuncE1EEEvPKT_PKbPfiPiS9_iiiiii
		.amdhsa_group_segment_fixed_size 0
		.amdhsa_private_segment_fixed_size 0
		.amdhsa_kernarg_size 72
		.amdhsa_user_sgpr_count 6
		.amdhsa_user_sgpr_private_segment_buffer 1
		.amdhsa_user_sgpr_dispatch_ptr 0
		.amdhsa_user_sgpr_queue_ptr 0
		.amdhsa_user_sgpr_kernarg_segment_ptr 1
		.amdhsa_user_sgpr_dispatch_id 0
		.amdhsa_user_sgpr_flat_scratch_init 0
		.amdhsa_user_sgpr_kernarg_preload_length 0
		.amdhsa_user_sgpr_kernarg_preload_offset 0
		.amdhsa_user_sgpr_private_segment_size 0
		.amdhsa_uses_dynamic_stack 0
		.amdhsa_system_sgpr_private_segment_wavefront_offset 0
		.amdhsa_system_sgpr_workgroup_id_x 1
		.amdhsa_system_sgpr_workgroup_id_y 0
		.amdhsa_system_sgpr_workgroup_id_z 0
		.amdhsa_system_sgpr_workgroup_info 0
		.amdhsa_system_vgpr_workitem_id 1
		.amdhsa_next_free_vgpr 50
		.amdhsa_next_free_sgpr 54
		.amdhsa_accum_offset 52
		.amdhsa_reserve_vcc 1
		.amdhsa_reserve_flat_scratch 0
		.amdhsa_float_round_mode_32 0
		.amdhsa_float_round_mode_16_64 0
		.amdhsa_float_denorm_mode_32 3
		.amdhsa_float_denorm_mode_16_64 3
		.amdhsa_dx10_clamp 1
		.amdhsa_ieee_mode 1
		.amdhsa_fp16_overflow 0
		.amdhsa_tg_split 0
		.amdhsa_exception_fp_ieee_invalid_op 0
		.amdhsa_exception_fp_denorm_src 0
		.amdhsa_exception_fp_ieee_div_zero 0
		.amdhsa_exception_fp_ieee_overflow 0
		.amdhsa_exception_fp_ieee_underflow 0
		.amdhsa_exception_fp_ieee_inexact 0
		.amdhsa_exception_int_div_zero 0
	.end_amdhsa_kernel
	.section	.text._ZN4vllm3moe17topkGatingSoftmaxIDF16_Li16ELi256ELi8ELi32ELb1ELi1ELNS0_23SharedExpertScoringFuncE1EEEvPKT_PKbPfiPiS9_iiiiii,"axG",@progbits,_ZN4vllm3moe17topkGatingSoftmaxIDF16_Li16ELi256ELi8ELi32ELb1ELi1ELNS0_23SharedExpertScoringFuncE1EEEvPKT_PKbPfiPiS9_iiiiii,comdat
.Lfunc_end188:
	.size	_ZN4vllm3moe17topkGatingSoftmaxIDF16_Li16ELi256ELi8ELi32ELb1ELi1ELNS0_23SharedExpertScoringFuncE1EEEvPKT_PKbPfiPiS9_iiiiii, .Lfunc_end188-_ZN4vllm3moe17topkGatingSoftmaxIDF16_Li16ELi256ELi8ELi32ELb1ELi1ELNS0_23SharedExpertScoringFuncE1EEEvPKT_PKbPfiPiS9_iiiiii
                                        ; -- End function
	.section	.AMDGPU.csdata,"",@progbits
; Kernel info:
; codeLenInByte = 3096
; NumSgprs: 58
; NumVgprs: 50
; NumAgprs: 0
; TotalNumVgprs: 50
; ScratchSize: 0
; MemoryBound: 0
; FloatMode: 240
; IeeeMode: 1
; LDSByteSize: 0 bytes/workgroup (compile time only)
; SGPRBlocks: 7
; VGPRBlocks: 6
; NumSGPRsForWavesPerEU: 58
; NumVGPRsForWavesPerEU: 50
; AccumOffset: 52
; Occupancy: 8
; WaveLimiterHint : 0
; COMPUTE_PGM_RSRC2:SCRATCH_EN: 0
; COMPUTE_PGM_RSRC2:USER_SGPR: 6
; COMPUTE_PGM_RSRC2:TRAP_HANDLER: 0
; COMPUTE_PGM_RSRC2:TGID_X_EN: 1
; COMPUTE_PGM_RSRC2:TGID_Y_EN: 0
; COMPUTE_PGM_RSRC2:TGID_Z_EN: 0
; COMPUTE_PGM_RSRC2:TIDIG_COMP_CNT: 1
; COMPUTE_PGM_RSRC3_GFX90A:ACCUM_OFFSET: 12
; COMPUTE_PGM_RSRC3_GFX90A:TG_SPLIT: 0
	.section	.text._ZN4vllm3moe17topkGatingSoftmaxIDF16_Li16ELi256ELi8ELi32ELb0ELi1ELNS0_23SharedExpertScoringFuncE1EEEvPKT_PKbPfiPiS9_iiiiii,"axG",@progbits,_ZN4vllm3moe17topkGatingSoftmaxIDF16_Li16ELi256ELi8ELi32ELb0ELi1ELNS0_23SharedExpertScoringFuncE1EEEvPKT_PKbPfiPiS9_iiiiii,comdat
	.protected	_ZN4vllm3moe17topkGatingSoftmaxIDF16_Li16ELi256ELi8ELi32ELb0ELi1ELNS0_23SharedExpertScoringFuncE1EEEvPKT_PKbPfiPiS9_iiiiii ; -- Begin function _ZN4vllm3moe17topkGatingSoftmaxIDF16_Li16ELi256ELi8ELi32ELb0ELi1ELNS0_23SharedExpertScoringFuncE1EEEvPKT_PKbPfiPiS9_iiiiii
	.globl	_ZN4vllm3moe17topkGatingSoftmaxIDF16_Li16ELi256ELi8ELi32ELb0ELi1ELNS0_23SharedExpertScoringFuncE1EEEvPKT_PKbPfiPiS9_iiiiii
	.p2align	8
	.type	_ZN4vllm3moe17topkGatingSoftmaxIDF16_Li16ELi256ELi8ELi32ELb0ELi1ELNS0_23SharedExpertScoringFuncE1EEEvPKT_PKbPfiPiS9_iiiiii,@function
_ZN4vllm3moe17topkGatingSoftmaxIDF16_Li16ELi256ELi8ELi32ELb0ELi1ELNS0_23SharedExpertScoringFuncE1EEEvPKT_PKbPfiPiS9_iiiiii: ; @_ZN4vllm3moe17topkGatingSoftmaxIDF16_Li16ELi256ELi8ELi32ELb0ELi1ELNS0_23SharedExpertScoringFuncE1EEEvPKT_PKbPfiPiS9_iiiiii
; %bb.0:
	s_load_dword s33, s[4:5], 0x18
	v_bfe_u32 v1, v0, 10, 10
	v_and_b32_e32 v2, 0x3ff, v0
	s_lshl_b32 s50, s6, 5
	v_lshlrev_b32_e32 v42, 2, v1
	v_lshrrev_b32_e32 v43, 4, v2
	v_add3_u32 v22, s50, v42, v43
	s_waitcnt lgkmcnt(0)
	v_cmp_gt_i32_e32 vcc, s33, v22
	s_and_saveexec_b64 s[0:1], vcc
	s_cbranch_execz .LBB189_31
; %bb.1:
	s_load_dwordx4 s[0:3], s[4:5], 0x0
	s_load_dwordx2 s[34:35], s[4:5], 0x10
	s_waitcnt lgkmcnt(0)
	s_cmp_eq_u64 s[2:3], 0
	s_cbranch_scc1 .LBB189_3
; %bb.2:
	v_ashrrev_i32_e32 v1, 31, v22
	v_mov_b32_e32 v3, s3
	v_add_co_u32_e32 v0, vcc, s2, v22
	v_addc_co_u32_e32 v1, vcc, v3, v1, vcc
	global_load_ubyte v0, v[0:1], off
	s_waitcnt vmcnt(0)
	v_and_b32_e32 v0, 1, v0
	v_cmp_eq_u32_e32 vcc, 1, v0
	s_xor_b64 s[2:3], vcc, -1
	s_orn2_b64 s[46:47], s[2:3], exec
	s_branch .LBB189_4
.LBB189_3:
	s_mov_b64 s[46:47], -1
.LBB189_4:
	s_load_dwordx2 s[8:9], s[4:5], 0x40
	s_load_dwordx4 s[36:39], s[4:5], 0x30
	v_mov_b32_e32 v3, s1
	v_and_b32_e32 v25, 15, v2
	v_lshlrev_b32_e32 v2, 5, v25
	s_waitcnt lgkmcnt(0)
	v_mul_lo_u32 v0, v22, s9
	v_ashrrev_i32_e32 v1, 31, v0
	v_lshlrev_b64 v[0:1], 1, v[0:1]
	v_add_co_u32_e32 v0, vcc, s0, v0
	v_addc_co_u32_e32 v1, vcc, v3, v1, vcc
	v_add_co_u32_e32 v2, vcc, v0, v2
	v_addc_co_u32_e32 v3, vcc, 0, v1, vcc
	global_load_dwordx4 v[12:15], v[2:3], off offset:16
	global_load_dwordx4 v[4:7], v[2:3], off
	v_lshlrev_b32_e32 v26, 4, v25
	v_mov_b32_e32 v23, 0
	v_cmp_eq_u32_e64 s[0:1], 0, v25
	s_and_saveexec_b64 s[2:3], s[0:1]
	s_cbranch_execz .LBB189_6
; %bb.5:
	global_load_ushort v0, v[0:1], off offset:512
	s_mov_b32 s6, 0x3fb8aa3b
	s_mov_b32 s7, 0x32a5705f
	;; [unrolled: 1-line block ×4, first 2 shown]
	v_mov_b32_e32 v3, 0x7f800000
	v_mul_lo_u32 v1, v22, s39
	s_waitcnt vmcnt(0)
	v_cvt_f32_f16_e64 v2, -v0
	v_mul_f32_e32 v8, 0x3fb8aa3b, v2
	v_rndne_f32_e32 v9, v8
	v_fma_mix_f32 v10, -v0, s6, -v8 op_sel_hi:[1,0,0]
	v_sub_f32_e32 v8, v8, v9
	v_fma_mix_f32 v0, -v0, s7, v10 op_sel_hi:[1,0,0]
	v_add_f32_e32 v0, v8, v0
	v_cvt_i32_f32_e32 v9, v9
	v_exp_f32_e32 v8, v0
	v_cmp_ngt_f32_e32 vcc, s9, v2
	v_add_u32_e32 v0, s36, v1
	v_ashrrev_i32_e32 v1, 31, v0
	v_ldexp_f32 v8, v8, v9
	v_cndmask_b32_e32 v8, 0, v8, vcc
	v_cmp_nlt_f32_e32 vcc, s10, v2
	v_cndmask_b32_e32 v2, v3, v8, vcc
	v_add_f32_e32 v2, 1.0, v2
	v_div_scale_f32 v3, s[6:7], v2, v2, 1.0
	v_rcp_f32_e32 v8, v3
	v_div_scale_f32 v9, vcc, 1.0, v2, 1.0
	v_lshlrev_b64 v[0:1], 2, v[0:1]
	v_fma_f32 v11, -v3, v8, 1.0
	v_fmac_f32_e32 v8, v11, v8
	v_mul_f32_e32 v11, v9, v8
	v_fma_f32 v16, -v3, v11, v9
	v_fmac_f32_e32 v11, v16, v8
	v_fma_f32 v3, -v3, v11, v9
	v_mov_b32_e32 v10, s35
	v_div_fmas_f32 v3, v3, v8, v11
	v_add_co_u32_e32 v0, vcc, s34, v0
	v_div_fixup_f32 v2, v3, v2, 1.0
	v_addc_co_u32_e32 v1, vcc, v10, v1, vcc
	global_store_dword v[0:1], v2, off
.LBB189_6:
	s_or_b64 exec, exec, s[2:3]
	s_waitcnt vmcnt(0)
	v_cvt_f32_f16_e32 v0, v4
	v_cvt_f32_f16_sdwa v1, v4 dst_sel:DWORD dst_unused:UNUSED_PAD src0_sel:WORD_1
	v_cvt_f32_f16_e32 v2, v5
	v_cmp_lt_f16_sdwa vcc, v4, v4 src0_sel:DWORD src1_sel:WORD_1
	v_or_b32_e32 v27, 1, v26
	v_cndmask_b32_e32 v4, v0, v1, vcc
	v_cndmask_b32_e32 v3, v26, v27, vcc
	v_or_b32_e32 v28, 2, v26
	v_cmp_lt_f32_e32 vcc, v4, v2
	v_cndmask_b32_e32 v8, v3, v28, vcc
	v_cvt_f32_f16_sdwa v3, v5 dst_sel:DWORD dst_unused:UNUSED_PAD src0_sel:WORD_1
	v_cndmask_b32_e32 v4, v4, v2, vcc
	v_or_b32_e32 v29, 3, v26
	v_or_b32_e32 v30, 4, v26
	v_cmp_lt_f32_e32 vcc, v4, v3
	v_cndmask_b32_e32 v5, v8, v29, vcc
	v_cndmask_b32_e32 v8, v4, v3, vcc
	v_cvt_f32_f16_e32 v4, v6
	v_or_b32_e32 v31, 5, v26
	v_or_b32_e32 v32, 6, v26
	;; [unrolled: 1-line block ×3, first 2 shown]
	v_cmp_lt_f32_e32 vcc, v8, v4
	v_cndmask_b32_e32 v9, v5, v30, vcc
	v_cvt_f32_f16_sdwa v5, v6 dst_sel:DWORD dst_unused:UNUSED_PAD src0_sel:WORD_1
	v_cvt_f32_f16_e32 v6, v7
	v_cndmask_b32_e32 v8, v8, v4, vcc
	v_cvt_f32_f16_sdwa v7, v7 dst_sel:DWORD dst_unused:UNUSED_PAD src0_sel:WORD_1
	v_cmp_lt_f32_e32 vcc, v8, v5
	v_cndmask_b32_e32 v8, v8, v5, vcc
	v_cndmask_b32_e32 v9, v9, v31, vcc
	v_cmp_lt_f32_e32 vcc, v8, v6
	v_cndmask_b32_e32 v8, v8, v6, vcc
	v_cndmask_b32_e32 v9, v9, v32, vcc
	v_cmp_lt_f32_e32 vcc, v8, v7
	v_cndmask_b32_e32 v10, v8, v7, vcc
	v_cvt_f32_f16_e32 v8, v12
	v_cndmask_b32_e32 v9, v9, v33, vcc
	v_or_b32_e32 v34, 8, v26
	v_or_b32_e32 v35, 9, v26
	v_cmp_lt_f32_e32 vcc, v10, v8
	v_cndmask_b32_e32 v11, v9, v34, vcc
	v_cvt_f32_f16_sdwa v9, v12 dst_sel:DWORD dst_unused:UNUSED_PAD src0_sel:WORD_1
	v_cndmask_b32_e32 v10, v10, v8, vcc
	v_or_b32_e32 v36, 10, v26
	v_or_b32_e32 v37, 11, v26
	v_cmp_lt_f32_e32 vcc, v10, v9
	v_cndmask_b32_e32 v12, v10, v9, vcc
	v_cvt_f32_f16_e32 v10, v13
	v_cndmask_b32_e32 v11, v11, v35, vcc
	v_or_b32_e32 v38, 12, v26
	v_or_b32_e32 v39, 13, v26
	v_cmp_lt_f32_e32 vcc, v12, v10
	v_cndmask_b32_e32 v16, v11, v36, vcc
	v_cvt_f32_f16_sdwa v11, v13 dst_sel:DWORD dst_unused:UNUSED_PAD src0_sel:WORD_1
	v_cndmask_b32_e32 v12, v12, v10, vcc
	v_or_b32_e32 v40, 14, v26
	v_or_b32_e32 v41, 15, v26
	v_cmp_lt_f32_e32 vcc, v12, v11
	v_cndmask_b32_e32 v13, v16, v37, vcc
	v_cndmask_b32_e32 v16, v12, v11, vcc
	v_cvt_f32_f16_e32 v12, v14
	v_cmp_lt_f32_e32 vcc, v16, v12
	v_cndmask_b32_e32 v17, v13, v38, vcc
	v_cvt_f32_f16_sdwa v13, v14 dst_sel:DWORD dst_unused:UNUSED_PAD src0_sel:WORD_1
	v_cvt_f32_f16_e32 v14, v15
	v_cndmask_b32_e32 v16, v16, v12, vcc
	v_cvt_f32_f16_sdwa v15, v15 dst_sel:DWORD dst_unused:UNUSED_PAD src0_sel:WORD_1
	v_cmp_lt_f32_e32 vcc, v16, v13
	v_cndmask_b32_e32 v16, v16, v13, vcc
	v_cndmask_b32_e32 v17, v17, v39, vcc
	v_cmp_lt_f32_e32 vcc, v16, v14
	v_cndmask_b32_e32 v16, v16, v14, vcc
	v_cndmask_b32_e32 v17, v17, v40, vcc
	;; [unrolled: 3-line block ×3, first 2 shown]
	s_nop 0
	v_mov_b32_dpp v19, v17 quad_perm:[1,0,3,2] row_mask:0xf bank_mask:0xf
	v_mov_b32_dpp v18, v16 quad_perm:[1,0,3,2] row_mask:0xf bank_mask:0xf
	v_cmp_eq_f32_e64 s[2:3], v16, v18
	v_cmp_lt_i32_e64 s[6:7], v19, v17
	v_cmp_lt_f32_e32 vcc, v16, v18
	s_and_b64 s[2:3], s[2:3], s[6:7]
	s_or_b64 vcc, vcc, s[2:3]
	v_cndmask_b32_e32 v16, v16, v18, vcc
	v_cndmask_b32_e32 v17, v17, v19, vcc
	s_nop 0
	v_mov_b32_dpp v18, v16 quad_perm:[2,3,0,1] row_mask:0xf bank_mask:0xf
	v_mov_b32_dpp v19, v17 quad_perm:[2,3,0,1] row_mask:0xf bank_mask:0xf
	v_cmp_eq_f32_e64 s[2:3], v16, v18
	v_cmp_lt_i32_e64 s[6:7], v19, v17
	v_cmp_lt_f32_e32 vcc, v16, v18
	s_and_b64 s[2:3], s[2:3], s[6:7]
	s_or_b64 vcc, vcc, s[2:3]
	v_cndmask_b32_e32 v16, v16, v18, vcc
	v_cndmask_b32_e32 v17, v17, v19, vcc
	s_nop 0
	v_mov_b32_dpp v18, v16 row_half_mirror row_mask:0xf bank_mask:0xf
	v_mov_b32_dpp v19, v17 row_half_mirror row_mask:0xf bank_mask:0xf
	v_cmp_eq_f32_e64 s[2:3], v16, v18
	v_cmp_lt_i32_e64 s[6:7], v19, v17
	v_cmp_lt_f32_e32 vcc, v16, v18
	s_and_b64 s[2:3], s[2:3], s[6:7]
	s_or_b64 vcc, vcc, s[2:3]
	v_cndmask_b32_e32 v18, v16, v18, vcc
	v_cndmask_b32_e32 v16, v17, v19, vcc
	s_nop 0
	v_mov_b32_dpp v19, v18 row_mirror row_mask:0xf bank_mask:0xf
	v_mov_b32_dpp v17, v16 row_mirror row_mask:0xf bank_mask:0xf
	v_cmp_eq_f32_e64 s[2:3], v18, v19
	v_cmp_lt_i32_e64 s[6:7], v17, v16
	v_cmp_lt_f32_e32 vcc, v18, v19
	s_and_b64 s[2:3], s[2:3], s[6:7]
	s_or_b64 s[2:3], vcc, s[2:3]
	s_cmp_gt_i32 s36, 0
	s_cselect_b64 s[44:45], -1, 0
	v_cndmask_b32_e64 v24, v18, v19, s[2:3]
	s_and_b64 vcc, exec, s[44:45]
	s_cbranch_vccz .LBB189_18
; %bb.7:
	s_load_dwordx4 s[40:43], s[4:5], 0x20
	v_cndmask_b32_e64 v44, v16, v17, s[2:3]
	v_mul_lo_u32 v20, v22, s39
	v_mul_lo_u32 v18, v22, s8
	;; [unrolled: 1-line block ×3, first 2 shown]
	v_mov_b32_e32 v23, 0
	s_and_saveexec_b64 s[4:5], s[0:1]
	s_cbranch_execz .LBB189_9
; %bb.8:
	v_sub_f32_e32 v17, v24, v24
	v_mul_f32_e32 v19, 0x3fb8aa3b, v17
	s_mov_b32 s2, 0x3fb8aa3b
	v_rndne_f32_e32 v21, v19
	v_sub_f32_e32 v23, v19, v21
	v_fma_f32 v19, v17, s2, -v19
	v_fmac_f32_e32 v19, 0x32a5705f, v17
	v_add_f32_e32 v19, v23, v19
	v_exp_f32_e32 v19, v19
	v_cvt_i32_f32_e32 v21, v21
	v_cmp_le_i32_e32 vcc, s37, v44
	v_cmp_gt_i32_e64 s[2:3], s38, v44
	s_mov_b32 s6, 0xc2ce8ed0
	s_and_b64 s[2:3], vcc, s[2:3]
	v_ldexp_f32 v19, v19, v21
	v_cmp_ngt_f32_e32 vcc, s6, v17
	s_mov_b32 s6, 0x42b17218
	v_cndmask_b32_e32 v19, 0, v19, vcc
	v_mov_b32_e32 v21, 0x7f800000
	v_cmp_nlt_f32_e32 vcc, s6, v17
	v_cndmask_b32_e32 v23, v21, v19, vcc
	v_ashrrev_i32_e32 v21, 31, v20
	v_lshlrev_b64 v[46:47], 2, v[20:21]
	v_mov_b32_e32 v17, s35
	v_add_co_u32_e32 v46, vcc, s34, v46
	v_addc_co_u32_e32 v47, vcc, v17, v47, vcc
	v_subrev_u32_e32 v17, s37, v44
	v_mov_b32_e32 v19, 0x100
	s_and_b64 vcc, s[46:47], s[2:3]
	v_cndmask_b32_e32 v17, v19, v17, vcc
	v_ashrrev_i32_e32 v19, 31, v18
	global_store_dword v[46:47], v23, off
	v_lshlrev_b64 v[46:47], 2, v[18:19]
	s_waitcnt lgkmcnt(0)
	v_mov_b32_e32 v19, s41
	v_add_co_u32_e32 v46, vcc, s40, v46
	v_addc_co_u32_e32 v47, vcc, v19, v47, vcc
	global_store_dword v[46:47], v17, off
	v_ashrrev_i32_e32 v17, 31, v16
	v_lshlrev_b64 v[46:47], 2, v[16:17]
	v_mov_b32_e32 v17, s43
	v_add_co_u32_e32 v46, vcc, s42, v46
	v_addc_co_u32_e32 v47, vcc, v17, v47, vcc
	global_store_dword v[46:47], v22, off
.LBB189_9:
	s_or_b64 exec, exec, s[4:5]
	v_ashrrev_i32_e32 v17, 31, v44
	v_lshrrev_b32_e32 v19, 28, v17
	v_add_u32_e32 v19, v44, v19
	v_ashrrev_i32_e32 v19, 4, v19
	v_lshrrev_b32_e32 v21, 28, v19
	v_add_u32_e32 v21, v19, v21
	v_and_b32_e32 v21, -16, v21
	v_sub_u32_e32 v21, v19, v21
	v_cmp_eq_u32_e32 vcc, v25, v21
	s_and_saveexec_b64 s[48:49], vcc
	s_cbranch_execz .LBB189_11
; %bb.10:
	v_add_u32_sdwa v17, v44, v17 dst_sel:DWORD dst_unused:UNUSED_PAD src0_sel:DWORD src1_sel:BYTE_3
	v_lshlrev_b32_e32 v19, 4, v19
	v_sub_u32_e32 v19, v44, v19
	v_ashrrev_i32_e32 v17, 8, v17
	v_lshl_add_u32 v17, v17, 4, v19
	v_mov_b32_e32 v19, 0xff800000
	v_cmp_ne_u32_e32 vcc, 14, v17
	v_cmp_ne_u32_e64 s[2:3], 13, v17
	v_cmp_ne_u32_e64 s[4:5], 12, v17
	;; [unrolled: 1-line block ×15, first 2 shown]
	v_cndmask_b32_e64 v15, v19, v15, s[30:31]
	v_cndmask_b32_e32 v14, v19, v14, vcc
	v_cndmask_b32_e64 v13, v19, v13, s[2:3]
	v_cndmask_b32_e64 v12, v19, v12, s[4:5]
	;; [unrolled: 1-line block ×14, first 2 shown]
.LBB189_11:
	s_or_b64 exec, exec, s[48:49]
	s_cmp_eq_u32 s36, 1
	s_cbranch_scc1 .LBB189_18
; %bb.12:
	s_add_i32 s50, s50, s33
	s_add_i32 s51, s36, -1
	v_add3_u32 v42, s50, v43, v42
	v_add_u32_e32 v16, 1, v16
	v_add_u32_e32 v18, 1, v18
	v_add_u32_e32 v20, 1, v20
	s_mov_b32 s50, 0x3fb8aa3b
	s_mov_b32 s52, 0xc2ce8ed0
	;; [unrolled: 1-line block ×3, first 2 shown]
	v_mov_b32_e32 v43, 0x7f800000
	v_mov_b32_e32 v44, 0x100
	;; [unrolled: 1-line block ×3, first 2 shown]
	s_branch .LBB189_14
.LBB189_13:                             ;   in Loop: Header=BB189_14 Depth=1
	s_or_b64 exec, exec, s[48:49]
	s_add_i32 s51, s51, -1
	v_add_u32_e32 v42, s33, v42
	v_add_u32_e32 v16, 1, v16
	;; [unrolled: 1-line block ×3, first 2 shown]
	s_cmp_eq_u32 s51, 0
	v_add_u32_e32 v20, 1, v20
	s_cbranch_scc1 .LBB189_18
.LBB189_14:                             ; =>This Inner Loop Header: Depth=1
	v_cmp_gt_f32_e32 vcc, v1, v0
	v_cndmask_b32_e32 v19, v0, v1, vcc
	v_cndmask_b32_e32 v17, v26, v27, vcc
	v_cmp_gt_f32_e32 vcc, v2, v19
	v_cndmask_b32_e32 v19, v19, v2, vcc
	v_cndmask_b32_e32 v17, v17, v28, vcc
	;; [unrolled: 3-line block ×15, first 2 shown]
	s_nop 0
	v_mov_b32_dpp v46, v17 quad_perm:[1,0,3,2] row_mask:0xf bank_mask:0xf
	v_mov_b32_dpp v21, v19 quad_perm:[1,0,3,2] row_mask:0xf bank_mask:0xf
	v_cmp_eq_f32_e64 s[2:3], v19, v21
	v_cmp_lt_i32_e64 s[4:5], v46, v17
	v_cmp_lt_f32_e32 vcc, v19, v21
	s_and_b64 s[2:3], s[2:3], s[4:5]
	s_or_b64 vcc, vcc, s[2:3]
	v_cndmask_b32_e32 v19, v19, v21, vcc
	v_cndmask_b32_e32 v17, v17, v46, vcc
	s_nop 0
	v_mov_b32_dpp v21, v19 quad_perm:[2,3,0,1] row_mask:0xf bank_mask:0xf
	v_mov_b32_dpp v46, v17 quad_perm:[2,3,0,1] row_mask:0xf bank_mask:0xf
	v_cmp_eq_f32_e64 s[2:3], v19, v21
	v_cmp_lt_i32_e64 s[4:5], v46, v17
	v_cmp_lt_f32_e32 vcc, v19, v21
	s_and_b64 s[2:3], s[2:3], s[4:5]
	s_or_b64 vcc, vcc, s[2:3]
	v_cndmask_b32_e32 v19, v19, v21, vcc
	v_cndmask_b32_e32 v21, v17, v46, vcc
	s_nop 0
	v_mov_b32_dpp v17, v19 row_half_mirror row_mask:0xf bank_mask:0xf
	v_mov_b32_dpp v46, v21 row_half_mirror row_mask:0xf bank_mask:0xf
	v_cmp_eq_f32_e64 s[2:3], v19, v17
	v_cmp_lt_i32_e64 s[4:5], v46, v21
	v_cmp_lt_f32_e32 vcc, v19, v17
	s_and_b64 s[2:3], s[2:3], s[4:5]
	s_or_b64 vcc, vcc, s[2:3]
	v_cndmask_b32_e32 v17, v19, v17, vcc
	v_cndmask_b32_e32 v21, v21, v46, vcc
	s_nop 0
	v_mov_b32_dpp v19, v17 row_mirror row_mask:0xf bank_mask:0xf
	v_mov_b32_dpp v46, v21 row_mirror row_mask:0xf bank_mask:0xf
	v_cmp_eq_f32_e64 s[2:3], v17, v19
	v_cmp_lt_i32_e64 s[4:5], v46, v21
	v_cmp_lt_f32_e32 vcc, v17, v19
	s_and_b64 s[2:3], s[2:3], s[4:5]
	s_or_b64 vcc, vcc, s[2:3]
	v_cndmask_b32_e32 v46, v21, v46, vcc
	s_and_saveexec_b64 s[4:5], s[0:1]
	s_cbranch_execz .LBB189_16
; %bb.15:                               ;   in Loop: Header=BB189_14 Depth=1
	v_cndmask_b32_e32 v17, v17, v19, vcc
	v_sub_f32_e32 v17, v17, v24
	v_mul_f32_e32 v19, 0x3fb8aa3b, v17
	v_fma_f32 v21, v17, s50, -v19
	v_rndne_f32_e32 v47, v19
	v_fmac_f32_e32 v21, 0x32a5705f, v17
	v_sub_f32_e32 v19, v19, v47
	v_add_f32_e32 v19, v19, v21
	v_exp_f32_e32 v19, v19
	v_cvt_i32_f32_e32 v21, v47
	v_cmp_le_i32_e32 vcc, s37, v46
	v_cmp_gt_i32_e64 s[2:3], s38, v46
	s_and_b64 s[2:3], vcc, s[2:3]
	v_ldexp_f32 v19, v19, v21
	v_cmp_ngt_f32_e32 vcc, s52, v17
	v_ashrrev_i32_e32 v21, 31, v20
	v_cndmask_b32_e32 v19, 0, v19, vcc
	v_cmp_nlt_f32_e32 vcc, s53, v17
	v_lshlrev_b64 v[48:49], 2, v[20:21]
	v_cndmask_b32_e32 v47, v43, v19, vcc
	v_mov_b32_e32 v17, s35
	v_add_co_u32_e32 v48, vcc, s34, v48
	v_addc_co_u32_e32 v49, vcc, v17, v49, vcc
	v_ashrrev_i32_e32 v19, 31, v18
	global_store_dword v[48:49], v47, off
	v_subrev_u32_e32 v17, s37, v46
	s_and_b64 vcc, s[46:47], s[2:3]
	v_lshlrev_b64 v[48:49], 2, v[18:19]
	v_cndmask_b32_e32 v17, v44, v17, vcc
	s_waitcnt lgkmcnt(0)
	v_mov_b32_e32 v19, s41
	v_add_co_u32_e32 v48, vcc, s40, v48
	v_addc_co_u32_e32 v49, vcc, v19, v49, vcc
	global_store_dword v[48:49], v17, off
	v_ashrrev_i32_e32 v17, 31, v16
	v_lshlrev_b64 v[48:49], 2, v[16:17]
	v_mov_b32_e32 v17, s43
	v_add_co_u32_e32 v48, vcc, s42, v48
	v_addc_co_u32_e32 v49, vcc, v17, v49, vcc
	v_add_f32_e32 v23, v23, v47
	global_store_dword v[48:49], v42, off
.LBB189_16:                             ;   in Loop: Header=BB189_14 Depth=1
	s_or_b64 exec, exec, s[4:5]
	v_ashrrev_i32_e32 v17, 31, v46
	v_lshrrev_b32_e32 v19, 28, v17
	v_add_u32_e32 v19, v46, v19
	v_ashrrev_i32_e32 v19, 4, v19
	v_lshrrev_b32_e32 v21, 28, v19
	v_add_u32_e32 v21, v19, v21
	v_and_b32_e32 v21, -16, v21
	v_sub_u32_e32 v21, v19, v21
	v_cmp_eq_u32_e32 vcc, v25, v21
	s_and_saveexec_b64 s[48:49], vcc
	s_cbranch_execz .LBB189_13
; %bb.17:                               ;   in Loop: Header=BB189_14 Depth=1
	v_add_u32_sdwa v17, v46, v17 dst_sel:DWORD dst_unused:UNUSED_PAD src0_sel:DWORD src1_sel:BYTE_3
	v_lshlrev_b32_e32 v19, 4, v19
	v_sub_u32_e32 v19, v46, v19
	v_ashrrev_i32_e32 v17, 8, v17
	v_lshl_add_u32 v17, v17, 4, v19
	v_cmp_ne_u32_e32 vcc, 14, v17
	v_cmp_ne_u32_e64 s[2:3], 13, v17
	v_cmp_ne_u32_e64 s[4:5], 12, v17
	v_cmp_ne_u32_e64 s[6:7], 11, v17
	v_cmp_ne_u32_e64 s[8:9], 10, v17
	v_cmp_ne_u32_e64 s[10:11], 9, v17
	v_cmp_ne_u32_e64 s[12:13], 8, v17
	v_cmp_ne_u32_e64 s[14:15], 7, v17
	v_cmp_ne_u32_e64 s[16:17], 6, v17
	v_cmp_ne_u32_e64 s[18:19], 5, v17
	v_cmp_ne_u32_e64 s[20:21], 4, v17
	v_cmp_ne_u32_e64 s[22:23], 3, v17
	v_cmp_ne_u32_e64 s[24:25], 2, v17
	v_cmp_ne_u32_e64 s[26:27], 1, v17
	v_cmp_ne_u32_e64 s[28:29], 0, v17
	v_cmp_ne_u32_e64 s[30:31], 15, v17
	v_cndmask_b32_e64 v15, v45, v15, s[30:31]
	v_cndmask_b32_e32 v14, v45, v14, vcc
	v_cndmask_b32_e64 v13, v45, v13, s[2:3]
	v_cndmask_b32_e64 v12, v45, v12, s[4:5]
	;; [unrolled: 1-line block ×14, first 2 shown]
	s_branch .LBB189_13
.LBB189_18:
	v_sub_f32_e32 v0, v0, v24
	s_mov_b32 s4, 0x3fb8aa3b
	v_mul_f32_e32 v16, 0x3fb8aa3b, v0
	v_fma_f32 v17, v0, s4, -v16
	v_rndne_f32_e32 v18, v16
	v_fmac_f32_e32 v17, 0x32a5705f, v0
	v_sub_f32_e32 v16, v16, v18
	v_add_f32_e32 v16, v16, v17
	v_exp_f32_e32 v16, v16
	v_cvt_i32_f32_e32 v17, v18
	v_sub_f32_e32 v1, v1, v24
	s_mov_b32 s6, 0xc2ce8ed0
	s_mov_b32 s5, 0x42b17218
	v_ldexp_f32 v16, v16, v17
	v_mul_f32_e32 v17, 0x3fb8aa3b, v1
	v_fma_f32 v18, v1, s4, -v17
	v_rndne_f32_e32 v19, v17
	v_fmac_f32_e32 v18, 0x32a5705f, v1
	v_sub_f32_e32 v17, v17, v19
	v_add_f32_e32 v17, v17, v18
	v_exp_f32_e32 v17, v17
	v_cvt_i32_f32_e32 v18, v19
	v_cmp_ngt_f32_e32 vcc, s6, v1
	v_cmp_ngt_f32_e64 s[2:3], s6, v0
	v_sub_f32_e32 v2, v2, v24
	v_ldexp_f32 v17, v17, v18
	v_cndmask_b32_e32 v17, 0, v17, vcc
	v_mov_b32_e32 v18, 0x7f800000
	v_cmp_nlt_f32_e32 vcc, s5, v1
	v_cndmask_b32_e64 v1, 0, v16, s[2:3]
	v_cmp_nlt_f32_e64 s[2:3], s5, v0
	v_cndmask_b32_e64 v0, v18, v1, s[2:3]
	v_cndmask_b32_e32 v1, v18, v17, vcc
	v_add_f32_e32 v0, v0, v1
	v_mul_f32_e32 v1, 0x3fb8aa3b, v2
	v_fma_f32 v16, v2, s4, -v1
	v_rndne_f32_e32 v17, v1
	v_fmac_f32_e32 v16, 0x32a5705f, v2
	v_sub_f32_e32 v1, v1, v17
	v_add_f32_e32 v1, v1, v16
	v_exp_f32_e32 v1, v1
	v_cvt_i32_f32_e32 v16, v17
	v_cmp_ngt_f32_e32 vcc, s6, v2
	v_sub_f32_e32 v3, v3, v24
	v_sub_f32_e32 v4, v4, v24
	v_ldexp_f32 v1, v1, v16
	v_cndmask_b32_e32 v1, 0, v1, vcc
	v_cmp_nlt_f32_e32 vcc, s5, v2
	v_cndmask_b32_e32 v1, v18, v1, vcc
	v_add_f32_e32 v0, v0, v1
	v_mul_f32_e32 v1, 0x3fb8aa3b, v3
	v_fma_f32 v2, v3, s4, -v1
	v_rndne_f32_e32 v16, v1
	v_fmac_f32_e32 v2, 0x32a5705f, v3
	v_sub_f32_e32 v1, v1, v16
	v_add_f32_e32 v1, v1, v2
	v_exp_f32_e32 v1, v1
	v_cvt_i32_f32_e32 v2, v16
	v_cmp_ngt_f32_e32 vcc, s6, v3
	v_sub_f32_e32 v5, v5, v24
	v_sub_f32_e32 v6, v6, v24
	v_ldexp_f32 v1, v1, v2
	v_cndmask_b32_e32 v1, 0, v1, vcc
	v_cmp_nlt_f32_e32 vcc, s5, v3
	;; [unrolled: 16-line block ×4, first 2 shown]
	v_cndmask_b32_e32 v1, v18, v1, vcc
	v_add_f32_e32 v0, v0, v1
	v_mul_f32_e32 v1, 0x3fb8aa3b, v6
	v_fma_f32 v2, v6, s4, -v1
	v_rndne_f32_e32 v3, v1
	v_fmac_f32_e32 v2, 0x32a5705f, v6
	v_sub_f32_e32 v1, v1, v3
	v_add_f32_e32 v1, v1, v2
	v_exp_f32_e32 v1, v1
	v_cvt_i32_f32_e32 v2, v3
	v_cmp_ngt_f32_e32 vcc, s6, v6
	v_sub_f32_e32 v11, v11, v24
	v_sub_f32_e32 v12, v12, v24
	v_ldexp_f32 v1, v1, v2
	v_mul_f32_e32 v2, 0x3fb8aa3b, v7
	v_fma_f32 v3, v7, s4, -v2
	v_rndne_f32_e32 v4, v2
	v_fmac_f32_e32 v3, 0x32a5705f, v7
	v_sub_f32_e32 v2, v2, v4
	v_add_f32_e32 v2, v2, v3
	v_exp_f32_e32 v2, v2
	v_cvt_i32_f32_e32 v3, v4
	v_cndmask_b32_e32 v1, 0, v1, vcc
	v_cmp_nlt_f32_e32 vcc, s5, v6
	v_cndmask_b32_e32 v1, v18, v1, vcc
	v_add_f32_e32 v0, v0, v1
	v_ldexp_f32 v1, v2, v3
	v_mul_f32_e32 v2, 0x3fb8aa3b, v8
	v_fma_f32 v3, v8, s4, -v2
	v_rndne_f32_e32 v4, v2
	v_fmac_f32_e32 v3, 0x32a5705f, v8
	v_sub_f32_e32 v2, v2, v4
	v_add_f32_e32 v2, v2, v3
	v_exp_f32_e32 v2, v2
	v_cvt_i32_f32_e32 v3, v4
	v_cmp_ngt_f32_e32 vcc, s6, v7
	v_cndmask_b32_e32 v1, 0, v1, vcc
	v_cmp_nlt_f32_e32 vcc, s5, v7
	v_cndmask_b32_e32 v1, v18, v1, vcc
	v_add_f32_e32 v0, v0, v1
	v_ldexp_f32 v1, v2, v3
	v_mul_f32_e32 v2, 0x3fb8aa3b, v9
	v_fma_f32 v3, v9, s4, -v2
	v_rndne_f32_e32 v4, v2
	v_fmac_f32_e32 v3, 0x32a5705f, v9
	v_sub_f32_e32 v2, v2, v4
	v_add_f32_e32 v2, v2, v3
	v_exp_f32_e32 v2, v2
	v_cvt_i32_f32_e32 v3, v4
	v_cmp_ngt_f32_e32 vcc, s6, v8
	;; [unrolled: 14-line block ×5, first 2 shown]
	v_cndmask_b32_e32 v1, 0, v1, vcc
	v_cmp_nlt_f32_e32 vcc, s5, v11
	v_cndmask_b32_e32 v1, v18, v1, vcc
	v_add_f32_e32 v0, v0, v1
	v_ldexp_f32 v1, v2, v3
	v_sub_f32_e32 v2, v13, v24
	v_mul_f32_e32 v3, 0x3fb8aa3b, v2
	v_fma_f32 v4, v2, s4, -v3
	v_rndne_f32_e32 v5, v3
	v_fmac_f32_e32 v4, 0x32a5705f, v2
	v_sub_f32_e32 v3, v3, v5
	v_add_f32_e32 v3, v3, v4
	v_exp_f32_e32 v3, v3
	v_cvt_i32_f32_e32 v4, v5
	v_cmp_ngt_f32_e32 vcc, s6, v12
	v_cndmask_b32_e32 v1, 0, v1, vcc
	v_cmp_nlt_f32_e32 vcc, s5, v12
	v_cndmask_b32_e32 v1, v18, v1, vcc
	v_add_f32_e32 v0, v0, v1
	v_ldexp_f32 v1, v3, v4
	v_sub_f32_e32 v3, v14, v24
	v_mul_f32_e32 v4, 0x3fb8aa3b, v3
	v_fma_f32 v5, v3, s4, -v4
	v_rndne_f32_e32 v6, v4
	v_fmac_f32_e32 v5, 0x32a5705f, v3
	v_sub_f32_e32 v4, v4, v6
	v_add_f32_e32 v4, v4, v5
	v_exp_f32_e32 v4, v4
	v_cvt_i32_f32_e32 v5, v6
	v_cmp_ngt_f32_e32 vcc, s6, v2
	v_cndmask_b32_e32 v1, 0, v1, vcc
	v_cmp_nlt_f32_e32 vcc, s5, v2
	v_cndmask_b32_e32 v1, v18, v1, vcc
	v_sub_f32_e32 v2, v15, v24
	v_add_f32_e32 v0, v0, v1
	v_ldexp_f32 v1, v4, v5
	v_mul_f32_e32 v4, 0x3fb8aa3b, v2
	v_fma_f32 v5, v2, s4, -v4
	v_rndne_f32_e32 v6, v4
	v_fmac_f32_e32 v5, 0x32a5705f, v2
	v_sub_f32_e32 v4, v4, v6
	v_add_f32_e32 v4, v4, v5
	v_exp_f32_e32 v4, v4
	v_cvt_i32_f32_e32 v5, v6
	v_cmp_ngt_f32_e32 vcc, s6, v3
	v_cndmask_b32_e32 v1, 0, v1, vcc
	v_cmp_nlt_f32_e32 vcc, s5, v3
	v_cndmask_b32_e32 v1, v18, v1, vcc
	v_add_f32_e32 v0, v0, v1
	v_ldexp_f32 v1, v4, v5
	v_cmp_ngt_f32_e32 vcc, s6, v2
	v_cndmask_b32_e32 v1, 0, v1, vcc
	v_cmp_nlt_f32_e32 vcc, s5, v2
	v_cndmask_b32_e32 v1, v18, v1, vcc
	v_add_f32_e32 v0, v0, v1
	s_nop 1
	v_mov_b32_dpp v1, v0 quad_perm:[1,0,3,2] row_mask:0xf bank_mask:0xf
	v_add_f32_e32 v0, v0, v1
	s_nop 1
	v_mov_b32_dpp v1, v0 quad_perm:[2,3,0,1] row_mask:0xf bank_mask:0xf
	v_add_f32_e32 v0, v0, v1
	s_nop 1
	v_mov_b32_dpp v1, v0 row_half_mirror row_mask:0xf bank_mask:0xf
	v_add_f32_e32 v0, v0, v1
	s_nop 1
	v_mov_b32_dpp v1, v0 row_mirror row_mask:0xf bank_mask:0xf
	s_and_b64 exec, exec, s[0:1]
	s_cbranch_execz .LBB189_31
; %bb.19:
	v_add_f32_e32 v0, v0, v1
	v_add_f32_e32 v0, v23, v0
	v_cmp_neq_f32_e32 vcc, 0, v0
	s_and_b64 exec, exec, vcc
	s_cbranch_execz .LBB189_31
; %bb.20:
	s_andn2_b64 vcc, exec, s[44:45]
	s_cbranch_vccnz .LBB189_31
; %bb.21:
	v_div_scale_f32 v1, s[0:1], v0, v0, 1.0
	v_rcp_f32_e32 v2, v1
	v_div_scale_f32 v3, vcc, 1.0, v0, 1.0
	s_cmp_gt_u32 s36, 3
	v_fma_f32 v4, -v1, v2, 1.0
	v_fmac_f32_e32 v2, v4, v2
	v_mul_f32_e32 v4, v3, v2
	v_fma_f32 v5, -v1, v4, v3
	v_fmac_f32_e32 v4, v5, v2
	v_fma_f32 v1, -v1, v4, v3
	v_div_fmas_f32 v1, v1, v2, v4
	v_mul_lo_u32 v2, v22, s39
	v_div_fixup_f32 v0, v1, v0, 1.0
	v_ashrrev_i32_e32 v3, 31, v2
	s_cbranch_scc0 .LBB189_25
; %bb.22:
	v_lshlrev_b64 v[4:5], 2, v[2:3]
	v_mov_b32_e32 v6, s35
	v_add_co_u32_e32 v4, vcc, s34, v4
	v_addc_co_u32_e32 v5, vcc, v5, v6, vcc
	s_and_b32 s4, s36, 0x7ffffffc
	v_add_co_u32_e32 v4, vcc, 8, v4
	v_mov_b32_e32 v1, v0
	v_addc_co_u32_e32 v5, vcc, 0, v5, vcc
	s_mov_b32 s0, s4
.LBB189_23:                             ; =>This Inner Loop Header: Depth=1
	global_load_dwordx4 v[6:9], v[4:5], off offset:-8
	s_add_i32 s0, s0, -4
	s_cmp_lg_u32 s0, 0
	s_waitcnt vmcnt(0)
	v_pk_mul_f32 v[6:7], v[0:1], v[6:7]
	v_pk_mul_f32 v[8:9], v[0:1], v[8:9]
	global_store_dwordx4 v[4:5], v[6:9], off offset:-8
	v_add_co_u32_e32 v4, vcc, 16, v4
	v_addc_co_u32_e32 v5, vcc, 0, v5, vcc
	s_cbranch_scc1 .LBB189_23
; %bb.24:
	s_cmp_lg_u32 s4, s36
	s_mov_b64 s[2:3], 0
	s_cselect_b64 s[0:1], -1, 0
	s_branch .LBB189_26
.LBB189_25:
	s_mov_b64 s[2:3], -1
	s_mov_b64 s[0:1], 0
                                        ; implicit-def: $sgpr4
.LBB189_26:
	s_and_b64 vcc, exec, s[2:3]
	s_cbranch_vccz .LBB189_28
; %bb.27:
	s_mov_b64 s[0:1], -1
	s_mov_b32 s4, 0
.LBB189_28:
	s_andn2_b64 vcc, exec, s[0:1]
	s_cbranch_vccnz .LBB189_31
; %bb.29:
	v_add_co_u32_e32 v2, vcc, s4, v2
	v_addc_co_u32_e32 v3, vcc, 0, v3, vcc
	v_lshlrev_b64 v[2:3], 2, v[2:3]
	v_mov_b32_e32 v1, s35
	v_add_co_u32_e32 v2, vcc, s34, v2
	s_sub_i32 s0, s36, s4
	v_addc_co_u32_e32 v3, vcc, v1, v3, vcc
.LBB189_30:                             ; =>This Inner Loop Header: Depth=1
	global_load_dword v1, v[2:3], off
	s_add_i32 s0, s0, -1
	s_cmp_lg_u32 s0, 0
	s_waitcnt vmcnt(0)
	v_mul_f32_e32 v1, v0, v1
	global_store_dword v[2:3], v1, off
	v_add_co_u32_e32 v2, vcc, 4, v2
	v_addc_co_u32_e32 v3, vcc, 0, v3, vcc
	s_cbranch_scc1 .LBB189_30
.LBB189_31:
	s_endpgm
	.section	.rodata,"a",@progbits
	.p2align	6, 0x0
	.amdhsa_kernel _ZN4vllm3moe17topkGatingSoftmaxIDF16_Li16ELi256ELi8ELi32ELb0ELi1ELNS0_23SharedExpertScoringFuncE1EEEvPKT_PKbPfiPiS9_iiiiii
		.amdhsa_group_segment_fixed_size 0
		.amdhsa_private_segment_fixed_size 0
		.amdhsa_kernarg_size 72
		.amdhsa_user_sgpr_count 6
		.amdhsa_user_sgpr_private_segment_buffer 1
		.amdhsa_user_sgpr_dispatch_ptr 0
		.amdhsa_user_sgpr_queue_ptr 0
		.amdhsa_user_sgpr_kernarg_segment_ptr 1
		.amdhsa_user_sgpr_dispatch_id 0
		.amdhsa_user_sgpr_flat_scratch_init 0
		.amdhsa_user_sgpr_kernarg_preload_length 0
		.amdhsa_user_sgpr_kernarg_preload_offset 0
		.amdhsa_user_sgpr_private_segment_size 0
		.amdhsa_uses_dynamic_stack 0
		.amdhsa_system_sgpr_private_segment_wavefront_offset 0
		.amdhsa_system_sgpr_workgroup_id_x 1
		.amdhsa_system_sgpr_workgroup_id_y 0
		.amdhsa_system_sgpr_workgroup_id_z 0
		.amdhsa_system_sgpr_workgroup_info 0
		.amdhsa_system_vgpr_workitem_id 1
		.amdhsa_next_free_vgpr 50
		.amdhsa_next_free_sgpr 54
		.amdhsa_accum_offset 52
		.amdhsa_reserve_vcc 1
		.amdhsa_reserve_flat_scratch 0
		.amdhsa_float_round_mode_32 0
		.amdhsa_float_round_mode_16_64 0
		.amdhsa_float_denorm_mode_32 3
		.amdhsa_float_denorm_mode_16_64 3
		.amdhsa_dx10_clamp 1
		.amdhsa_ieee_mode 1
		.amdhsa_fp16_overflow 0
		.amdhsa_tg_split 0
		.amdhsa_exception_fp_ieee_invalid_op 0
		.amdhsa_exception_fp_denorm_src 0
		.amdhsa_exception_fp_ieee_div_zero 0
		.amdhsa_exception_fp_ieee_overflow 0
		.amdhsa_exception_fp_ieee_underflow 0
		.amdhsa_exception_fp_ieee_inexact 0
		.amdhsa_exception_int_div_zero 0
	.end_amdhsa_kernel
	.section	.text._ZN4vllm3moe17topkGatingSoftmaxIDF16_Li16ELi256ELi8ELi32ELb0ELi1ELNS0_23SharedExpertScoringFuncE1EEEvPKT_PKbPfiPiS9_iiiiii,"axG",@progbits,_ZN4vllm3moe17topkGatingSoftmaxIDF16_Li16ELi256ELi8ELi32ELb0ELi1ELNS0_23SharedExpertScoringFuncE1EEEvPKT_PKbPfiPiS9_iiiiii,comdat
.Lfunc_end189:
	.size	_ZN4vllm3moe17topkGatingSoftmaxIDF16_Li16ELi256ELi8ELi32ELb0ELi1ELNS0_23SharedExpertScoringFuncE1EEEvPKT_PKbPfiPiS9_iiiiii, .Lfunc_end189-_ZN4vllm3moe17topkGatingSoftmaxIDF16_Li16ELi256ELi8ELi32ELb0ELi1ELNS0_23SharedExpertScoringFuncE1EEEvPKT_PKbPfiPiS9_iiiiii
                                        ; -- End function
	.section	.AMDGPU.csdata,"",@progbits
; Kernel info:
; codeLenInByte = 4452
; NumSgprs: 58
; NumVgprs: 50
; NumAgprs: 0
; TotalNumVgprs: 50
; ScratchSize: 0
; MemoryBound: 0
; FloatMode: 240
; IeeeMode: 1
; LDSByteSize: 0 bytes/workgroup (compile time only)
; SGPRBlocks: 7
; VGPRBlocks: 6
; NumSGPRsForWavesPerEU: 58
; NumVGPRsForWavesPerEU: 50
; AccumOffset: 52
; Occupancy: 8
; WaveLimiterHint : 0
; COMPUTE_PGM_RSRC2:SCRATCH_EN: 0
; COMPUTE_PGM_RSRC2:USER_SGPR: 6
; COMPUTE_PGM_RSRC2:TRAP_HANDLER: 0
; COMPUTE_PGM_RSRC2:TGID_X_EN: 1
; COMPUTE_PGM_RSRC2:TGID_Y_EN: 0
; COMPUTE_PGM_RSRC2:TGID_Z_EN: 0
; COMPUTE_PGM_RSRC2:TIDIG_COMP_CNT: 1
; COMPUTE_PGM_RSRC3_GFX90A:ACCUM_OFFSET: 12
; COMPUTE_PGM_RSRC3_GFX90A:TG_SPLIT: 0
	.section	.text._ZN4vllm3moe17topkGatingSoftmaxIDF16_Li16ELi256ELi8ELi32ELb1ELi2ELNS0_23SharedExpertScoringFuncE1EEEvPKT_PKbPfiPiS9_iiiiii,"axG",@progbits,_ZN4vllm3moe17topkGatingSoftmaxIDF16_Li16ELi256ELi8ELi32ELb1ELi2ELNS0_23SharedExpertScoringFuncE1EEEvPKT_PKbPfiPiS9_iiiiii,comdat
	.protected	_ZN4vllm3moe17topkGatingSoftmaxIDF16_Li16ELi256ELi8ELi32ELb1ELi2ELNS0_23SharedExpertScoringFuncE1EEEvPKT_PKbPfiPiS9_iiiiii ; -- Begin function _ZN4vllm3moe17topkGatingSoftmaxIDF16_Li16ELi256ELi8ELi32ELb1ELi2ELNS0_23SharedExpertScoringFuncE1EEEvPKT_PKbPfiPiS9_iiiiii
	.globl	_ZN4vllm3moe17topkGatingSoftmaxIDF16_Li16ELi256ELi8ELi32ELb1ELi2ELNS0_23SharedExpertScoringFuncE1EEEvPKT_PKbPfiPiS9_iiiiii
	.p2align	8
	.type	_ZN4vllm3moe17topkGatingSoftmaxIDF16_Li16ELi256ELi8ELi32ELb1ELi2ELNS0_23SharedExpertScoringFuncE1EEEvPKT_PKbPfiPiS9_iiiiii,@function
_ZN4vllm3moe17topkGatingSoftmaxIDF16_Li16ELi256ELi8ELi32ELb1ELi2ELNS0_23SharedExpertScoringFuncE1EEEvPKT_PKbPfiPiS9_iiiiii: ; @_ZN4vllm3moe17topkGatingSoftmaxIDF16_Li16ELi256ELi8ELi32ELb1ELi2ELNS0_23SharedExpertScoringFuncE1EEEvPKT_PKbPfiPiS9_iiiiii
; %bb.0:
	s_load_dword s33, s[4:5], 0x18
	v_bfe_u32 v1, v0, 10, 10
	v_and_b32_e32 v0, 0x3ff, v0
	s_lshl_b32 s50, s6, 5
	v_lshlrev_b32_e32 v41, 2, v1
	v_lshrrev_b32_e32 v42, 4, v0
	v_add3_u32 v22, s50, v41, v42
	s_waitcnt lgkmcnt(0)
	v_cmp_gt_i32_e32 vcc, s33, v22
	s_and_saveexec_b64 s[0:1], vcc
	s_cbranch_execz .LBB190_29
; %bb.1:
	s_load_dwordx4 s[0:3], s[4:5], 0x0
	s_load_dwordx2 s[34:35], s[4:5], 0x10
	s_waitcnt lgkmcnt(0)
	s_cmp_eq_u64 s[2:3], 0
	s_cbranch_scc1 .LBB190_3
; %bb.2:
	v_ashrrev_i32_e32 v1, 31, v22
	v_mov_b32_e32 v3, s3
	v_add_co_u32_e32 v2, vcc, s2, v22
	v_addc_co_u32_e32 v3, vcc, v3, v1, vcc
	global_load_ubyte v1, v[2:3], off
	s_waitcnt vmcnt(0)
	v_and_b32_e32 v1, 1, v1
	v_cmp_eq_u32_e32 vcc, 1, v1
	s_xor_b64 s[2:3], vcc, -1
	s_orn2_b64 s[44:45], s[2:3], exec
	s_branch .LBB190_4
.LBB190_3:
	s_mov_b64 s[44:45], -1
.LBB190_4:
	s_load_dwordx2 s[8:9], s[4:5], 0x40
	s_load_dwordx4 s[36:39], s[4:5], 0x30
	v_mov_b32_e32 v4, s1
	v_and_b32_e32 v23, 15, v0
	v_lshlrev_b32_e32 v0, 5, v23
	s_waitcnt lgkmcnt(0)
	v_mul_lo_u32 v2, v22, s9
	v_ashrrev_i32_e32 v3, 31, v2
	v_lshlrev_b64 v[2:3], 1, v[2:3]
	v_add_co_u32_e32 v1, vcc, s0, v2
	v_addc_co_u32_e32 v2, vcc, v4, v3, vcc
	v_add_co_u32_e32 v8, vcc, v1, v0
	v_addc_co_u32_e32 v9, vcc, 0, v2, vcc
	global_load_dwordx4 v[12:15], v[8:9], off offset:16
	global_load_dwordx4 v[4:7], v[8:9], off
	v_lshlrev_b32_e32 v25, 4, v23
	v_mov_b32_e32 v24, 0
	v_cmp_gt_u32_e32 vcc, 2, v23
	s_and_saveexec_b64 s[0:1], vcc
	s_cbranch_execz .LBB190_6
; %bb.5:
	v_lshlrev_b32_e32 v0, 1, v23
	v_add_co_u32_e32 v0, vcc, v1, v0
	v_addc_co_u32_e32 v1, vcc, 0, v2, vcc
	global_load_ushort v0, v[0:1], off offset:512
	s_mov_b32 s2, 0x3fb8aa3b
	s_mov_b32 s3, 0x32a5705f
	;; [unrolled: 1-line block ×4, first 2 shown]
	v_mov_b32_e32 v3, 0x7f800000
	v_mul_lo_u32 v1, v22, s39
	s_waitcnt vmcnt(0)
	v_cvt_f32_f16_e64 v2, -v0
	v_mul_f32_e32 v8, 0x3fb8aa3b, v2
	v_fma_mix_f32 v9, -v0, s2, -v8 op_sel_hi:[1,0,0]
	v_rndne_f32_e32 v10, v8
	v_fma_mix_f32 v0, -v0, s3, v9 op_sel_hi:[1,0,0]
	v_sub_f32_e32 v8, v8, v10
	v_add_f32_e32 v0, v8, v0
	v_cvt_i32_f32_e32 v9, v10
	v_exp_f32_e32 v8, v0
	v_cmp_ngt_f32_e32 vcc, s6, v2
	v_add3_u32 v0, v1, s36, v23
	v_ashrrev_i32_e32 v1, 31, v0
	v_ldexp_f32 v8, v8, v9
	v_cndmask_b32_e32 v8, 0, v8, vcc
	v_cmp_nlt_f32_e32 vcc, s7, v2
	v_cndmask_b32_e32 v2, v3, v8, vcc
	v_add_f32_e32 v2, 1.0, v2
	v_div_scale_f32 v3, s[2:3], v2, v2, 1.0
	v_rcp_f32_e32 v8, v3
	v_div_scale_f32 v9, vcc, 1.0, v2, 1.0
	v_lshlrev_b64 v[0:1], 2, v[0:1]
	v_fma_f32 v11, -v3, v8, 1.0
	v_fmac_f32_e32 v8, v11, v8
	v_mul_f32_e32 v11, v9, v8
	v_fma_f32 v16, -v3, v11, v9
	v_fmac_f32_e32 v11, v16, v8
	v_fma_f32 v3, -v3, v11, v9
	v_mov_b32_e32 v10, s35
	v_div_fmas_f32 v3, v3, v8, v11
	v_add_co_u32_e32 v0, vcc, s34, v0
	v_div_fixup_f32 v2, v3, v2, 1.0
	v_addc_co_u32_e32 v1, vcc, v10, v1, vcc
	global_store_dword v[0:1], v2, off
.LBB190_6:
	s_or_b64 exec, exec, s[0:1]
	s_waitcnt vmcnt(0)
	v_cvt_f32_f16_e32 v0, v4
	v_cvt_f32_f16_sdwa v1, v4 dst_sel:DWORD dst_unused:UNUSED_PAD src0_sel:WORD_1
	v_cvt_f32_f16_e32 v2, v5
	v_cmp_lt_f16_sdwa vcc, v4, v4 src0_sel:DWORD src1_sel:WORD_1
	v_or_b32_e32 v26, 1, v25
	v_cndmask_b32_e32 v4, v0, v1, vcc
	v_cndmask_b32_e32 v3, v25, v26, vcc
	v_or_b32_e32 v27, 2, v25
	v_cmp_lt_f32_e32 vcc, v4, v2
	v_cndmask_b32_e32 v8, v3, v27, vcc
	v_cvt_f32_f16_sdwa v3, v5 dst_sel:DWORD dst_unused:UNUSED_PAD src0_sel:WORD_1
	v_cndmask_b32_e32 v4, v4, v2, vcc
	v_or_b32_e32 v28, 3, v25
	v_or_b32_e32 v29, 4, v25
	v_cmp_lt_f32_e32 vcc, v4, v3
	v_cndmask_b32_e32 v5, v8, v28, vcc
	v_cndmask_b32_e32 v8, v4, v3, vcc
	v_cvt_f32_f16_e32 v4, v6
	v_or_b32_e32 v30, 5, v25
	v_or_b32_e32 v31, 6, v25
	;; [unrolled: 1-line block ×3, first 2 shown]
	v_cmp_lt_f32_e32 vcc, v8, v4
	v_cndmask_b32_e32 v9, v5, v29, vcc
	v_cvt_f32_f16_sdwa v5, v6 dst_sel:DWORD dst_unused:UNUSED_PAD src0_sel:WORD_1
	v_cvt_f32_f16_e32 v6, v7
	v_cndmask_b32_e32 v8, v8, v4, vcc
	v_cvt_f32_f16_sdwa v7, v7 dst_sel:DWORD dst_unused:UNUSED_PAD src0_sel:WORD_1
	v_cmp_lt_f32_e32 vcc, v8, v5
	v_cndmask_b32_e32 v8, v8, v5, vcc
	v_cndmask_b32_e32 v9, v9, v30, vcc
	v_cmp_lt_f32_e32 vcc, v8, v6
	v_cndmask_b32_e32 v8, v8, v6, vcc
	v_cndmask_b32_e32 v9, v9, v31, vcc
	v_cmp_lt_f32_e32 vcc, v8, v7
	v_cndmask_b32_e32 v10, v8, v7, vcc
	v_cvt_f32_f16_e32 v8, v12
	v_cndmask_b32_e32 v9, v9, v32, vcc
	v_or_b32_e32 v33, 8, v25
	v_or_b32_e32 v34, 9, v25
	v_cmp_lt_f32_e32 vcc, v10, v8
	v_cndmask_b32_e32 v11, v9, v33, vcc
	v_cvt_f32_f16_sdwa v9, v12 dst_sel:DWORD dst_unused:UNUSED_PAD src0_sel:WORD_1
	v_cndmask_b32_e32 v10, v10, v8, vcc
	v_or_b32_e32 v35, 10, v25
	v_or_b32_e32 v36, 11, v25
	v_cmp_lt_f32_e32 vcc, v10, v9
	v_cndmask_b32_e32 v12, v10, v9, vcc
	v_cvt_f32_f16_e32 v10, v13
	v_cndmask_b32_e32 v11, v11, v34, vcc
	v_or_b32_e32 v37, 12, v25
	v_or_b32_e32 v38, 13, v25
	v_cmp_lt_f32_e32 vcc, v12, v10
	v_cndmask_b32_e32 v16, v11, v35, vcc
	v_cvt_f32_f16_sdwa v11, v13 dst_sel:DWORD dst_unused:UNUSED_PAD src0_sel:WORD_1
	v_cndmask_b32_e32 v12, v12, v10, vcc
	v_or_b32_e32 v39, 14, v25
	v_or_b32_e32 v40, 15, v25
	v_cmp_lt_f32_e32 vcc, v12, v11
	v_cndmask_b32_e32 v13, v16, v36, vcc
	v_cndmask_b32_e32 v16, v12, v11, vcc
	v_cvt_f32_f16_e32 v12, v14
	v_cmp_lt_f32_e32 vcc, v16, v12
	v_cndmask_b32_e32 v17, v13, v37, vcc
	v_cvt_f32_f16_sdwa v13, v14 dst_sel:DWORD dst_unused:UNUSED_PAD src0_sel:WORD_1
	v_cvt_f32_f16_e32 v14, v15
	v_cndmask_b32_e32 v16, v16, v12, vcc
	v_cvt_f32_f16_sdwa v15, v15 dst_sel:DWORD dst_unused:UNUSED_PAD src0_sel:WORD_1
	v_cmp_lt_f32_e32 vcc, v16, v13
	v_cndmask_b32_e32 v16, v16, v13, vcc
	v_cndmask_b32_e32 v17, v17, v38, vcc
	v_cmp_lt_f32_e32 vcc, v16, v14
	v_cndmask_b32_e32 v16, v16, v14, vcc
	v_cndmask_b32_e32 v17, v17, v39, vcc
	;; [unrolled: 3-line block ×3, first 2 shown]
	s_nop 0
	v_mov_b32_dpp v19, v17 quad_perm:[1,0,3,2] row_mask:0xf bank_mask:0xf
	v_mov_b32_dpp v18, v16 quad_perm:[1,0,3,2] row_mask:0xf bank_mask:0xf
	v_cmp_eq_f32_e64 s[0:1], v16, v18
	v_cmp_lt_i32_e64 s[2:3], v19, v17
	v_cmp_lt_f32_e32 vcc, v16, v18
	s_and_b64 s[0:1], s[0:1], s[2:3]
	s_or_b64 vcc, vcc, s[0:1]
	v_cndmask_b32_e32 v16, v16, v18, vcc
	v_cndmask_b32_e32 v17, v17, v19, vcc
	s_nop 0
	v_mov_b32_dpp v18, v16 quad_perm:[2,3,0,1] row_mask:0xf bank_mask:0xf
	v_mov_b32_dpp v19, v17 quad_perm:[2,3,0,1] row_mask:0xf bank_mask:0xf
	v_cmp_eq_f32_e64 s[0:1], v16, v18
	v_cmp_lt_i32_e64 s[2:3], v19, v17
	v_cmp_lt_f32_e32 vcc, v16, v18
	s_and_b64 s[0:1], s[0:1], s[2:3]
	s_or_b64 vcc, vcc, s[0:1]
	v_cndmask_b32_e32 v16, v16, v18, vcc
	v_cndmask_b32_e32 v17, v17, v19, vcc
	s_nop 0
	v_mov_b32_dpp v18, v16 row_half_mirror row_mask:0xf bank_mask:0xf
	v_mov_b32_dpp v19, v17 row_half_mirror row_mask:0xf bank_mask:0xf
	v_cmp_eq_f32_e64 s[0:1], v16, v18
	v_cmp_lt_i32_e64 s[2:3], v19, v17
	v_cmp_lt_f32_e32 vcc, v16, v18
	s_and_b64 s[0:1], s[0:1], s[2:3]
	s_or_b64 vcc, vcc, s[0:1]
	v_cndmask_b32_e32 v16, v16, v18, vcc
	v_cndmask_b32_e32 v17, v17, v19, vcc
	s_cmp_gt_i32 s36, 0
	s_cselect_b64 s[46:47], -1, 0
	s_cmp_lt_i32 s36, 1
	v_cmp_eq_u32_e32 vcc, 0, v23
	v_mov_b32_dpp v18, v17 row_mirror row_mask:0xf bank_mask:0xf
	v_mov_b32_dpp v19, v16 row_mirror row_mask:0xf bank_mask:0xf
	s_cbranch_scc1 .LBB190_18
; %bb.7:
	s_load_dwordx4 s[40:43], s[4:5], 0x20
	v_cmp_eq_f32_e64 s[2:3], v16, v19
	v_cmp_lt_i32_e64 s[6:7], v18, v17
	v_cmp_lt_f32_e64 s[0:1], v16, v19
	s_and_b64 s[2:3], s[2:3], s[6:7]
	s_or_b64 s[0:1], s[0:1], s[2:3]
	v_cndmask_b32_e64 v44, v17, v18, s[0:1]
	v_cndmask_b32_e64 v43, v16, v19, s[0:1]
	v_mul_lo_u32 v20, v22, s39
	v_mul_lo_u32 v18, v22, s8
	;; [unrolled: 1-line block ×3, first 2 shown]
	v_mov_b32_e32 v24, 0
	s_and_saveexec_b64 s[4:5], vcc
	s_cbranch_execz .LBB190_9
; %bb.8:
	v_sub_f32_e32 v17, v43, v43
	v_mul_f32_e32 v19, 0x3fb8aa3b, v17
	s_mov_b32 s0, 0x3fb8aa3b
	v_rndne_f32_e32 v21, v19
	v_sub_f32_e32 v24, v19, v21
	v_fma_f32 v19, v17, s0, -v19
	v_fmac_f32_e32 v19, 0x32a5705f, v17
	v_add_f32_e32 v19, v24, v19
	v_exp_f32_e32 v19, v19
	v_cvt_i32_f32_e32 v21, v21
	v_cmp_le_i32_e64 s[0:1], s37, v44
	v_cmp_gt_i32_e64 s[2:3], s38, v44
	s_and_b64 s[2:3], s[0:1], s[2:3]
	s_mov_b32 s0, 0xc2ce8ed0
	v_ldexp_f32 v19, v19, v21
	v_cmp_ngt_f32_e64 s[0:1], s0, v17
	v_cndmask_b32_e64 v19, 0, v19, s[0:1]
	s_mov_b32 s0, 0x42b17218
	v_mov_b32_e32 v21, 0x7f800000
	v_cmp_nlt_f32_e64 s[0:1], s0, v17
	v_cndmask_b32_e64 v24, v21, v19, s[0:1]
	v_ashrrev_i32_e32 v21, 31, v20
	v_lshlrev_b64 v[46:47], 2, v[20:21]
	v_mov_b32_e32 v17, s35
	v_add_co_u32_e64 v46, s[0:1], s34, v46
	v_addc_co_u32_e64 v47, s[0:1], v17, v47, s[0:1]
	v_subrev_u32_e32 v17, s37, v44
	v_mov_b32_e32 v19, 0x100
	s_and_b64 s[0:1], s[44:45], s[2:3]
	v_cndmask_b32_e64 v17, v19, v17, s[0:1]
	v_ashrrev_i32_e32 v19, 31, v18
	global_store_dword v[46:47], v24, off
	v_lshlrev_b64 v[46:47], 2, v[18:19]
	s_waitcnt lgkmcnt(0)
	v_mov_b32_e32 v19, s41
	v_add_co_u32_e64 v46, s[0:1], s40, v46
	v_addc_co_u32_e64 v47, s[0:1], v19, v47, s[0:1]
	global_store_dword v[46:47], v17, off
	v_ashrrev_i32_e32 v17, 31, v16
	v_lshlrev_b64 v[46:47], 2, v[16:17]
	v_mov_b32_e32 v17, s43
	v_add_co_u32_e64 v46, s[0:1], s42, v46
	v_addc_co_u32_e64 v47, s[0:1], v17, v47, s[0:1]
	global_store_dword v[46:47], v22, off
.LBB190_9:
	s_or_b64 exec, exec, s[4:5]
	v_ashrrev_i32_e32 v17, 31, v44
	v_lshrrev_b32_e32 v19, 28, v17
	v_add_u32_e32 v19, v44, v19
	v_ashrrev_i32_e32 v19, 4, v19
	v_lshrrev_b32_e32 v21, 28, v19
	v_add_u32_e32 v21, v19, v21
	v_and_b32_e32 v21, -16, v21
	v_sub_u32_e32 v21, v19, v21
	v_cmp_eq_u32_e64 s[0:1], v23, v21
	s_and_saveexec_b64 s[48:49], s[0:1]
	s_cbranch_execz .LBB190_11
; %bb.10:
	v_add_u32_sdwa v17, v44, v17 dst_sel:DWORD dst_unused:UNUSED_PAD src0_sel:DWORD src1_sel:BYTE_3
	v_lshlrev_b32_e32 v19, 4, v19
	v_sub_u32_e32 v19, v44, v19
	v_ashrrev_i32_e32 v17, 8, v17
	v_lshl_add_u32 v17, v17, 4, v19
	v_mov_b32_e32 v19, 0xff800000
	v_cmp_ne_u32_e64 s[0:1], 14, v17
	v_cmp_ne_u32_e64 s[2:3], 13, v17
	;; [unrolled: 1-line block ×16, first 2 shown]
	v_cndmask_b32_e64 v15, v19, v15, s[30:31]
	v_cndmask_b32_e64 v14, v19, v14, s[0:1]
	;; [unrolled: 1-line block ×16, first 2 shown]
.LBB190_11:
	s_or_b64 exec, exec, s[48:49]
	s_cmp_eq_u32 s36, 1
	s_cbranch_scc1 .LBB190_18
; %bb.12:
	s_add_i32 s50, s50, s33
	s_add_i32 s51, s36, -1
	v_add3_u32 v41, s50, v42, v41
	v_add_u32_e32 v16, 1, v16
	v_add_u32_e32 v18, 1, v18
	v_add_u32_e32 v20, 1, v20
	s_mov_b32 s50, 0x3fb8aa3b
	s_mov_b32 s52, 0xc2ce8ed0
	;; [unrolled: 1-line block ×3, first 2 shown]
	v_mov_b32_e32 v42, 0x7f800000
	v_mov_b32_e32 v44, 0x100
	;; [unrolled: 1-line block ×3, first 2 shown]
	s_branch .LBB190_14
.LBB190_13:                             ;   in Loop: Header=BB190_14 Depth=1
	s_or_b64 exec, exec, s[48:49]
	s_add_i32 s51, s51, -1
	v_add_u32_e32 v41, s33, v41
	v_add_u32_e32 v16, 1, v16
	;; [unrolled: 1-line block ×3, first 2 shown]
	s_cmp_eq_u32 s51, 0
	v_add_u32_e32 v20, 1, v20
	s_cbranch_scc1 .LBB190_18
.LBB190_14:                             ; =>This Inner Loop Header: Depth=1
	v_cmp_gt_f32_e64 s[0:1], v1, v0
	v_cndmask_b32_e64 v19, v0, v1, s[0:1]
	v_cndmask_b32_e64 v17, v25, v26, s[0:1]
	v_cmp_gt_f32_e64 s[0:1], v2, v19
	v_cndmask_b32_e64 v19, v19, v2, s[0:1]
	v_cndmask_b32_e64 v17, v17, v27, s[0:1]
	;; [unrolled: 3-line block ×15, first 2 shown]
	s_nop 0
	v_mov_b32_dpp v46, v17 quad_perm:[1,0,3,2] row_mask:0xf bank_mask:0xf
	v_mov_b32_dpp v21, v19 quad_perm:[1,0,3,2] row_mask:0xf bank_mask:0xf
	v_cmp_eq_f32_e64 s[2:3], v19, v21
	v_cmp_lt_i32_e64 s[4:5], v46, v17
	v_cmp_lt_f32_e64 s[0:1], v19, v21
	s_and_b64 s[2:3], s[2:3], s[4:5]
	s_or_b64 s[0:1], s[0:1], s[2:3]
	v_cndmask_b32_e64 v19, v19, v21, s[0:1]
	v_cndmask_b32_e64 v17, v17, v46, s[0:1]
	s_nop 0
	v_mov_b32_dpp v21, v19 quad_perm:[2,3,0,1] row_mask:0xf bank_mask:0xf
	v_mov_b32_dpp v46, v17 quad_perm:[2,3,0,1] row_mask:0xf bank_mask:0xf
	v_cmp_eq_f32_e64 s[2:3], v19, v21
	v_cmp_lt_i32_e64 s[4:5], v46, v17
	v_cmp_lt_f32_e64 s[0:1], v19, v21
	s_and_b64 s[2:3], s[2:3], s[4:5]
	s_or_b64 s[0:1], s[0:1], s[2:3]
	v_cndmask_b32_e64 v19, v19, v21, s[0:1]
	v_cndmask_b32_e64 v21, v17, v46, s[0:1]
	s_nop 0
	v_mov_b32_dpp v17, v19 row_half_mirror row_mask:0xf bank_mask:0xf
	v_mov_b32_dpp v46, v21 row_half_mirror row_mask:0xf bank_mask:0xf
	v_cmp_eq_f32_e64 s[2:3], v19, v17
	v_cmp_lt_i32_e64 s[4:5], v46, v21
	v_cmp_lt_f32_e64 s[0:1], v19, v17
	s_and_b64 s[2:3], s[2:3], s[4:5]
	s_or_b64 s[0:1], s[0:1], s[2:3]
	v_cndmask_b32_e64 v17, v19, v17, s[0:1]
	v_cndmask_b32_e64 v21, v21, v46, s[0:1]
	s_nop 0
	v_mov_b32_dpp v19, v17 row_mirror row_mask:0xf bank_mask:0xf
	v_mov_b32_dpp v46, v21 row_mirror row_mask:0xf bank_mask:0xf
	v_cmp_eq_f32_e64 s[2:3], v17, v19
	v_cmp_lt_i32_e64 s[4:5], v46, v21
	v_cmp_lt_f32_e64 s[0:1], v17, v19
	s_and_b64 s[2:3], s[2:3], s[4:5]
	s_or_b64 s[0:1], s[0:1], s[2:3]
	v_cndmask_b32_e64 v46, v21, v46, s[0:1]
	s_and_saveexec_b64 s[4:5], vcc
	s_cbranch_execz .LBB190_16
; %bb.15:                               ;   in Loop: Header=BB190_14 Depth=1
	v_cndmask_b32_e64 v17, v17, v19, s[0:1]
	v_sub_f32_e32 v17, v17, v43
	v_mul_f32_e32 v19, 0x3fb8aa3b, v17
	v_fma_f32 v21, v17, s50, -v19
	v_rndne_f32_e32 v47, v19
	v_fmac_f32_e32 v21, 0x32a5705f, v17
	v_sub_f32_e32 v19, v19, v47
	v_add_f32_e32 v19, v19, v21
	v_exp_f32_e32 v19, v19
	v_cvt_i32_f32_e32 v21, v47
	v_cmp_le_i32_e64 s[0:1], s37, v46
	v_cmp_gt_i32_e64 s[2:3], s38, v46
	s_and_b64 s[2:3], s[0:1], s[2:3]
	v_ldexp_f32 v19, v19, v21
	v_cmp_ngt_f32_e64 s[0:1], s52, v17
	v_ashrrev_i32_e32 v21, 31, v20
	v_cndmask_b32_e64 v19, 0, v19, s[0:1]
	v_cmp_nlt_f32_e64 s[0:1], s53, v17
	v_lshlrev_b64 v[48:49], 2, v[20:21]
	v_cndmask_b32_e64 v47, v42, v19, s[0:1]
	v_mov_b32_e32 v17, s35
	v_add_co_u32_e64 v48, s[0:1], s34, v48
	v_addc_co_u32_e64 v49, s[0:1], v17, v49, s[0:1]
	v_ashrrev_i32_e32 v19, 31, v18
	global_store_dword v[48:49], v47, off
	v_subrev_u32_e32 v17, s37, v46
	s_and_b64 s[0:1], s[44:45], s[2:3]
	v_lshlrev_b64 v[48:49], 2, v[18:19]
	v_cndmask_b32_e64 v17, v44, v17, s[0:1]
	s_waitcnt lgkmcnt(0)
	v_mov_b32_e32 v19, s41
	v_add_co_u32_e64 v48, s[0:1], s40, v48
	v_addc_co_u32_e64 v49, s[0:1], v19, v49, s[0:1]
	global_store_dword v[48:49], v17, off
	v_ashrrev_i32_e32 v17, 31, v16
	v_lshlrev_b64 v[48:49], 2, v[16:17]
	v_mov_b32_e32 v17, s43
	v_add_co_u32_e64 v48, s[0:1], s42, v48
	v_addc_co_u32_e64 v49, s[0:1], v17, v49, s[0:1]
	v_add_f32_e32 v24, v24, v47
	global_store_dword v[48:49], v41, off
.LBB190_16:                             ;   in Loop: Header=BB190_14 Depth=1
	s_or_b64 exec, exec, s[4:5]
	v_ashrrev_i32_e32 v17, 31, v46
	v_lshrrev_b32_e32 v19, 28, v17
	v_add_u32_e32 v19, v46, v19
	v_ashrrev_i32_e32 v19, 4, v19
	v_lshrrev_b32_e32 v21, 28, v19
	v_add_u32_e32 v21, v19, v21
	v_and_b32_e32 v21, -16, v21
	v_sub_u32_e32 v21, v19, v21
	v_cmp_eq_u32_e64 s[0:1], v23, v21
	s_and_saveexec_b64 s[48:49], s[0:1]
	s_cbranch_execz .LBB190_13
; %bb.17:                               ;   in Loop: Header=BB190_14 Depth=1
	v_add_u32_sdwa v17, v46, v17 dst_sel:DWORD dst_unused:UNUSED_PAD src0_sel:DWORD src1_sel:BYTE_3
	v_lshlrev_b32_e32 v19, 4, v19
	v_sub_u32_e32 v19, v46, v19
	v_ashrrev_i32_e32 v17, 8, v17
	v_lshl_add_u32 v17, v17, 4, v19
	v_cmp_ne_u32_e64 s[0:1], 14, v17
	v_cmp_ne_u32_e64 s[2:3], 13, v17
	;; [unrolled: 1-line block ×16, first 2 shown]
	v_cndmask_b32_e64 v15, v45, v15, s[30:31]
	v_cndmask_b32_e64 v14, v45, v14, s[0:1]
	;; [unrolled: 1-line block ×16, first 2 shown]
	s_branch .LBB190_13
.LBB190_18:
	v_cmp_eq_u32_e32 vcc, 0, v23
	v_cmp_neq_f32_e64 s[0:1], 0, v24
	s_and_b64 s[0:1], vcc, s[0:1]
	s_and_b64 exec, exec, s[0:1]
	s_cbranch_execz .LBB190_29
; %bb.19:
	s_andn2_b64 vcc, exec, s[46:47]
	s_cbranch_vccnz .LBB190_29
; %bb.20:
	v_div_scale_f32 v0, s[0:1], v24, v24, 1.0
	v_rcp_f32_e32 v1, v0
	v_div_scale_f32 v2, vcc, 1.0, v24, 1.0
	s_cmp_gt_u32 s36, 3
	v_fma_f32 v3, -v0, v1, 1.0
	v_fmac_f32_e32 v1, v3, v1
	v_mul_f32_e32 v3, v2, v1
	v_fma_f32 v4, -v0, v3, v2
	v_fmac_f32_e32 v3, v4, v1
	v_fma_f32 v0, -v0, v3, v2
	v_div_fmas_f32 v0, v0, v1, v3
	v_mul_lo_u32 v2, v22, s39
	v_div_fixup_f32 v0, v0, v24, 1.0
	v_ashrrev_i32_e32 v3, 31, v2
	s_cbranch_scc0 .LBB190_24
; %bb.21:
	v_lshlrev_b64 v[4:5], 2, v[2:3]
	v_mov_b32_e32 v6, s35
	v_add_co_u32_e32 v4, vcc, s34, v4
	v_addc_co_u32_e32 v5, vcc, v5, v6, vcc
	s_and_b32 s4, s36, 0x7ffffffc
	v_add_co_u32_e32 v4, vcc, 8, v4
	v_mov_b32_e32 v1, v0
	v_addc_co_u32_e32 v5, vcc, 0, v5, vcc
	s_mov_b32 s0, s4
.LBB190_22:                             ; =>This Inner Loop Header: Depth=1
	global_load_dwordx4 v[6:9], v[4:5], off offset:-8
	s_add_i32 s0, s0, -4
	s_cmp_lg_u32 s0, 0
	s_waitcnt vmcnt(0)
	v_pk_mul_f32 v[6:7], v[0:1], v[6:7]
	v_pk_mul_f32 v[8:9], v[0:1], v[8:9]
	global_store_dwordx4 v[4:5], v[6:9], off offset:-8
	v_add_co_u32_e32 v4, vcc, 16, v4
	v_addc_co_u32_e32 v5, vcc, 0, v5, vcc
	s_cbranch_scc1 .LBB190_22
; %bb.23:
	s_cmp_lg_u32 s4, s36
	s_cselect_b64 s[0:1], -1, 0
	s_branch .LBB190_26
.LBB190_24:
	s_mov_b64 s[0:1], 0
                                        ; implicit-def: $sgpr4
	s_cbranch_execz .LBB190_26
; %bb.25:
	s_mov_b64 s[0:1], -1
	s_mov_b32 s4, 0
.LBB190_26:
	s_andn2_b64 vcc, exec, s[0:1]
	s_cbranch_vccnz .LBB190_29
; %bb.27:
	v_add_co_u32_e32 v2, vcc, s4, v2
	v_addc_co_u32_e32 v3, vcc, 0, v3, vcc
	v_lshlrev_b64 v[2:3], 2, v[2:3]
	v_mov_b32_e32 v1, s35
	v_add_co_u32_e32 v2, vcc, s34, v2
	s_sub_i32 s0, s36, s4
	v_addc_co_u32_e32 v3, vcc, v1, v3, vcc
.LBB190_28:                             ; =>This Inner Loop Header: Depth=1
	global_load_dword v1, v[2:3], off
	s_add_i32 s0, s0, -1
	s_cmp_lg_u32 s0, 0
	s_waitcnt vmcnt(0)
	v_mul_f32_e32 v1, v0, v1
	global_store_dword v[2:3], v1, off
	v_add_co_u32_e32 v2, vcc, 4, v2
	v_addc_co_u32_e32 v3, vcc, 0, v3, vcc
	s_cbranch_scc1 .LBB190_28
.LBB190_29:
	s_endpgm
	.section	.rodata,"a",@progbits
	.p2align	6, 0x0
	.amdhsa_kernel _ZN4vllm3moe17topkGatingSoftmaxIDF16_Li16ELi256ELi8ELi32ELb1ELi2ELNS0_23SharedExpertScoringFuncE1EEEvPKT_PKbPfiPiS9_iiiiii
		.amdhsa_group_segment_fixed_size 0
		.amdhsa_private_segment_fixed_size 0
		.amdhsa_kernarg_size 72
		.amdhsa_user_sgpr_count 6
		.amdhsa_user_sgpr_private_segment_buffer 1
		.amdhsa_user_sgpr_dispatch_ptr 0
		.amdhsa_user_sgpr_queue_ptr 0
		.amdhsa_user_sgpr_kernarg_segment_ptr 1
		.amdhsa_user_sgpr_dispatch_id 0
		.amdhsa_user_sgpr_flat_scratch_init 0
		.amdhsa_user_sgpr_kernarg_preload_length 0
		.amdhsa_user_sgpr_kernarg_preload_offset 0
		.amdhsa_user_sgpr_private_segment_size 0
		.amdhsa_uses_dynamic_stack 0
		.amdhsa_system_sgpr_private_segment_wavefront_offset 0
		.amdhsa_system_sgpr_workgroup_id_x 1
		.amdhsa_system_sgpr_workgroup_id_y 0
		.amdhsa_system_sgpr_workgroup_id_z 0
		.amdhsa_system_sgpr_workgroup_info 0
		.amdhsa_system_vgpr_workitem_id 1
		.amdhsa_next_free_vgpr 50
		.amdhsa_next_free_sgpr 54
		.amdhsa_accum_offset 52
		.amdhsa_reserve_vcc 1
		.amdhsa_reserve_flat_scratch 0
		.amdhsa_float_round_mode_32 0
		.amdhsa_float_round_mode_16_64 0
		.amdhsa_float_denorm_mode_32 3
		.amdhsa_float_denorm_mode_16_64 3
		.amdhsa_dx10_clamp 1
		.amdhsa_ieee_mode 1
		.amdhsa_fp16_overflow 0
		.amdhsa_tg_split 0
		.amdhsa_exception_fp_ieee_invalid_op 0
		.amdhsa_exception_fp_denorm_src 0
		.amdhsa_exception_fp_ieee_div_zero 0
		.amdhsa_exception_fp_ieee_overflow 0
		.amdhsa_exception_fp_ieee_underflow 0
		.amdhsa_exception_fp_ieee_inexact 0
		.amdhsa_exception_int_div_zero 0
	.end_amdhsa_kernel
	.section	.text._ZN4vllm3moe17topkGatingSoftmaxIDF16_Li16ELi256ELi8ELi32ELb1ELi2ELNS0_23SharedExpertScoringFuncE1EEEvPKT_PKbPfiPiS9_iiiiii,"axG",@progbits,_ZN4vllm3moe17topkGatingSoftmaxIDF16_Li16ELi256ELi8ELi32ELb1ELi2ELNS0_23SharedExpertScoringFuncE1EEEvPKT_PKbPfiPiS9_iiiiii,comdat
.Lfunc_end190:
	.size	_ZN4vllm3moe17topkGatingSoftmaxIDF16_Li16ELi256ELi8ELi32ELb1ELi2ELNS0_23SharedExpertScoringFuncE1EEEvPKT_PKbPfiPiS9_iiiiii, .Lfunc_end190-_ZN4vllm3moe17topkGatingSoftmaxIDF16_Li16ELi256ELi8ELi32ELb1ELi2ELNS0_23SharedExpertScoringFuncE1EEEvPKT_PKbPfiPiS9_iiiiii
                                        ; -- End function
	.section	.AMDGPU.csdata,"",@progbits
; Kernel info:
; codeLenInByte = 3480
; NumSgprs: 58
; NumVgprs: 50
; NumAgprs: 0
; TotalNumVgprs: 50
; ScratchSize: 0
; MemoryBound: 0
; FloatMode: 240
; IeeeMode: 1
; LDSByteSize: 0 bytes/workgroup (compile time only)
; SGPRBlocks: 7
; VGPRBlocks: 6
; NumSGPRsForWavesPerEU: 58
; NumVGPRsForWavesPerEU: 50
; AccumOffset: 52
; Occupancy: 8
; WaveLimiterHint : 0
; COMPUTE_PGM_RSRC2:SCRATCH_EN: 0
; COMPUTE_PGM_RSRC2:USER_SGPR: 6
; COMPUTE_PGM_RSRC2:TRAP_HANDLER: 0
; COMPUTE_PGM_RSRC2:TGID_X_EN: 1
; COMPUTE_PGM_RSRC2:TGID_Y_EN: 0
; COMPUTE_PGM_RSRC2:TGID_Z_EN: 0
; COMPUTE_PGM_RSRC2:TIDIG_COMP_CNT: 1
; COMPUTE_PGM_RSRC3_GFX90A:ACCUM_OFFSET: 12
; COMPUTE_PGM_RSRC3_GFX90A:TG_SPLIT: 0
	.section	.text._ZN4vllm3moe17topkGatingSoftmaxIDF16_Li16ELi256ELi8ELi32ELb0ELi2ELNS0_23SharedExpertScoringFuncE1EEEvPKT_PKbPfiPiS9_iiiiii,"axG",@progbits,_ZN4vllm3moe17topkGatingSoftmaxIDF16_Li16ELi256ELi8ELi32ELb0ELi2ELNS0_23SharedExpertScoringFuncE1EEEvPKT_PKbPfiPiS9_iiiiii,comdat
	.protected	_ZN4vllm3moe17topkGatingSoftmaxIDF16_Li16ELi256ELi8ELi32ELb0ELi2ELNS0_23SharedExpertScoringFuncE1EEEvPKT_PKbPfiPiS9_iiiiii ; -- Begin function _ZN4vllm3moe17topkGatingSoftmaxIDF16_Li16ELi256ELi8ELi32ELb0ELi2ELNS0_23SharedExpertScoringFuncE1EEEvPKT_PKbPfiPiS9_iiiiii
	.globl	_ZN4vllm3moe17topkGatingSoftmaxIDF16_Li16ELi256ELi8ELi32ELb0ELi2ELNS0_23SharedExpertScoringFuncE1EEEvPKT_PKbPfiPiS9_iiiiii
	.p2align	8
	.type	_ZN4vllm3moe17topkGatingSoftmaxIDF16_Li16ELi256ELi8ELi32ELb0ELi2ELNS0_23SharedExpertScoringFuncE1EEEvPKT_PKbPfiPiS9_iiiiii,@function
_ZN4vllm3moe17topkGatingSoftmaxIDF16_Li16ELi256ELi8ELi32ELb0ELi2ELNS0_23SharedExpertScoringFuncE1EEEvPKT_PKbPfiPiS9_iiiiii: ; @_ZN4vllm3moe17topkGatingSoftmaxIDF16_Li16ELi256ELi8ELi32ELb0ELi2ELNS0_23SharedExpertScoringFuncE1EEEvPKT_PKbPfiPiS9_iiiiii
; %bb.0:
	s_load_dword s33, s[4:5], 0x18
	v_bfe_u32 v1, v0, 10, 10
	v_and_b32_e32 v0, 0x3ff, v0
	s_lshl_b32 s50, s6, 5
	v_lshlrev_b32_e32 v42, 2, v1
	v_lshrrev_b32_e32 v43, 4, v0
	v_add3_u32 v22, s50, v42, v43
	s_waitcnt lgkmcnt(0)
	v_cmp_gt_i32_e32 vcc, s33, v22
	s_and_saveexec_b64 s[0:1], vcc
	s_cbranch_execz .LBB191_31
; %bb.1:
	s_load_dwordx4 s[0:3], s[4:5], 0x0
	s_load_dwordx2 s[34:35], s[4:5], 0x10
	s_waitcnt lgkmcnt(0)
	s_cmp_eq_u64 s[2:3], 0
	s_cbranch_scc1 .LBB191_3
; %bb.2:
	v_ashrrev_i32_e32 v1, 31, v22
	v_mov_b32_e32 v3, s3
	v_add_co_u32_e32 v2, vcc, s2, v22
	v_addc_co_u32_e32 v3, vcc, v3, v1, vcc
	global_load_ubyte v1, v[2:3], off
	s_waitcnt vmcnt(0)
	v_and_b32_e32 v1, 1, v1
	v_cmp_eq_u32_e32 vcc, 1, v1
	s_xor_b64 s[2:3], vcc, -1
	s_orn2_b64 s[46:47], s[2:3], exec
	s_branch .LBB191_4
.LBB191_3:
	s_mov_b64 s[46:47], -1
.LBB191_4:
	s_load_dwordx2 s[6:7], s[4:5], 0x40
	s_load_dwordx4 s[36:39], s[4:5], 0x30
	v_mov_b32_e32 v4, s1
	v_and_b32_e32 v23, 15, v0
	v_lshlrev_b32_e32 v0, 5, v23
	s_waitcnt lgkmcnt(0)
	v_mul_lo_u32 v2, v22, s7
	v_ashrrev_i32_e32 v3, 31, v2
	v_lshlrev_b64 v[2:3], 1, v[2:3]
	v_add_co_u32_e32 v1, vcc, s0, v2
	v_addc_co_u32_e32 v2, vcc, v4, v3, vcc
	v_add_co_u32_e32 v8, vcc, v1, v0
	v_addc_co_u32_e32 v9, vcc, 0, v2, vcc
	global_load_dwordx4 v[12:15], v[8:9], off offset:16
	global_load_dwordx4 v[4:7], v[8:9], off
	v_lshlrev_b32_e32 v26, 4, v23
	v_mov_b32_e32 v24, 0
	v_cmp_gt_u32_e32 vcc, 2, v23
	s_and_saveexec_b64 s[0:1], vcc
	s_cbranch_execz .LBB191_6
; %bb.5:
	v_lshlrev_b32_e32 v0, 1, v23
	v_add_co_u32_e32 v0, vcc, v1, v0
	v_addc_co_u32_e32 v1, vcc, 0, v2, vcc
	global_load_ushort v0, v[0:1], off offset:512
	s_mov_b32 s2, 0x3fb8aa3b
	s_mov_b32 s3, 0x32a5705f
	;; [unrolled: 1-line block ×4, first 2 shown]
	v_mov_b32_e32 v3, 0x7f800000
	v_mul_lo_u32 v1, v22, s39
	s_waitcnt vmcnt(0)
	v_cvt_f32_f16_e64 v2, -v0
	v_mul_f32_e32 v8, 0x3fb8aa3b, v2
	v_fma_mix_f32 v9, -v0, s2, -v8 op_sel_hi:[1,0,0]
	v_rndne_f32_e32 v10, v8
	v_fma_mix_f32 v0, -v0, s3, v9 op_sel_hi:[1,0,0]
	v_sub_f32_e32 v8, v8, v10
	v_add_f32_e32 v0, v8, v0
	v_cvt_i32_f32_e32 v9, v10
	v_exp_f32_e32 v8, v0
	v_cmp_ngt_f32_e32 vcc, s7, v2
	v_add3_u32 v0, v1, s36, v23
	v_ashrrev_i32_e32 v1, 31, v0
	v_ldexp_f32 v8, v8, v9
	v_cndmask_b32_e32 v8, 0, v8, vcc
	v_cmp_nlt_f32_e32 vcc, s8, v2
	v_cndmask_b32_e32 v2, v3, v8, vcc
	v_add_f32_e32 v2, 1.0, v2
	v_div_scale_f32 v3, s[2:3], v2, v2, 1.0
	v_rcp_f32_e32 v8, v3
	v_div_scale_f32 v9, vcc, 1.0, v2, 1.0
	v_lshlrev_b64 v[0:1], 2, v[0:1]
	v_fma_f32 v11, -v3, v8, 1.0
	v_fmac_f32_e32 v8, v11, v8
	v_mul_f32_e32 v11, v9, v8
	v_fma_f32 v16, -v3, v11, v9
	v_fmac_f32_e32 v11, v16, v8
	v_fma_f32 v3, -v3, v11, v9
	v_mov_b32_e32 v10, s35
	v_div_fmas_f32 v3, v3, v8, v11
	v_add_co_u32_e32 v0, vcc, s34, v0
	v_div_fixup_f32 v2, v3, v2, 1.0
	v_addc_co_u32_e32 v1, vcc, v10, v1, vcc
	global_store_dword v[0:1], v2, off
.LBB191_6:
	s_or_b64 exec, exec, s[0:1]
	s_waitcnt vmcnt(0)
	v_cvt_f32_f16_e32 v0, v4
	v_cvt_f32_f16_sdwa v1, v4 dst_sel:DWORD dst_unused:UNUSED_PAD src0_sel:WORD_1
	v_cvt_f32_f16_e32 v2, v5
	v_cmp_lt_f16_sdwa vcc, v4, v4 src0_sel:DWORD src1_sel:WORD_1
	v_or_b32_e32 v27, 1, v26
	v_cndmask_b32_e32 v4, v0, v1, vcc
	v_cndmask_b32_e32 v3, v26, v27, vcc
	v_or_b32_e32 v28, 2, v26
	v_cmp_lt_f32_e32 vcc, v4, v2
	v_cndmask_b32_e32 v8, v3, v28, vcc
	v_cvt_f32_f16_sdwa v3, v5 dst_sel:DWORD dst_unused:UNUSED_PAD src0_sel:WORD_1
	v_cndmask_b32_e32 v4, v4, v2, vcc
	v_or_b32_e32 v29, 3, v26
	v_or_b32_e32 v30, 4, v26
	v_cmp_lt_f32_e32 vcc, v4, v3
	v_cndmask_b32_e32 v5, v8, v29, vcc
	v_cndmask_b32_e32 v8, v4, v3, vcc
	v_cvt_f32_f16_e32 v4, v6
	v_or_b32_e32 v31, 5, v26
	v_or_b32_e32 v32, 6, v26
	;; [unrolled: 1-line block ×3, first 2 shown]
	v_cmp_lt_f32_e32 vcc, v8, v4
	v_cndmask_b32_e32 v9, v5, v30, vcc
	v_cvt_f32_f16_sdwa v5, v6 dst_sel:DWORD dst_unused:UNUSED_PAD src0_sel:WORD_1
	v_cvt_f32_f16_e32 v6, v7
	v_cndmask_b32_e32 v8, v8, v4, vcc
	v_cvt_f32_f16_sdwa v7, v7 dst_sel:DWORD dst_unused:UNUSED_PAD src0_sel:WORD_1
	v_cmp_lt_f32_e32 vcc, v8, v5
	v_cndmask_b32_e32 v8, v8, v5, vcc
	v_cndmask_b32_e32 v9, v9, v31, vcc
	v_cmp_lt_f32_e32 vcc, v8, v6
	v_cndmask_b32_e32 v8, v8, v6, vcc
	v_cndmask_b32_e32 v9, v9, v32, vcc
	v_cmp_lt_f32_e32 vcc, v8, v7
	v_cndmask_b32_e32 v10, v8, v7, vcc
	v_cvt_f32_f16_e32 v8, v12
	v_cndmask_b32_e32 v9, v9, v33, vcc
	v_or_b32_e32 v34, 8, v26
	v_or_b32_e32 v35, 9, v26
	v_cmp_lt_f32_e32 vcc, v10, v8
	v_cndmask_b32_e32 v11, v9, v34, vcc
	v_cvt_f32_f16_sdwa v9, v12 dst_sel:DWORD dst_unused:UNUSED_PAD src0_sel:WORD_1
	v_cndmask_b32_e32 v10, v10, v8, vcc
	v_or_b32_e32 v36, 10, v26
	v_or_b32_e32 v37, 11, v26
	v_cmp_lt_f32_e32 vcc, v10, v9
	v_cndmask_b32_e32 v12, v10, v9, vcc
	v_cvt_f32_f16_e32 v10, v13
	v_cndmask_b32_e32 v11, v11, v35, vcc
	v_or_b32_e32 v38, 12, v26
	v_or_b32_e32 v39, 13, v26
	v_cmp_lt_f32_e32 vcc, v12, v10
	v_cndmask_b32_e32 v16, v11, v36, vcc
	v_cvt_f32_f16_sdwa v11, v13 dst_sel:DWORD dst_unused:UNUSED_PAD src0_sel:WORD_1
	v_cndmask_b32_e32 v12, v12, v10, vcc
	v_or_b32_e32 v40, 14, v26
	v_or_b32_e32 v41, 15, v26
	v_cmp_lt_f32_e32 vcc, v12, v11
	v_cndmask_b32_e32 v13, v16, v37, vcc
	v_cndmask_b32_e32 v16, v12, v11, vcc
	v_cvt_f32_f16_e32 v12, v14
	v_cmp_lt_f32_e32 vcc, v16, v12
	v_cndmask_b32_e32 v17, v13, v38, vcc
	v_cvt_f32_f16_sdwa v13, v14 dst_sel:DWORD dst_unused:UNUSED_PAD src0_sel:WORD_1
	v_cvt_f32_f16_e32 v14, v15
	v_cndmask_b32_e32 v16, v16, v12, vcc
	v_cvt_f32_f16_sdwa v15, v15 dst_sel:DWORD dst_unused:UNUSED_PAD src0_sel:WORD_1
	v_cmp_lt_f32_e32 vcc, v16, v13
	v_cndmask_b32_e32 v16, v16, v13, vcc
	v_cndmask_b32_e32 v17, v17, v39, vcc
	v_cmp_lt_f32_e32 vcc, v16, v14
	v_cndmask_b32_e32 v16, v16, v14, vcc
	v_cndmask_b32_e32 v17, v17, v40, vcc
	;; [unrolled: 3-line block ×3, first 2 shown]
	s_nop 0
	v_mov_b32_dpp v19, v17 quad_perm:[1,0,3,2] row_mask:0xf bank_mask:0xf
	v_mov_b32_dpp v18, v16 quad_perm:[1,0,3,2] row_mask:0xf bank_mask:0xf
	v_cmp_eq_f32_e64 s[0:1], v16, v18
	v_cmp_lt_i32_e64 s[2:3], v19, v17
	v_cmp_lt_f32_e32 vcc, v16, v18
	s_and_b64 s[0:1], s[0:1], s[2:3]
	s_or_b64 vcc, vcc, s[0:1]
	v_cndmask_b32_e32 v16, v16, v18, vcc
	v_cndmask_b32_e32 v17, v17, v19, vcc
	s_nop 0
	v_mov_b32_dpp v18, v16 quad_perm:[2,3,0,1] row_mask:0xf bank_mask:0xf
	v_mov_b32_dpp v19, v17 quad_perm:[2,3,0,1] row_mask:0xf bank_mask:0xf
	v_cmp_eq_f32_e64 s[0:1], v16, v18
	v_cmp_lt_i32_e64 s[2:3], v19, v17
	v_cmp_lt_f32_e32 vcc, v16, v18
	s_and_b64 s[0:1], s[0:1], s[2:3]
	s_or_b64 vcc, vcc, s[0:1]
	v_cndmask_b32_e32 v16, v16, v18, vcc
	v_cndmask_b32_e32 v17, v17, v19, vcc
	s_nop 0
	v_mov_b32_dpp v18, v16 row_half_mirror row_mask:0xf bank_mask:0xf
	v_mov_b32_dpp v19, v17 row_half_mirror row_mask:0xf bank_mask:0xf
	v_cmp_eq_f32_e64 s[0:1], v16, v18
	v_cmp_lt_i32_e64 s[2:3], v19, v17
	v_cmp_lt_f32_e32 vcc, v16, v18
	s_and_b64 s[0:1], s[0:1], s[2:3]
	s_or_b64 vcc, vcc, s[0:1]
	v_cndmask_b32_e32 v18, v16, v18, vcc
	v_cndmask_b32_e32 v16, v17, v19, vcc
	s_nop 0
	v_mov_b32_dpp v19, v18 row_mirror row_mask:0xf bank_mask:0xf
	v_mov_b32_dpp v17, v16 row_mirror row_mask:0xf bank_mask:0xf
	v_cmp_eq_f32_e64 s[0:1], v18, v19
	v_cmp_lt_i32_e64 s[2:3], v17, v16
	v_cmp_lt_f32_e32 vcc, v18, v19
	s_and_b64 s[0:1], s[0:1], s[2:3]
	s_or_b64 s[0:1], vcc, s[0:1]
	s_cmp_gt_i32 s36, 0
	v_cndmask_b32_e64 v25, v18, v19, s[0:1]
	s_cselect_b64 s[44:45], -1, 0
	s_cmp_lt_i32 s36, 1
	v_cmp_eq_u32_e32 vcc, 0, v23
	s_cbranch_scc1 .LBB191_18
; %bb.7:
	s_load_dwordx4 s[40:43], s[4:5], 0x20
	v_cndmask_b32_e64 v44, v16, v17, s[0:1]
	v_mul_lo_u32 v20, v22, s39
	v_mul_lo_u32 v18, v22, s6
	;; [unrolled: 1-line block ×3, first 2 shown]
	v_mov_b32_e32 v24, 0
	s_and_saveexec_b64 s[4:5], vcc
	s_cbranch_execz .LBB191_9
; %bb.8:
	v_sub_f32_e32 v17, v25, v25
	v_mul_f32_e32 v19, 0x3fb8aa3b, v17
	s_mov_b32 s0, 0x3fb8aa3b
	v_rndne_f32_e32 v21, v19
	v_sub_f32_e32 v24, v19, v21
	v_fma_f32 v19, v17, s0, -v19
	v_fmac_f32_e32 v19, 0x32a5705f, v17
	v_add_f32_e32 v19, v24, v19
	v_exp_f32_e32 v19, v19
	v_cvt_i32_f32_e32 v21, v21
	v_cmp_le_i32_e64 s[0:1], s37, v44
	v_cmp_gt_i32_e64 s[2:3], s38, v44
	s_and_b64 s[2:3], s[0:1], s[2:3]
	s_mov_b32 s0, 0xc2ce8ed0
	v_ldexp_f32 v19, v19, v21
	v_cmp_ngt_f32_e64 s[0:1], s0, v17
	v_cndmask_b32_e64 v19, 0, v19, s[0:1]
	s_mov_b32 s0, 0x42b17218
	v_mov_b32_e32 v21, 0x7f800000
	v_cmp_nlt_f32_e64 s[0:1], s0, v17
	v_cndmask_b32_e64 v24, v21, v19, s[0:1]
	v_ashrrev_i32_e32 v21, 31, v20
	v_lshlrev_b64 v[46:47], 2, v[20:21]
	v_mov_b32_e32 v17, s35
	v_add_co_u32_e64 v46, s[0:1], s34, v46
	v_addc_co_u32_e64 v47, s[0:1], v17, v47, s[0:1]
	v_subrev_u32_e32 v17, s37, v44
	v_mov_b32_e32 v19, 0x100
	s_and_b64 s[0:1], s[46:47], s[2:3]
	v_cndmask_b32_e64 v17, v19, v17, s[0:1]
	v_ashrrev_i32_e32 v19, 31, v18
	global_store_dword v[46:47], v24, off
	v_lshlrev_b64 v[46:47], 2, v[18:19]
	s_waitcnt lgkmcnt(0)
	v_mov_b32_e32 v19, s41
	v_add_co_u32_e64 v46, s[0:1], s40, v46
	v_addc_co_u32_e64 v47, s[0:1], v19, v47, s[0:1]
	global_store_dword v[46:47], v17, off
	v_ashrrev_i32_e32 v17, 31, v16
	v_lshlrev_b64 v[46:47], 2, v[16:17]
	v_mov_b32_e32 v17, s43
	v_add_co_u32_e64 v46, s[0:1], s42, v46
	v_addc_co_u32_e64 v47, s[0:1], v17, v47, s[0:1]
	global_store_dword v[46:47], v22, off
.LBB191_9:
	s_or_b64 exec, exec, s[4:5]
	v_ashrrev_i32_e32 v17, 31, v44
	v_lshrrev_b32_e32 v19, 28, v17
	v_add_u32_e32 v19, v44, v19
	v_ashrrev_i32_e32 v19, 4, v19
	v_lshrrev_b32_e32 v21, 28, v19
	v_add_u32_e32 v21, v19, v21
	v_and_b32_e32 v21, -16, v21
	v_sub_u32_e32 v21, v19, v21
	v_cmp_eq_u32_e64 s[0:1], v23, v21
	s_and_saveexec_b64 s[48:49], s[0:1]
	s_cbranch_execz .LBB191_11
; %bb.10:
	v_add_u32_sdwa v17, v44, v17 dst_sel:DWORD dst_unused:UNUSED_PAD src0_sel:DWORD src1_sel:BYTE_3
	v_lshlrev_b32_e32 v19, 4, v19
	v_sub_u32_e32 v19, v44, v19
	v_ashrrev_i32_e32 v17, 8, v17
	v_lshl_add_u32 v17, v17, 4, v19
	v_mov_b32_e32 v19, 0xff800000
	v_cmp_ne_u32_e64 s[0:1], 14, v17
	v_cmp_ne_u32_e64 s[2:3], 13, v17
	v_cmp_ne_u32_e64 s[4:5], 12, v17
	v_cmp_ne_u32_e64 s[6:7], 11, v17
	v_cmp_ne_u32_e64 s[8:9], 10, v17
	v_cmp_ne_u32_e64 s[10:11], 9, v17
	v_cmp_ne_u32_e64 s[12:13], 8, v17
	v_cmp_ne_u32_e64 s[14:15], 7, v17
	v_cmp_ne_u32_e64 s[16:17], 6, v17
	v_cmp_ne_u32_e64 s[18:19], 5, v17
	v_cmp_ne_u32_e64 s[20:21], 4, v17
	v_cmp_ne_u32_e64 s[22:23], 3, v17
	v_cmp_ne_u32_e64 s[24:25], 2, v17
	v_cmp_ne_u32_e64 s[26:27], 1, v17
	v_cmp_ne_u32_e64 s[28:29], 0, v17
	v_cmp_ne_u32_e64 s[30:31], 15, v17
	v_cndmask_b32_e64 v15, v19, v15, s[30:31]
	v_cndmask_b32_e64 v14, v19, v14, s[0:1]
	;; [unrolled: 1-line block ×16, first 2 shown]
.LBB191_11:
	s_or_b64 exec, exec, s[48:49]
	s_cmp_eq_u32 s36, 1
	s_cbranch_scc1 .LBB191_18
; %bb.12:
	s_add_i32 s50, s50, s33
	s_add_i32 s51, s36, -1
	v_add3_u32 v42, s50, v43, v42
	v_add_u32_e32 v16, 1, v16
	v_add_u32_e32 v18, 1, v18
	;; [unrolled: 1-line block ×3, first 2 shown]
	s_mov_b32 s50, 0x3fb8aa3b
	s_mov_b32 s52, 0xc2ce8ed0
	;; [unrolled: 1-line block ×3, first 2 shown]
	v_mov_b32_e32 v43, 0x7f800000
	v_mov_b32_e32 v44, 0x100
	v_mov_b32_e32 v45, 0xff800000
	s_branch .LBB191_14
.LBB191_13:                             ;   in Loop: Header=BB191_14 Depth=1
	s_or_b64 exec, exec, s[48:49]
	s_add_i32 s51, s51, -1
	v_add_u32_e32 v42, s33, v42
	v_add_u32_e32 v16, 1, v16
	v_add_u32_e32 v18, 1, v18
	s_cmp_eq_u32 s51, 0
	v_add_u32_e32 v20, 1, v20
	s_cbranch_scc1 .LBB191_18
.LBB191_14:                             ; =>This Inner Loop Header: Depth=1
	v_cmp_gt_f32_e64 s[0:1], v1, v0
	v_cndmask_b32_e64 v19, v0, v1, s[0:1]
	v_cndmask_b32_e64 v17, v26, v27, s[0:1]
	v_cmp_gt_f32_e64 s[0:1], v2, v19
	v_cndmask_b32_e64 v19, v19, v2, s[0:1]
	v_cndmask_b32_e64 v17, v17, v28, s[0:1]
	;; [unrolled: 3-line block ×15, first 2 shown]
	s_nop 0
	v_mov_b32_dpp v46, v17 quad_perm:[1,0,3,2] row_mask:0xf bank_mask:0xf
	v_mov_b32_dpp v21, v19 quad_perm:[1,0,3,2] row_mask:0xf bank_mask:0xf
	v_cmp_eq_f32_e64 s[2:3], v19, v21
	v_cmp_lt_i32_e64 s[4:5], v46, v17
	v_cmp_lt_f32_e64 s[0:1], v19, v21
	s_and_b64 s[2:3], s[2:3], s[4:5]
	s_or_b64 s[0:1], s[0:1], s[2:3]
	v_cndmask_b32_e64 v19, v19, v21, s[0:1]
	v_cndmask_b32_e64 v17, v17, v46, s[0:1]
	s_nop 0
	v_mov_b32_dpp v21, v19 quad_perm:[2,3,0,1] row_mask:0xf bank_mask:0xf
	v_mov_b32_dpp v46, v17 quad_perm:[2,3,0,1] row_mask:0xf bank_mask:0xf
	v_cmp_eq_f32_e64 s[2:3], v19, v21
	v_cmp_lt_i32_e64 s[4:5], v46, v17
	v_cmp_lt_f32_e64 s[0:1], v19, v21
	s_and_b64 s[2:3], s[2:3], s[4:5]
	s_or_b64 s[0:1], s[0:1], s[2:3]
	v_cndmask_b32_e64 v19, v19, v21, s[0:1]
	v_cndmask_b32_e64 v21, v17, v46, s[0:1]
	s_nop 0
	v_mov_b32_dpp v17, v19 row_half_mirror row_mask:0xf bank_mask:0xf
	v_mov_b32_dpp v46, v21 row_half_mirror row_mask:0xf bank_mask:0xf
	v_cmp_eq_f32_e64 s[2:3], v19, v17
	v_cmp_lt_i32_e64 s[4:5], v46, v21
	v_cmp_lt_f32_e64 s[0:1], v19, v17
	s_and_b64 s[2:3], s[2:3], s[4:5]
	s_or_b64 s[0:1], s[0:1], s[2:3]
	v_cndmask_b32_e64 v17, v19, v17, s[0:1]
	v_cndmask_b32_e64 v21, v21, v46, s[0:1]
	s_nop 0
	v_mov_b32_dpp v19, v17 row_mirror row_mask:0xf bank_mask:0xf
	v_mov_b32_dpp v46, v21 row_mirror row_mask:0xf bank_mask:0xf
	v_cmp_eq_f32_e64 s[2:3], v17, v19
	v_cmp_lt_i32_e64 s[4:5], v46, v21
	v_cmp_lt_f32_e64 s[0:1], v17, v19
	s_and_b64 s[2:3], s[2:3], s[4:5]
	s_or_b64 s[0:1], s[0:1], s[2:3]
	v_cndmask_b32_e64 v46, v21, v46, s[0:1]
	s_and_saveexec_b64 s[4:5], vcc
	s_cbranch_execz .LBB191_16
; %bb.15:                               ;   in Loop: Header=BB191_14 Depth=1
	v_cndmask_b32_e64 v17, v17, v19, s[0:1]
	v_sub_f32_e32 v17, v17, v25
	v_mul_f32_e32 v19, 0x3fb8aa3b, v17
	v_fma_f32 v21, v17, s50, -v19
	v_rndne_f32_e32 v47, v19
	v_fmac_f32_e32 v21, 0x32a5705f, v17
	v_sub_f32_e32 v19, v19, v47
	v_add_f32_e32 v19, v19, v21
	v_exp_f32_e32 v19, v19
	v_cvt_i32_f32_e32 v21, v47
	v_cmp_le_i32_e64 s[0:1], s37, v46
	v_cmp_gt_i32_e64 s[2:3], s38, v46
	s_and_b64 s[2:3], s[0:1], s[2:3]
	v_ldexp_f32 v19, v19, v21
	v_cmp_ngt_f32_e64 s[0:1], s52, v17
	v_ashrrev_i32_e32 v21, 31, v20
	v_cndmask_b32_e64 v19, 0, v19, s[0:1]
	v_cmp_nlt_f32_e64 s[0:1], s53, v17
	v_lshlrev_b64 v[48:49], 2, v[20:21]
	v_cndmask_b32_e64 v47, v43, v19, s[0:1]
	v_mov_b32_e32 v17, s35
	v_add_co_u32_e64 v48, s[0:1], s34, v48
	v_addc_co_u32_e64 v49, s[0:1], v17, v49, s[0:1]
	v_ashrrev_i32_e32 v19, 31, v18
	global_store_dword v[48:49], v47, off
	v_subrev_u32_e32 v17, s37, v46
	s_and_b64 s[0:1], s[46:47], s[2:3]
	v_lshlrev_b64 v[48:49], 2, v[18:19]
	v_cndmask_b32_e64 v17, v44, v17, s[0:1]
	s_waitcnt lgkmcnt(0)
	v_mov_b32_e32 v19, s41
	v_add_co_u32_e64 v48, s[0:1], s40, v48
	v_addc_co_u32_e64 v49, s[0:1], v19, v49, s[0:1]
	global_store_dword v[48:49], v17, off
	v_ashrrev_i32_e32 v17, 31, v16
	v_lshlrev_b64 v[48:49], 2, v[16:17]
	v_mov_b32_e32 v17, s43
	v_add_co_u32_e64 v48, s[0:1], s42, v48
	v_addc_co_u32_e64 v49, s[0:1], v17, v49, s[0:1]
	v_add_f32_e32 v24, v24, v47
	global_store_dword v[48:49], v42, off
.LBB191_16:                             ;   in Loop: Header=BB191_14 Depth=1
	s_or_b64 exec, exec, s[4:5]
	v_ashrrev_i32_e32 v17, 31, v46
	v_lshrrev_b32_e32 v19, 28, v17
	v_add_u32_e32 v19, v46, v19
	v_ashrrev_i32_e32 v19, 4, v19
	v_lshrrev_b32_e32 v21, 28, v19
	v_add_u32_e32 v21, v19, v21
	v_and_b32_e32 v21, -16, v21
	v_sub_u32_e32 v21, v19, v21
	v_cmp_eq_u32_e64 s[0:1], v23, v21
	s_and_saveexec_b64 s[48:49], s[0:1]
	s_cbranch_execz .LBB191_13
; %bb.17:                               ;   in Loop: Header=BB191_14 Depth=1
	v_add_u32_sdwa v17, v46, v17 dst_sel:DWORD dst_unused:UNUSED_PAD src0_sel:DWORD src1_sel:BYTE_3
	v_lshlrev_b32_e32 v19, 4, v19
	v_sub_u32_e32 v19, v46, v19
	v_ashrrev_i32_e32 v17, 8, v17
	v_lshl_add_u32 v17, v17, 4, v19
	v_cmp_ne_u32_e64 s[0:1], 14, v17
	v_cmp_ne_u32_e64 s[2:3], 13, v17
	v_cmp_ne_u32_e64 s[4:5], 12, v17
	v_cmp_ne_u32_e64 s[6:7], 11, v17
	v_cmp_ne_u32_e64 s[8:9], 10, v17
	v_cmp_ne_u32_e64 s[10:11], 9, v17
	v_cmp_ne_u32_e64 s[12:13], 8, v17
	v_cmp_ne_u32_e64 s[14:15], 7, v17
	v_cmp_ne_u32_e64 s[16:17], 6, v17
	v_cmp_ne_u32_e64 s[18:19], 5, v17
	v_cmp_ne_u32_e64 s[20:21], 4, v17
	v_cmp_ne_u32_e64 s[22:23], 3, v17
	v_cmp_ne_u32_e64 s[24:25], 2, v17
	v_cmp_ne_u32_e64 s[26:27], 1, v17
	v_cmp_ne_u32_e64 s[28:29], 0, v17
	v_cmp_ne_u32_e64 s[30:31], 15, v17
	v_cndmask_b32_e64 v15, v45, v15, s[30:31]
	v_cndmask_b32_e64 v14, v45, v14, s[0:1]
	;; [unrolled: 1-line block ×16, first 2 shown]
	s_branch .LBB191_13
.LBB191_18:
	v_sub_f32_e32 v0, v0, v25
	s_mov_b32 s2, 0x3fb8aa3b
	v_mul_f32_e32 v16, 0x3fb8aa3b, v0
	v_fma_f32 v17, v0, s2, -v16
	v_rndne_f32_e32 v18, v16
	v_fmac_f32_e32 v17, 0x32a5705f, v0
	v_sub_f32_e32 v16, v16, v18
	v_add_f32_e32 v16, v16, v17
	v_exp_f32_e32 v16, v16
	v_cvt_i32_f32_e32 v17, v18
	v_sub_f32_e32 v1, v1, v25
	s_mov_b32 s4, 0xc2ce8ed0
	s_mov_b32 s3, 0x42b17218
	v_ldexp_f32 v16, v16, v17
	v_mul_f32_e32 v17, 0x3fb8aa3b, v1
	v_fma_f32 v18, v1, s2, -v17
	v_rndne_f32_e32 v19, v17
	v_fmac_f32_e32 v18, 0x32a5705f, v1
	v_sub_f32_e32 v17, v17, v19
	v_add_f32_e32 v17, v17, v18
	v_exp_f32_e32 v17, v17
	v_cvt_i32_f32_e32 v18, v19
	v_cmp_ngt_f32_e32 vcc, s4, v1
	v_cmp_ngt_f32_e64 s[0:1], s4, v0
	v_sub_f32_e32 v2, v2, v25
	v_ldexp_f32 v17, v17, v18
	v_cndmask_b32_e32 v17, 0, v17, vcc
	v_mov_b32_e32 v18, 0x7f800000
	v_cmp_nlt_f32_e32 vcc, s3, v1
	v_cndmask_b32_e64 v1, 0, v16, s[0:1]
	v_cmp_nlt_f32_e64 s[0:1], s3, v0
	v_cndmask_b32_e64 v0, v18, v1, s[0:1]
	v_cndmask_b32_e32 v1, v18, v17, vcc
	v_add_f32_e32 v0, v0, v1
	v_mul_f32_e32 v1, 0x3fb8aa3b, v2
	v_fma_f32 v16, v2, s2, -v1
	v_rndne_f32_e32 v17, v1
	v_fmac_f32_e32 v16, 0x32a5705f, v2
	v_sub_f32_e32 v1, v1, v17
	v_add_f32_e32 v1, v1, v16
	v_exp_f32_e32 v1, v1
	v_cvt_i32_f32_e32 v16, v17
	v_cmp_ngt_f32_e32 vcc, s4, v2
	v_sub_f32_e32 v3, v3, v25
	v_sub_f32_e32 v4, v4, v25
	v_ldexp_f32 v1, v1, v16
	v_cndmask_b32_e32 v1, 0, v1, vcc
	v_cmp_nlt_f32_e32 vcc, s3, v2
	v_cndmask_b32_e32 v1, v18, v1, vcc
	v_add_f32_e32 v0, v0, v1
	v_mul_f32_e32 v1, 0x3fb8aa3b, v3
	v_fma_f32 v2, v3, s2, -v1
	v_rndne_f32_e32 v16, v1
	v_fmac_f32_e32 v2, 0x32a5705f, v3
	v_sub_f32_e32 v1, v1, v16
	v_add_f32_e32 v1, v1, v2
	v_exp_f32_e32 v1, v1
	v_cvt_i32_f32_e32 v2, v16
	v_cmp_ngt_f32_e32 vcc, s4, v3
	v_sub_f32_e32 v5, v5, v25
	v_sub_f32_e32 v6, v6, v25
	v_ldexp_f32 v1, v1, v2
	v_cndmask_b32_e32 v1, 0, v1, vcc
	v_cmp_nlt_f32_e32 vcc, s3, v3
	;; [unrolled: 16-line block ×5, first 2 shown]
	v_cndmask_b32_e32 v1, v18, v1, vcc
	v_add_f32_e32 v0, v0, v1
	v_mul_f32_e32 v1, 0x3fb8aa3b, v7
	v_fma_f32 v2, v7, s2, -v1
	v_rndne_f32_e32 v3, v1
	v_fmac_f32_e32 v2, 0x32a5705f, v7
	v_sub_f32_e32 v1, v1, v3
	v_add_f32_e32 v1, v1, v2
	v_exp_f32_e32 v1, v1
	v_cvt_i32_f32_e32 v2, v3
	v_cmp_ngt_f32_e32 vcc, s4, v7
	v_ldexp_f32 v1, v1, v2
	v_mul_f32_e32 v2, 0x3fb8aa3b, v8
	v_fma_f32 v3, v8, s2, -v2
	v_rndne_f32_e32 v4, v2
	v_fmac_f32_e32 v3, 0x32a5705f, v8
	v_sub_f32_e32 v2, v2, v4
	v_add_f32_e32 v2, v2, v3
	v_exp_f32_e32 v2, v2
	v_cvt_i32_f32_e32 v3, v4
	v_cndmask_b32_e32 v1, 0, v1, vcc
	v_cmp_nlt_f32_e32 vcc, s3, v7
	v_cndmask_b32_e32 v1, v18, v1, vcc
	v_add_f32_e32 v0, v0, v1
	v_ldexp_f32 v1, v2, v3
	v_mul_f32_e32 v2, 0x3fb8aa3b, v9
	v_fma_f32 v3, v9, s2, -v2
	v_rndne_f32_e32 v4, v2
	v_fmac_f32_e32 v3, 0x32a5705f, v9
	v_sub_f32_e32 v2, v2, v4
	v_add_f32_e32 v2, v2, v3
	v_exp_f32_e32 v2, v2
	v_cvt_i32_f32_e32 v3, v4
	v_cmp_ngt_f32_e32 vcc, s4, v8
	v_cndmask_b32_e32 v1, 0, v1, vcc
	v_cmp_nlt_f32_e32 vcc, s3, v8
	v_cndmask_b32_e32 v1, v18, v1, vcc
	v_add_f32_e32 v0, v0, v1
	v_ldexp_f32 v1, v2, v3
	v_mul_f32_e32 v2, 0x3fb8aa3b, v10
	v_fma_f32 v3, v10, s2, -v2
	v_rndne_f32_e32 v4, v2
	v_fmac_f32_e32 v3, 0x32a5705f, v10
	v_sub_f32_e32 v2, v2, v4
	v_add_f32_e32 v2, v2, v3
	v_exp_f32_e32 v2, v2
	v_cvt_i32_f32_e32 v3, v4
	v_cmp_ngt_f32_e32 vcc, s4, v9
	;; [unrolled: 14-line block ×4, first 2 shown]
	v_cndmask_b32_e32 v1, 0, v1, vcc
	v_cmp_nlt_f32_e32 vcc, s3, v11
	v_cndmask_b32_e32 v1, v18, v1, vcc
	v_add_f32_e32 v0, v0, v1
	v_ldexp_f32 v1, v2, v3
	v_sub_f32_e32 v2, v13, v25
	v_mul_f32_e32 v3, 0x3fb8aa3b, v2
	v_fma_f32 v4, v2, s2, -v3
	v_rndne_f32_e32 v5, v3
	v_fmac_f32_e32 v4, 0x32a5705f, v2
	v_sub_f32_e32 v3, v3, v5
	v_add_f32_e32 v3, v3, v4
	v_exp_f32_e32 v3, v3
	v_cvt_i32_f32_e32 v4, v5
	v_cmp_ngt_f32_e32 vcc, s4, v12
	v_cndmask_b32_e32 v1, 0, v1, vcc
	v_cmp_nlt_f32_e32 vcc, s3, v12
	v_cndmask_b32_e32 v1, v18, v1, vcc
	v_add_f32_e32 v0, v0, v1
	v_ldexp_f32 v1, v3, v4
	v_sub_f32_e32 v3, v14, v25
	v_mul_f32_e32 v4, 0x3fb8aa3b, v3
	v_fma_f32 v5, v3, s2, -v4
	v_rndne_f32_e32 v6, v4
	v_fmac_f32_e32 v5, 0x32a5705f, v3
	v_sub_f32_e32 v4, v4, v6
	v_add_f32_e32 v4, v4, v5
	v_exp_f32_e32 v4, v4
	v_cvt_i32_f32_e32 v5, v6
	v_cmp_ngt_f32_e32 vcc, s4, v2
	v_cndmask_b32_e32 v1, 0, v1, vcc
	v_cmp_nlt_f32_e32 vcc, s3, v2
	v_cndmask_b32_e32 v1, v18, v1, vcc
	v_sub_f32_e32 v2, v15, v25
	v_add_f32_e32 v0, v0, v1
	v_ldexp_f32 v1, v4, v5
	v_mul_f32_e32 v4, 0x3fb8aa3b, v2
	v_fma_f32 v5, v2, s2, -v4
	v_rndne_f32_e32 v6, v4
	v_fmac_f32_e32 v5, 0x32a5705f, v2
	v_sub_f32_e32 v4, v4, v6
	v_add_f32_e32 v4, v4, v5
	v_exp_f32_e32 v4, v4
	v_cvt_i32_f32_e32 v5, v6
	v_cmp_ngt_f32_e32 vcc, s4, v3
	v_cndmask_b32_e32 v1, 0, v1, vcc
	v_cmp_nlt_f32_e32 vcc, s3, v3
	v_cndmask_b32_e32 v1, v18, v1, vcc
	v_add_f32_e32 v0, v0, v1
	v_ldexp_f32 v1, v4, v5
	v_cmp_ngt_f32_e32 vcc, s4, v2
	v_cndmask_b32_e32 v1, 0, v1, vcc
	v_cmp_nlt_f32_e32 vcc, s3, v2
	v_cndmask_b32_e32 v1, v18, v1, vcc
	v_add_f32_e32 v0, v0, v1
	v_cmp_eq_u32_e32 vcc, 0, v23
	s_nop 0
	v_mov_b32_dpp v1, v0 quad_perm:[1,0,3,2] row_mask:0xf bank_mask:0xf
	v_add_f32_e32 v0, v0, v1
	s_nop 1
	v_mov_b32_dpp v1, v0 quad_perm:[2,3,0,1] row_mask:0xf bank_mask:0xf
	v_add_f32_e32 v0, v0, v1
	s_nop 1
	v_mov_b32_dpp v1, v0 row_half_mirror row_mask:0xf bank_mask:0xf
	v_add_f32_e32 v0, v0, v1
	s_nop 1
	v_mov_b32_dpp v1, v0 row_mirror row_mask:0xf bank_mask:0xf
	s_and_b64 exec, exec, vcc
	s_cbranch_execz .LBB191_31
; %bb.19:
	v_add_f32_e32 v0, v0, v1
	v_add_f32_e32 v0, v24, v0
	v_cmp_neq_f32_e32 vcc, 0, v0
	s_and_b64 exec, exec, vcc
	s_cbranch_execz .LBB191_31
; %bb.20:
	s_andn2_b64 vcc, exec, s[44:45]
	s_cbranch_vccnz .LBB191_31
; %bb.21:
	v_div_scale_f32 v1, s[0:1], v0, v0, 1.0
	v_rcp_f32_e32 v2, v1
	v_div_scale_f32 v3, vcc, 1.0, v0, 1.0
	s_cmp_gt_u32 s36, 3
	v_fma_f32 v4, -v1, v2, 1.0
	v_fmac_f32_e32 v2, v4, v2
	v_mul_f32_e32 v4, v3, v2
	v_fma_f32 v5, -v1, v4, v3
	v_fmac_f32_e32 v4, v5, v2
	v_fma_f32 v1, -v1, v4, v3
	v_div_fmas_f32 v1, v1, v2, v4
	v_mul_lo_u32 v2, v22, s39
	v_div_fixup_f32 v0, v1, v0, 1.0
	v_ashrrev_i32_e32 v3, 31, v2
	s_cbranch_scc0 .LBB191_25
; %bb.22:
	v_lshlrev_b64 v[4:5], 2, v[2:3]
	v_mov_b32_e32 v6, s35
	v_add_co_u32_e32 v4, vcc, s34, v4
	v_addc_co_u32_e32 v5, vcc, v5, v6, vcc
	s_and_b32 s4, s36, 0x7ffffffc
	v_add_co_u32_e32 v4, vcc, 8, v4
	v_mov_b32_e32 v1, v0
	v_addc_co_u32_e32 v5, vcc, 0, v5, vcc
	s_mov_b32 s0, s4
.LBB191_23:                             ; =>This Inner Loop Header: Depth=1
	global_load_dwordx4 v[6:9], v[4:5], off offset:-8
	s_add_i32 s0, s0, -4
	s_cmp_lg_u32 s0, 0
	s_waitcnt vmcnt(0)
	v_pk_mul_f32 v[6:7], v[0:1], v[6:7]
	v_pk_mul_f32 v[8:9], v[0:1], v[8:9]
	global_store_dwordx4 v[4:5], v[6:9], off offset:-8
	v_add_co_u32_e32 v4, vcc, 16, v4
	v_addc_co_u32_e32 v5, vcc, 0, v5, vcc
	s_cbranch_scc1 .LBB191_23
; %bb.24:
	s_cmp_lg_u32 s4, s36
	s_mov_b64 s[2:3], 0
	s_cselect_b64 s[0:1], -1, 0
	s_branch .LBB191_26
.LBB191_25:
	s_mov_b64 s[2:3], -1
	s_mov_b64 s[0:1], 0
                                        ; implicit-def: $sgpr4
.LBB191_26:
	s_and_b64 vcc, exec, s[2:3]
	s_cbranch_vccz .LBB191_28
; %bb.27:
	s_mov_b64 s[0:1], -1
	s_mov_b32 s4, 0
.LBB191_28:
	s_andn2_b64 vcc, exec, s[0:1]
	s_cbranch_vccnz .LBB191_31
; %bb.29:
	v_add_co_u32_e32 v2, vcc, s4, v2
	v_addc_co_u32_e32 v3, vcc, 0, v3, vcc
	v_lshlrev_b64 v[2:3], 2, v[2:3]
	v_mov_b32_e32 v1, s35
	v_add_co_u32_e32 v2, vcc, s34, v2
	s_sub_i32 s0, s36, s4
	v_addc_co_u32_e32 v3, vcc, v1, v3, vcc
.LBB191_30:                             ; =>This Inner Loop Header: Depth=1
	global_load_dword v1, v[2:3], off
	s_add_i32 s0, s0, -1
	s_cmp_lg_u32 s0, 0
	s_waitcnt vmcnt(0)
	v_mul_f32_e32 v1, v0, v1
	global_store_dword v[2:3], v1, off
	v_add_co_u32_e32 v2, vcc, 4, v2
	v_addc_co_u32_e32 v3, vcc, 0, v3, vcc
	s_cbranch_scc1 .LBB191_30
.LBB191_31:
	s_endpgm
	.section	.rodata,"a",@progbits
	.p2align	6, 0x0
	.amdhsa_kernel _ZN4vllm3moe17topkGatingSoftmaxIDF16_Li16ELi256ELi8ELi32ELb0ELi2ELNS0_23SharedExpertScoringFuncE1EEEvPKT_PKbPfiPiS9_iiiiii
		.amdhsa_group_segment_fixed_size 0
		.amdhsa_private_segment_fixed_size 0
		.amdhsa_kernarg_size 72
		.amdhsa_user_sgpr_count 6
		.amdhsa_user_sgpr_private_segment_buffer 1
		.amdhsa_user_sgpr_dispatch_ptr 0
		.amdhsa_user_sgpr_queue_ptr 0
		.amdhsa_user_sgpr_kernarg_segment_ptr 1
		.amdhsa_user_sgpr_dispatch_id 0
		.amdhsa_user_sgpr_flat_scratch_init 0
		.amdhsa_user_sgpr_kernarg_preload_length 0
		.amdhsa_user_sgpr_kernarg_preload_offset 0
		.amdhsa_user_sgpr_private_segment_size 0
		.amdhsa_uses_dynamic_stack 0
		.amdhsa_system_sgpr_private_segment_wavefront_offset 0
		.amdhsa_system_sgpr_workgroup_id_x 1
		.amdhsa_system_sgpr_workgroup_id_y 0
		.amdhsa_system_sgpr_workgroup_id_z 0
		.amdhsa_system_sgpr_workgroup_info 0
		.amdhsa_system_vgpr_workitem_id 1
		.amdhsa_next_free_vgpr 50
		.amdhsa_next_free_sgpr 54
		.amdhsa_accum_offset 52
		.amdhsa_reserve_vcc 1
		.amdhsa_reserve_flat_scratch 0
		.amdhsa_float_round_mode_32 0
		.amdhsa_float_round_mode_16_64 0
		.amdhsa_float_denorm_mode_32 3
		.amdhsa_float_denorm_mode_16_64 3
		.amdhsa_dx10_clamp 1
		.amdhsa_ieee_mode 1
		.amdhsa_fp16_overflow 0
		.amdhsa_tg_split 0
		.amdhsa_exception_fp_ieee_invalid_op 0
		.amdhsa_exception_fp_denorm_src 0
		.amdhsa_exception_fp_ieee_div_zero 0
		.amdhsa_exception_fp_ieee_overflow 0
		.amdhsa_exception_fp_ieee_underflow 0
		.amdhsa_exception_fp_ieee_inexact 0
		.amdhsa_exception_int_div_zero 0
	.end_amdhsa_kernel
	.section	.text._ZN4vllm3moe17topkGatingSoftmaxIDF16_Li16ELi256ELi8ELi32ELb0ELi2ELNS0_23SharedExpertScoringFuncE1EEEvPKT_PKbPfiPiS9_iiiiii,"axG",@progbits,_ZN4vllm3moe17topkGatingSoftmaxIDF16_Li16ELi256ELi8ELi32ELb0ELi2ELNS0_23SharedExpertScoringFuncE1EEEvPKT_PKbPfiPiS9_iiiiii,comdat
.Lfunc_end191:
	.size	_ZN4vllm3moe17topkGatingSoftmaxIDF16_Li16ELi256ELi8ELi32ELb0ELi2ELNS0_23SharedExpertScoringFuncE1EEEvPKT_PKbPfiPiS9_iiiiii, .Lfunc_end191-_ZN4vllm3moe17topkGatingSoftmaxIDF16_Li16ELi256ELi8ELi32ELb0ELi2ELNS0_23SharedExpertScoringFuncE1EEEvPKT_PKbPfiPiS9_iiiiii
                                        ; -- End function
	.section	.AMDGPU.csdata,"",@progbits
; Kernel info:
; codeLenInByte = 4820
; NumSgprs: 58
; NumVgprs: 50
; NumAgprs: 0
; TotalNumVgprs: 50
; ScratchSize: 0
; MemoryBound: 0
; FloatMode: 240
; IeeeMode: 1
; LDSByteSize: 0 bytes/workgroup (compile time only)
; SGPRBlocks: 7
; VGPRBlocks: 6
; NumSGPRsForWavesPerEU: 58
; NumVGPRsForWavesPerEU: 50
; AccumOffset: 52
; Occupancy: 8
; WaveLimiterHint : 0
; COMPUTE_PGM_RSRC2:SCRATCH_EN: 0
; COMPUTE_PGM_RSRC2:USER_SGPR: 6
; COMPUTE_PGM_RSRC2:TRAP_HANDLER: 0
; COMPUTE_PGM_RSRC2:TGID_X_EN: 1
; COMPUTE_PGM_RSRC2:TGID_Y_EN: 0
; COMPUTE_PGM_RSRC2:TGID_Z_EN: 0
; COMPUTE_PGM_RSRC2:TIDIG_COMP_CNT: 1
; COMPUTE_PGM_RSRC3_GFX90A:ACCUM_OFFSET: 12
; COMPUTE_PGM_RSRC3_GFX90A:TG_SPLIT: 0
	.section	.text._ZN4vllm3moe17topkGatingSoftmaxIDF16_Li16ELi256ELi8ELi32ELb1ELi4ELNS0_23SharedExpertScoringFuncE1EEEvPKT_PKbPfiPiS9_iiiiii,"axG",@progbits,_ZN4vllm3moe17topkGatingSoftmaxIDF16_Li16ELi256ELi8ELi32ELb1ELi4ELNS0_23SharedExpertScoringFuncE1EEEvPKT_PKbPfiPiS9_iiiiii,comdat
	.protected	_ZN4vllm3moe17topkGatingSoftmaxIDF16_Li16ELi256ELi8ELi32ELb1ELi4ELNS0_23SharedExpertScoringFuncE1EEEvPKT_PKbPfiPiS9_iiiiii ; -- Begin function _ZN4vllm3moe17topkGatingSoftmaxIDF16_Li16ELi256ELi8ELi32ELb1ELi4ELNS0_23SharedExpertScoringFuncE1EEEvPKT_PKbPfiPiS9_iiiiii
	.globl	_ZN4vllm3moe17topkGatingSoftmaxIDF16_Li16ELi256ELi8ELi32ELb1ELi4ELNS0_23SharedExpertScoringFuncE1EEEvPKT_PKbPfiPiS9_iiiiii
	.p2align	8
	.type	_ZN4vllm3moe17topkGatingSoftmaxIDF16_Li16ELi256ELi8ELi32ELb1ELi4ELNS0_23SharedExpertScoringFuncE1EEEvPKT_PKbPfiPiS9_iiiiii,@function
_ZN4vllm3moe17topkGatingSoftmaxIDF16_Li16ELi256ELi8ELi32ELb1ELi4ELNS0_23SharedExpertScoringFuncE1EEEvPKT_PKbPfiPiS9_iiiiii: ; @_ZN4vllm3moe17topkGatingSoftmaxIDF16_Li16ELi256ELi8ELi32ELb1ELi4ELNS0_23SharedExpertScoringFuncE1EEEvPKT_PKbPfiPiS9_iiiiii
; %bb.0:
	s_load_dword s33, s[4:5], 0x18
	v_bfe_u32 v1, v0, 10, 10
	v_and_b32_e32 v0, 0x3ff, v0
	s_lshl_b32 s50, s6, 5
	v_lshlrev_b32_e32 v41, 2, v1
	v_lshrrev_b32_e32 v42, 4, v0
	v_add3_u32 v22, s50, v41, v42
	s_waitcnt lgkmcnt(0)
	v_cmp_gt_i32_e32 vcc, s33, v22
	s_and_saveexec_b64 s[0:1], vcc
	s_cbranch_execz .LBB192_29
; %bb.1:
	s_load_dwordx4 s[0:3], s[4:5], 0x0
	s_load_dwordx2 s[34:35], s[4:5], 0x10
	s_waitcnt lgkmcnt(0)
	s_cmp_eq_u64 s[2:3], 0
	s_cbranch_scc1 .LBB192_3
; %bb.2:
	v_ashrrev_i32_e32 v1, 31, v22
	v_mov_b32_e32 v3, s3
	v_add_co_u32_e32 v2, vcc, s2, v22
	v_addc_co_u32_e32 v3, vcc, v3, v1, vcc
	global_load_ubyte v1, v[2:3], off
	s_waitcnt vmcnt(0)
	v_and_b32_e32 v1, 1, v1
	v_cmp_eq_u32_e32 vcc, 1, v1
	s_xor_b64 s[2:3], vcc, -1
	s_orn2_b64 s[44:45], s[2:3], exec
	s_branch .LBB192_4
.LBB192_3:
	s_mov_b64 s[44:45], -1
.LBB192_4:
	s_load_dwordx2 s[8:9], s[4:5], 0x40
	s_load_dwordx4 s[36:39], s[4:5], 0x30
	v_mov_b32_e32 v4, s1
	v_and_b32_e32 v23, 15, v0
	v_lshlrev_b32_e32 v0, 5, v23
	s_waitcnt lgkmcnt(0)
	v_mul_lo_u32 v2, v22, s9
	v_ashrrev_i32_e32 v3, 31, v2
	v_lshlrev_b64 v[2:3], 1, v[2:3]
	v_add_co_u32_e32 v1, vcc, s0, v2
	v_addc_co_u32_e32 v2, vcc, v4, v3, vcc
	v_add_co_u32_e32 v8, vcc, v1, v0
	v_addc_co_u32_e32 v9, vcc, 0, v2, vcc
	global_load_dwordx4 v[12:15], v[8:9], off offset:16
	global_load_dwordx4 v[4:7], v[8:9], off
	v_lshlrev_b32_e32 v25, 4, v23
	v_mov_b32_e32 v24, 0
	v_cmp_gt_u32_e32 vcc, 4, v23
	s_and_saveexec_b64 s[0:1], vcc
	s_cbranch_execz .LBB192_6
; %bb.5:
	v_lshlrev_b32_e32 v0, 1, v23
	v_add_co_u32_e32 v0, vcc, v1, v0
	v_addc_co_u32_e32 v1, vcc, 0, v2, vcc
	global_load_ushort v0, v[0:1], off offset:512
	s_mov_b32 s2, 0x3fb8aa3b
	s_mov_b32 s3, 0x32a5705f
	;; [unrolled: 1-line block ×4, first 2 shown]
	v_mov_b32_e32 v3, 0x7f800000
	v_mul_lo_u32 v1, v22, s39
	s_waitcnt vmcnt(0)
	v_cvt_f32_f16_e64 v2, -v0
	v_mul_f32_e32 v8, 0x3fb8aa3b, v2
	v_fma_mix_f32 v9, -v0, s2, -v8 op_sel_hi:[1,0,0]
	v_rndne_f32_e32 v10, v8
	v_fma_mix_f32 v0, -v0, s3, v9 op_sel_hi:[1,0,0]
	v_sub_f32_e32 v8, v8, v10
	v_add_f32_e32 v0, v8, v0
	v_cvt_i32_f32_e32 v9, v10
	v_exp_f32_e32 v8, v0
	v_cmp_ngt_f32_e32 vcc, s6, v2
	v_add3_u32 v0, v1, s36, v23
	v_ashrrev_i32_e32 v1, 31, v0
	v_ldexp_f32 v8, v8, v9
	v_cndmask_b32_e32 v8, 0, v8, vcc
	v_cmp_nlt_f32_e32 vcc, s7, v2
	v_cndmask_b32_e32 v2, v3, v8, vcc
	v_add_f32_e32 v2, 1.0, v2
	v_div_scale_f32 v3, s[2:3], v2, v2, 1.0
	v_rcp_f32_e32 v8, v3
	v_div_scale_f32 v9, vcc, 1.0, v2, 1.0
	v_lshlrev_b64 v[0:1], 2, v[0:1]
	v_fma_f32 v11, -v3, v8, 1.0
	v_fmac_f32_e32 v8, v11, v8
	v_mul_f32_e32 v11, v9, v8
	v_fma_f32 v16, -v3, v11, v9
	v_fmac_f32_e32 v11, v16, v8
	v_fma_f32 v3, -v3, v11, v9
	v_mov_b32_e32 v10, s35
	v_div_fmas_f32 v3, v3, v8, v11
	v_add_co_u32_e32 v0, vcc, s34, v0
	v_div_fixup_f32 v2, v3, v2, 1.0
	v_addc_co_u32_e32 v1, vcc, v10, v1, vcc
	global_store_dword v[0:1], v2, off
.LBB192_6:
	s_or_b64 exec, exec, s[0:1]
	s_waitcnt vmcnt(0)
	v_cvt_f32_f16_e32 v0, v4
	v_cvt_f32_f16_sdwa v1, v4 dst_sel:DWORD dst_unused:UNUSED_PAD src0_sel:WORD_1
	v_cvt_f32_f16_e32 v2, v5
	v_cmp_lt_f16_sdwa vcc, v4, v4 src0_sel:DWORD src1_sel:WORD_1
	v_or_b32_e32 v26, 1, v25
	v_cndmask_b32_e32 v4, v0, v1, vcc
	v_cndmask_b32_e32 v3, v25, v26, vcc
	v_or_b32_e32 v27, 2, v25
	v_cmp_lt_f32_e32 vcc, v4, v2
	v_cndmask_b32_e32 v8, v3, v27, vcc
	v_cvt_f32_f16_sdwa v3, v5 dst_sel:DWORD dst_unused:UNUSED_PAD src0_sel:WORD_1
	v_cndmask_b32_e32 v4, v4, v2, vcc
	v_or_b32_e32 v28, 3, v25
	v_or_b32_e32 v29, 4, v25
	v_cmp_lt_f32_e32 vcc, v4, v3
	v_cndmask_b32_e32 v5, v8, v28, vcc
	v_cndmask_b32_e32 v8, v4, v3, vcc
	v_cvt_f32_f16_e32 v4, v6
	v_or_b32_e32 v30, 5, v25
	v_or_b32_e32 v31, 6, v25
	;; [unrolled: 1-line block ×3, first 2 shown]
	v_cmp_lt_f32_e32 vcc, v8, v4
	v_cndmask_b32_e32 v9, v5, v29, vcc
	v_cvt_f32_f16_sdwa v5, v6 dst_sel:DWORD dst_unused:UNUSED_PAD src0_sel:WORD_1
	v_cvt_f32_f16_e32 v6, v7
	v_cndmask_b32_e32 v8, v8, v4, vcc
	v_cvt_f32_f16_sdwa v7, v7 dst_sel:DWORD dst_unused:UNUSED_PAD src0_sel:WORD_1
	v_cmp_lt_f32_e32 vcc, v8, v5
	v_cndmask_b32_e32 v8, v8, v5, vcc
	v_cndmask_b32_e32 v9, v9, v30, vcc
	v_cmp_lt_f32_e32 vcc, v8, v6
	v_cndmask_b32_e32 v8, v8, v6, vcc
	v_cndmask_b32_e32 v9, v9, v31, vcc
	v_cmp_lt_f32_e32 vcc, v8, v7
	v_cndmask_b32_e32 v10, v8, v7, vcc
	v_cvt_f32_f16_e32 v8, v12
	v_cndmask_b32_e32 v9, v9, v32, vcc
	v_or_b32_e32 v33, 8, v25
	v_or_b32_e32 v34, 9, v25
	v_cmp_lt_f32_e32 vcc, v10, v8
	v_cndmask_b32_e32 v11, v9, v33, vcc
	v_cvt_f32_f16_sdwa v9, v12 dst_sel:DWORD dst_unused:UNUSED_PAD src0_sel:WORD_1
	v_cndmask_b32_e32 v10, v10, v8, vcc
	v_or_b32_e32 v35, 10, v25
	v_or_b32_e32 v36, 11, v25
	v_cmp_lt_f32_e32 vcc, v10, v9
	v_cndmask_b32_e32 v12, v10, v9, vcc
	v_cvt_f32_f16_e32 v10, v13
	v_cndmask_b32_e32 v11, v11, v34, vcc
	v_or_b32_e32 v37, 12, v25
	v_or_b32_e32 v38, 13, v25
	v_cmp_lt_f32_e32 vcc, v12, v10
	v_cndmask_b32_e32 v16, v11, v35, vcc
	v_cvt_f32_f16_sdwa v11, v13 dst_sel:DWORD dst_unused:UNUSED_PAD src0_sel:WORD_1
	v_cndmask_b32_e32 v12, v12, v10, vcc
	v_or_b32_e32 v39, 14, v25
	v_or_b32_e32 v40, 15, v25
	v_cmp_lt_f32_e32 vcc, v12, v11
	v_cndmask_b32_e32 v13, v16, v36, vcc
	v_cndmask_b32_e32 v16, v12, v11, vcc
	v_cvt_f32_f16_e32 v12, v14
	v_cmp_lt_f32_e32 vcc, v16, v12
	v_cndmask_b32_e32 v17, v13, v37, vcc
	v_cvt_f32_f16_sdwa v13, v14 dst_sel:DWORD dst_unused:UNUSED_PAD src0_sel:WORD_1
	v_cvt_f32_f16_e32 v14, v15
	v_cndmask_b32_e32 v16, v16, v12, vcc
	v_cvt_f32_f16_sdwa v15, v15 dst_sel:DWORD dst_unused:UNUSED_PAD src0_sel:WORD_1
	v_cmp_lt_f32_e32 vcc, v16, v13
	v_cndmask_b32_e32 v16, v16, v13, vcc
	v_cndmask_b32_e32 v17, v17, v38, vcc
	v_cmp_lt_f32_e32 vcc, v16, v14
	v_cndmask_b32_e32 v16, v16, v14, vcc
	v_cndmask_b32_e32 v17, v17, v39, vcc
	;; [unrolled: 3-line block ×3, first 2 shown]
	s_nop 0
	v_mov_b32_dpp v19, v17 quad_perm:[1,0,3,2] row_mask:0xf bank_mask:0xf
	v_mov_b32_dpp v18, v16 quad_perm:[1,0,3,2] row_mask:0xf bank_mask:0xf
	v_cmp_eq_f32_e64 s[0:1], v16, v18
	v_cmp_lt_i32_e64 s[2:3], v19, v17
	v_cmp_lt_f32_e32 vcc, v16, v18
	s_and_b64 s[0:1], s[0:1], s[2:3]
	s_or_b64 vcc, vcc, s[0:1]
	v_cndmask_b32_e32 v16, v16, v18, vcc
	v_cndmask_b32_e32 v17, v17, v19, vcc
	s_nop 0
	v_mov_b32_dpp v18, v16 quad_perm:[2,3,0,1] row_mask:0xf bank_mask:0xf
	v_mov_b32_dpp v19, v17 quad_perm:[2,3,0,1] row_mask:0xf bank_mask:0xf
	v_cmp_eq_f32_e64 s[0:1], v16, v18
	v_cmp_lt_i32_e64 s[2:3], v19, v17
	v_cmp_lt_f32_e32 vcc, v16, v18
	s_and_b64 s[0:1], s[0:1], s[2:3]
	s_or_b64 vcc, vcc, s[0:1]
	v_cndmask_b32_e32 v16, v16, v18, vcc
	v_cndmask_b32_e32 v17, v17, v19, vcc
	s_nop 0
	v_mov_b32_dpp v18, v16 row_half_mirror row_mask:0xf bank_mask:0xf
	v_mov_b32_dpp v19, v17 row_half_mirror row_mask:0xf bank_mask:0xf
	v_cmp_eq_f32_e64 s[0:1], v16, v18
	v_cmp_lt_i32_e64 s[2:3], v19, v17
	v_cmp_lt_f32_e32 vcc, v16, v18
	s_and_b64 s[0:1], s[0:1], s[2:3]
	s_or_b64 vcc, vcc, s[0:1]
	v_cndmask_b32_e32 v16, v16, v18, vcc
	v_cndmask_b32_e32 v17, v17, v19, vcc
	s_cmp_gt_i32 s36, 0
	s_cselect_b64 s[46:47], -1, 0
	s_cmp_lt_i32 s36, 1
	v_cmp_eq_u32_e32 vcc, 0, v23
	v_mov_b32_dpp v18, v17 row_mirror row_mask:0xf bank_mask:0xf
	v_mov_b32_dpp v19, v16 row_mirror row_mask:0xf bank_mask:0xf
	s_cbranch_scc1 .LBB192_18
; %bb.7:
	s_load_dwordx4 s[40:43], s[4:5], 0x20
	v_cmp_eq_f32_e64 s[2:3], v16, v19
	v_cmp_lt_i32_e64 s[6:7], v18, v17
	v_cmp_lt_f32_e64 s[0:1], v16, v19
	s_and_b64 s[2:3], s[2:3], s[6:7]
	s_or_b64 s[0:1], s[0:1], s[2:3]
	v_cndmask_b32_e64 v44, v17, v18, s[0:1]
	v_cndmask_b32_e64 v43, v16, v19, s[0:1]
	v_mul_lo_u32 v20, v22, s39
	v_mul_lo_u32 v18, v22, s8
	;; [unrolled: 1-line block ×3, first 2 shown]
	v_mov_b32_e32 v24, 0
	s_and_saveexec_b64 s[4:5], vcc
	s_cbranch_execz .LBB192_9
; %bb.8:
	v_sub_f32_e32 v17, v43, v43
	v_mul_f32_e32 v19, 0x3fb8aa3b, v17
	s_mov_b32 s0, 0x3fb8aa3b
	v_rndne_f32_e32 v21, v19
	v_sub_f32_e32 v24, v19, v21
	v_fma_f32 v19, v17, s0, -v19
	v_fmac_f32_e32 v19, 0x32a5705f, v17
	v_add_f32_e32 v19, v24, v19
	v_exp_f32_e32 v19, v19
	v_cvt_i32_f32_e32 v21, v21
	v_cmp_le_i32_e64 s[0:1], s37, v44
	v_cmp_gt_i32_e64 s[2:3], s38, v44
	s_and_b64 s[2:3], s[0:1], s[2:3]
	s_mov_b32 s0, 0xc2ce8ed0
	v_ldexp_f32 v19, v19, v21
	v_cmp_ngt_f32_e64 s[0:1], s0, v17
	v_cndmask_b32_e64 v19, 0, v19, s[0:1]
	s_mov_b32 s0, 0x42b17218
	v_mov_b32_e32 v21, 0x7f800000
	v_cmp_nlt_f32_e64 s[0:1], s0, v17
	v_cndmask_b32_e64 v24, v21, v19, s[0:1]
	v_ashrrev_i32_e32 v21, 31, v20
	v_lshlrev_b64 v[46:47], 2, v[20:21]
	v_mov_b32_e32 v17, s35
	v_add_co_u32_e64 v46, s[0:1], s34, v46
	v_addc_co_u32_e64 v47, s[0:1], v17, v47, s[0:1]
	v_subrev_u32_e32 v17, s37, v44
	v_mov_b32_e32 v19, 0x100
	s_and_b64 s[0:1], s[44:45], s[2:3]
	v_cndmask_b32_e64 v17, v19, v17, s[0:1]
	v_ashrrev_i32_e32 v19, 31, v18
	global_store_dword v[46:47], v24, off
	v_lshlrev_b64 v[46:47], 2, v[18:19]
	s_waitcnt lgkmcnt(0)
	v_mov_b32_e32 v19, s41
	v_add_co_u32_e64 v46, s[0:1], s40, v46
	v_addc_co_u32_e64 v47, s[0:1], v19, v47, s[0:1]
	global_store_dword v[46:47], v17, off
	v_ashrrev_i32_e32 v17, 31, v16
	v_lshlrev_b64 v[46:47], 2, v[16:17]
	v_mov_b32_e32 v17, s43
	v_add_co_u32_e64 v46, s[0:1], s42, v46
	v_addc_co_u32_e64 v47, s[0:1], v17, v47, s[0:1]
	global_store_dword v[46:47], v22, off
.LBB192_9:
	s_or_b64 exec, exec, s[4:5]
	v_ashrrev_i32_e32 v17, 31, v44
	v_lshrrev_b32_e32 v19, 28, v17
	v_add_u32_e32 v19, v44, v19
	v_ashrrev_i32_e32 v19, 4, v19
	v_lshrrev_b32_e32 v21, 28, v19
	v_add_u32_e32 v21, v19, v21
	v_and_b32_e32 v21, -16, v21
	v_sub_u32_e32 v21, v19, v21
	v_cmp_eq_u32_e64 s[0:1], v23, v21
	s_and_saveexec_b64 s[48:49], s[0:1]
	s_cbranch_execz .LBB192_11
; %bb.10:
	v_add_u32_sdwa v17, v44, v17 dst_sel:DWORD dst_unused:UNUSED_PAD src0_sel:DWORD src1_sel:BYTE_3
	v_lshlrev_b32_e32 v19, 4, v19
	v_sub_u32_e32 v19, v44, v19
	v_ashrrev_i32_e32 v17, 8, v17
	v_lshl_add_u32 v17, v17, 4, v19
	v_mov_b32_e32 v19, 0xff800000
	v_cmp_ne_u32_e64 s[0:1], 14, v17
	v_cmp_ne_u32_e64 s[2:3], 13, v17
	v_cmp_ne_u32_e64 s[4:5], 12, v17
	v_cmp_ne_u32_e64 s[6:7], 11, v17
	v_cmp_ne_u32_e64 s[8:9], 10, v17
	v_cmp_ne_u32_e64 s[10:11], 9, v17
	v_cmp_ne_u32_e64 s[12:13], 8, v17
	v_cmp_ne_u32_e64 s[14:15], 7, v17
	v_cmp_ne_u32_e64 s[16:17], 6, v17
	v_cmp_ne_u32_e64 s[18:19], 5, v17
	v_cmp_ne_u32_e64 s[20:21], 4, v17
	v_cmp_ne_u32_e64 s[22:23], 3, v17
	v_cmp_ne_u32_e64 s[24:25], 2, v17
	v_cmp_ne_u32_e64 s[26:27], 1, v17
	v_cmp_ne_u32_e64 s[28:29], 0, v17
	v_cmp_ne_u32_e64 s[30:31], 15, v17
	v_cndmask_b32_e64 v15, v19, v15, s[30:31]
	v_cndmask_b32_e64 v14, v19, v14, s[0:1]
	;; [unrolled: 1-line block ×16, first 2 shown]
.LBB192_11:
	s_or_b64 exec, exec, s[48:49]
	s_cmp_eq_u32 s36, 1
	s_cbranch_scc1 .LBB192_18
; %bb.12:
	s_add_i32 s50, s50, s33
	s_add_i32 s51, s36, -1
	v_add3_u32 v41, s50, v42, v41
	v_add_u32_e32 v16, 1, v16
	v_add_u32_e32 v18, 1, v18
	;; [unrolled: 1-line block ×3, first 2 shown]
	s_mov_b32 s50, 0x3fb8aa3b
	s_mov_b32 s52, 0xc2ce8ed0
	;; [unrolled: 1-line block ×3, first 2 shown]
	v_mov_b32_e32 v42, 0x7f800000
	v_mov_b32_e32 v44, 0x100
	;; [unrolled: 1-line block ×3, first 2 shown]
	s_branch .LBB192_14
.LBB192_13:                             ;   in Loop: Header=BB192_14 Depth=1
	s_or_b64 exec, exec, s[48:49]
	s_add_i32 s51, s51, -1
	v_add_u32_e32 v41, s33, v41
	v_add_u32_e32 v16, 1, v16
	;; [unrolled: 1-line block ×3, first 2 shown]
	s_cmp_eq_u32 s51, 0
	v_add_u32_e32 v20, 1, v20
	s_cbranch_scc1 .LBB192_18
.LBB192_14:                             ; =>This Inner Loop Header: Depth=1
	v_cmp_gt_f32_e64 s[0:1], v1, v0
	v_cndmask_b32_e64 v19, v0, v1, s[0:1]
	v_cndmask_b32_e64 v17, v25, v26, s[0:1]
	v_cmp_gt_f32_e64 s[0:1], v2, v19
	v_cndmask_b32_e64 v19, v19, v2, s[0:1]
	v_cndmask_b32_e64 v17, v17, v27, s[0:1]
	;; [unrolled: 3-line block ×15, first 2 shown]
	s_nop 0
	v_mov_b32_dpp v46, v17 quad_perm:[1,0,3,2] row_mask:0xf bank_mask:0xf
	v_mov_b32_dpp v21, v19 quad_perm:[1,0,3,2] row_mask:0xf bank_mask:0xf
	v_cmp_eq_f32_e64 s[2:3], v19, v21
	v_cmp_lt_i32_e64 s[4:5], v46, v17
	v_cmp_lt_f32_e64 s[0:1], v19, v21
	s_and_b64 s[2:3], s[2:3], s[4:5]
	s_or_b64 s[0:1], s[0:1], s[2:3]
	v_cndmask_b32_e64 v19, v19, v21, s[0:1]
	v_cndmask_b32_e64 v17, v17, v46, s[0:1]
	s_nop 0
	v_mov_b32_dpp v21, v19 quad_perm:[2,3,0,1] row_mask:0xf bank_mask:0xf
	v_mov_b32_dpp v46, v17 quad_perm:[2,3,0,1] row_mask:0xf bank_mask:0xf
	v_cmp_eq_f32_e64 s[2:3], v19, v21
	v_cmp_lt_i32_e64 s[4:5], v46, v17
	v_cmp_lt_f32_e64 s[0:1], v19, v21
	s_and_b64 s[2:3], s[2:3], s[4:5]
	s_or_b64 s[0:1], s[0:1], s[2:3]
	v_cndmask_b32_e64 v19, v19, v21, s[0:1]
	v_cndmask_b32_e64 v21, v17, v46, s[0:1]
	s_nop 0
	v_mov_b32_dpp v17, v19 row_half_mirror row_mask:0xf bank_mask:0xf
	v_mov_b32_dpp v46, v21 row_half_mirror row_mask:0xf bank_mask:0xf
	v_cmp_eq_f32_e64 s[2:3], v19, v17
	v_cmp_lt_i32_e64 s[4:5], v46, v21
	v_cmp_lt_f32_e64 s[0:1], v19, v17
	s_and_b64 s[2:3], s[2:3], s[4:5]
	s_or_b64 s[0:1], s[0:1], s[2:3]
	v_cndmask_b32_e64 v17, v19, v17, s[0:1]
	v_cndmask_b32_e64 v21, v21, v46, s[0:1]
	s_nop 0
	v_mov_b32_dpp v19, v17 row_mirror row_mask:0xf bank_mask:0xf
	v_mov_b32_dpp v46, v21 row_mirror row_mask:0xf bank_mask:0xf
	v_cmp_eq_f32_e64 s[2:3], v17, v19
	v_cmp_lt_i32_e64 s[4:5], v46, v21
	v_cmp_lt_f32_e64 s[0:1], v17, v19
	s_and_b64 s[2:3], s[2:3], s[4:5]
	s_or_b64 s[0:1], s[0:1], s[2:3]
	v_cndmask_b32_e64 v46, v21, v46, s[0:1]
	s_and_saveexec_b64 s[4:5], vcc
	s_cbranch_execz .LBB192_16
; %bb.15:                               ;   in Loop: Header=BB192_14 Depth=1
	v_cndmask_b32_e64 v17, v17, v19, s[0:1]
	v_sub_f32_e32 v17, v17, v43
	v_mul_f32_e32 v19, 0x3fb8aa3b, v17
	v_fma_f32 v21, v17, s50, -v19
	v_rndne_f32_e32 v47, v19
	v_fmac_f32_e32 v21, 0x32a5705f, v17
	v_sub_f32_e32 v19, v19, v47
	v_add_f32_e32 v19, v19, v21
	v_exp_f32_e32 v19, v19
	v_cvt_i32_f32_e32 v21, v47
	v_cmp_le_i32_e64 s[0:1], s37, v46
	v_cmp_gt_i32_e64 s[2:3], s38, v46
	s_and_b64 s[2:3], s[0:1], s[2:3]
	v_ldexp_f32 v19, v19, v21
	v_cmp_ngt_f32_e64 s[0:1], s52, v17
	v_ashrrev_i32_e32 v21, 31, v20
	v_cndmask_b32_e64 v19, 0, v19, s[0:1]
	v_cmp_nlt_f32_e64 s[0:1], s53, v17
	v_lshlrev_b64 v[48:49], 2, v[20:21]
	v_cndmask_b32_e64 v47, v42, v19, s[0:1]
	v_mov_b32_e32 v17, s35
	v_add_co_u32_e64 v48, s[0:1], s34, v48
	v_addc_co_u32_e64 v49, s[0:1], v17, v49, s[0:1]
	v_ashrrev_i32_e32 v19, 31, v18
	global_store_dword v[48:49], v47, off
	v_subrev_u32_e32 v17, s37, v46
	s_and_b64 s[0:1], s[44:45], s[2:3]
	v_lshlrev_b64 v[48:49], 2, v[18:19]
	v_cndmask_b32_e64 v17, v44, v17, s[0:1]
	s_waitcnt lgkmcnt(0)
	v_mov_b32_e32 v19, s41
	v_add_co_u32_e64 v48, s[0:1], s40, v48
	v_addc_co_u32_e64 v49, s[0:1], v19, v49, s[0:1]
	global_store_dword v[48:49], v17, off
	v_ashrrev_i32_e32 v17, 31, v16
	v_lshlrev_b64 v[48:49], 2, v[16:17]
	v_mov_b32_e32 v17, s43
	v_add_co_u32_e64 v48, s[0:1], s42, v48
	v_addc_co_u32_e64 v49, s[0:1], v17, v49, s[0:1]
	v_add_f32_e32 v24, v24, v47
	global_store_dword v[48:49], v41, off
.LBB192_16:                             ;   in Loop: Header=BB192_14 Depth=1
	s_or_b64 exec, exec, s[4:5]
	v_ashrrev_i32_e32 v17, 31, v46
	v_lshrrev_b32_e32 v19, 28, v17
	v_add_u32_e32 v19, v46, v19
	v_ashrrev_i32_e32 v19, 4, v19
	v_lshrrev_b32_e32 v21, 28, v19
	v_add_u32_e32 v21, v19, v21
	v_and_b32_e32 v21, -16, v21
	v_sub_u32_e32 v21, v19, v21
	v_cmp_eq_u32_e64 s[0:1], v23, v21
	s_and_saveexec_b64 s[48:49], s[0:1]
	s_cbranch_execz .LBB192_13
; %bb.17:                               ;   in Loop: Header=BB192_14 Depth=1
	v_add_u32_sdwa v17, v46, v17 dst_sel:DWORD dst_unused:UNUSED_PAD src0_sel:DWORD src1_sel:BYTE_3
	v_lshlrev_b32_e32 v19, 4, v19
	v_sub_u32_e32 v19, v46, v19
	v_ashrrev_i32_e32 v17, 8, v17
	v_lshl_add_u32 v17, v17, 4, v19
	v_cmp_ne_u32_e64 s[0:1], 14, v17
	v_cmp_ne_u32_e64 s[2:3], 13, v17
	;; [unrolled: 1-line block ×16, first 2 shown]
	v_cndmask_b32_e64 v15, v45, v15, s[30:31]
	v_cndmask_b32_e64 v14, v45, v14, s[0:1]
	;; [unrolled: 1-line block ×16, first 2 shown]
	s_branch .LBB192_13
.LBB192_18:
	v_cmp_eq_u32_e32 vcc, 0, v23
	v_cmp_neq_f32_e64 s[0:1], 0, v24
	s_and_b64 s[0:1], vcc, s[0:1]
	s_and_b64 exec, exec, s[0:1]
	s_cbranch_execz .LBB192_29
; %bb.19:
	s_andn2_b64 vcc, exec, s[46:47]
	s_cbranch_vccnz .LBB192_29
; %bb.20:
	v_div_scale_f32 v0, s[0:1], v24, v24, 1.0
	v_rcp_f32_e32 v1, v0
	v_div_scale_f32 v2, vcc, 1.0, v24, 1.0
	s_cmp_gt_u32 s36, 3
	v_fma_f32 v3, -v0, v1, 1.0
	v_fmac_f32_e32 v1, v3, v1
	v_mul_f32_e32 v3, v2, v1
	v_fma_f32 v4, -v0, v3, v2
	v_fmac_f32_e32 v3, v4, v1
	v_fma_f32 v0, -v0, v3, v2
	v_div_fmas_f32 v0, v0, v1, v3
	v_mul_lo_u32 v2, v22, s39
	v_div_fixup_f32 v0, v0, v24, 1.0
	v_ashrrev_i32_e32 v3, 31, v2
	s_cbranch_scc0 .LBB192_24
; %bb.21:
	v_lshlrev_b64 v[4:5], 2, v[2:3]
	v_mov_b32_e32 v6, s35
	v_add_co_u32_e32 v4, vcc, s34, v4
	v_addc_co_u32_e32 v5, vcc, v5, v6, vcc
	s_and_b32 s4, s36, 0x7ffffffc
	v_add_co_u32_e32 v4, vcc, 8, v4
	v_mov_b32_e32 v1, v0
	v_addc_co_u32_e32 v5, vcc, 0, v5, vcc
	s_mov_b32 s0, s4
.LBB192_22:                             ; =>This Inner Loop Header: Depth=1
	global_load_dwordx4 v[6:9], v[4:5], off offset:-8
	s_add_i32 s0, s0, -4
	s_cmp_lg_u32 s0, 0
	s_waitcnt vmcnt(0)
	v_pk_mul_f32 v[6:7], v[0:1], v[6:7]
	v_pk_mul_f32 v[8:9], v[0:1], v[8:9]
	global_store_dwordx4 v[4:5], v[6:9], off offset:-8
	v_add_co_u32_e32 v4, vcc, 16, v4
	v_addc_co_u32_e32 v5, vcc, 0, v5, vcc
	s_cbranch_scc1 .LBB192_22
; %bb.23:
	s_cmp_lg_u32 s4, s36
	s_cselect_b64 s[0:1], -1, 0
	s_branch .LBB192_26
.LBB192_24:
	s_mov_b64 s[0:1], 0
                                        ; implicit-def: $sgpr4
	s_cbranch_execz .LBB192_26
; %bb.25:
	s_mov_b64 s[0:1], -1
	s_mov_b32 s4, 0
.LBB192_26:
	s_andn2_b64 vcc, exec, s[0:1]
	s_cbranch_vccnz .LBB192_29
; %bb.27:
	v_add_co_u32_e32 v2, vcc, s4, v2
	v_addc_co_u32_e32 v3, vcc, 0, v3, vcc
	v_lshlrev_b64 v[2:3], 2, v[2:3]
	v_mov_b32_e32 v1, s35
	v_add_co_u32_e32 v2, vcc, s34, v2
	s_sub_i32 s0, s36, s4
	v_addc_co_u32_e32 v3, vcc, v1, v3, vcc
.LBB192_28:                             ; =>This Inner Loop Header: Depth=1
	global_load_dword v1, v[2:3], off
	s_add_i32 s0, s0, -1
	s_cmp_lg_u32 s0, 0
	s_waitcnt vmcnt(0)
	v_mul_f32_e32 v1, v0, v1
	global_store_dword v[2:3], v1, off
	v_add_co_u32_e32 v2, vcc, 4, v2
	v_addc_co_u32_e32 v3, vcc, 0, v3, vcc
	s_cbranch_scc1 .LBB192_28
.LBB192_29:
	s_endpgm
	.section	.rodata,"a",@progbits
	.p2align	6, 0x0
	.amdhsa_kernel _ZN4vllm3moe17topkGatingSoftmaxIDF16_Li16ELi256ELi8ELi32ELb1ELi4ELNS0_23SharedExpertScoringFuncE1EEEvPKT_PKbPfiPiS9_iiiiii
		.amdhsa_group_segment_fixed_size 0
		.amdhsa_private_segment_fixed_size 0
		.amdhsa_kernarg_size 72
		.amdhsa_user_sgpr_count 6
		.amdhsa_user_sgpr_private_segment_buffer 1
		.amdhsa_user_sgpr_dispatch_ptr 0
		.amdhsa_user_sgpr_queue_ptr 0
		.amdhsa_user_sgpr_kernarg_segment_ptr 1
		.amdhsa_user_sgpr_dispatch_id 0
		.amdhsa_user_sgpr_flat_scratch_init 0
		.amdhsa_user_sgpr_kernarg_preload_length 0
		.amdhsa_user_sgpr_kernarg_preload_offset 0
		.amdhsa_user_sgpr_private_segment_size 0
		.amdhsa_uses_dynamic_stack 0
		.amdhsa_system_sgpr_private_segment_wavefront_offset 0
		.amdhsa_system_sgpr_workgroup_id_x 1
		.amdhsa_system_sgpr_workgroup_id_y 0
		.amdhsa_system_sgpr_workgroup_id_z 0
		.amdhsa_system_sgpr_workgroup_info 0
		.amdhsa_system_vgpr_workitem_id 1
		.amdhsa_next_free_vgpr 50
		.amdhsa_next_free_sgpr 54
		.amdhsa_accum_offset 52
		.amdhsa_reserve_vcc 1
		.amdhsa_reserve_flat_scratch 0
		.amdhsa_float_round_mode_32 0
		.amdhsa_float_round_mode_16_64 0
		.amdhsa_float_denorm_mode_32 3
		.amdhsa_float_denorm_mode_16_64 3
		.amdhsa_dx10_clamp 1
		.amdhsa_ieee_mode 1
		.amdhsa_fp16_overflow 0
		.amdhsa_tg_split 0
		.amdhsa_exception_fp_ieee_invalid_op 0
		.amdhsa_exception_fp_denorm_src 0
		.amdhsa_exception_fp_ieee_div_zero 0
		.amdhsa_exception_fp_ieee_overflow 0
		.amdhsa_exception_fp_ieee_underflow 0
		.amdhsa_exception_fp_ieee_inexact 0
		.amdhsa_exception_int_div_zero 0
	.end_amdhsa_kernel
	.section	.text._ZN4vllm3moe17topkGatingSoftmaxIDF16_Li16ELi256ELi8ELi32ELb1ELi4ELNS0_23SharedExpertScoringFuncE1EEEvPKT_PKbPfiPiS9_iiiiii,"axG",@progbits,_ZN4vllm3moe17topkGatingSoftmaxIDF16_Li16ELi256ELi8ELi32ELb1ELi4ELNS0_23SharedExpertScoringFuncE1EEEvPKT_PKbPfiPiS9_iiiiii,comdat
.Lfunc_end192:
	.size	_ZN4vllm3moe17topkGatingSoftmaxIDF16_Li16ELi256ELi8ELi32ELb1ELi4ELNS0_23SharedExpertScoringFuncE1EEEvPKT_PKbPfiPiS9_iiiiii, .Lfunc_end192-_ZN4vllm3moe17topkGatingSoftmaxIDF16_Li16ELi256ELi8ELi32ELb1ELi4ELNS0_23SharedExpertScoringFuncE1EEEvPKT_PKbPfiPiS9_iiiiii
                                        ; -- End function
	.section	.AMDGPU.csdata,"",@progbits
; Kernel info:
; codeLenInByte = 3480
; NumSgprs: 58
; NumVgprs: 50
; NumAgprs: 0
; TotalNumVgprs: 50
; ScratchSize: 0
; MemoryBound: 0
; FloatMode: 240
; IeeeMode: 1
; LDSByteSize: 0 bytes/workgroup (compile time only)
; SGPRBlocks: 7
; VGPRBlocks: 6
; NumSGPRsForWavesPerEU: 58
; NumVGPRsForWavesPerEU: 50
; AccumOffset: 52
; Occupancy: 8
; WaveLimiterHint : 0
; COMPUTE_PGM_RSRC2:SCRATCH_EN: 0
; COMPUTE_PGM_RSRC2:USER_SGPR: 6
; COMPUTE_PGM_RSRC2:TRAP_HANDLER: 0
; COMPUTE_PGM_RSRC2:TGID_X_EN: 1
; COMPUTE_PGM_RSRC2:TGID_Y_EN: 0
; COMPUTE_PGM_RSRC2:TGID_Z_EN: 0
; COMPUTE_PGM_RSRC2:TIDIG_COMP_CNT: 1
; COMPUTE_PGM_RSRC3_GFX90A:ACCUM_OFFSET: 12
; COMPUTE_PGM_RSRC3_GFX90A:TG_SPLIT: 0
	.section	.text._ZN4vllm3moe17topkGatingSoftmaxIDF16_Li16ELi256ELi8ELi32ELb0ELi4ELNS0_23SharedExpertScoringFuncE1EEEvPKT_PKbPfiPiS9_iiiiii,"axG",@progbits,_ZN4vllm3moe17topkGatingSoftmaxIDF16_Li16ELi256ELi8ELi32ELb0ELi4ELNS0_23SharedExpertScoringFuncE1EEEvPKT_PKbPfiPiS9_iiiiii,comdat
	.protected	_ZN4vllm3moe17topkGatingSoftmaxIDF16_Li16ELi256ELi8ELi32ELb0ELi4ELNS0_23SharedExpertScoringFuncE1EEEvPKT_PKbPfiPiS9_iiiiii ; -- Begin function _ZN4vllm3moe17topkGatingSoftmaxIDF16_Li16ELi256ELi8ELi32ELb0ELi4ELNS0_23SharedExpertScoringFuncE1EEEvPKT_PKbPfiPiS9_iiiiii
	.globl	_ZN4vllm3moe17topkGatingSoftmaxIDF16_Li16ELi256ELi8ELi32ELb0ELi4ELNS0_23SharedExpertScoringFuncE1EEEvPKT_PKbPfiPiS9_iiiiii
	.p2align	8
	.type	_ZN4vllm3moe17topkGatingSoftmaxIDF16_Li16ELi256ELi8ELi32ELb0ELi4ELNS0_23SharedExpertScoringFuncE1EEEvPKT_PKbPfiPiS9_iiiiii,@function
_ZN4vllm3moe17topkGatingSoftmaxIDF16_Li16ELi256ELi8ELi32ELb0ELi4ELNS0_23SharedExpertScoringFuncE1EEEvPKT_PKbPfiPiS9_iiiiii: ; @_ZN4vllm3moe17topkGatingSoftmaxIDF16_Li16ELi256ELi8ELi32ELb0ELi4ELNS0_23SharedExpertScoringFuncE1EEEvPKT_PKbPfiPiS9_iiiiii
; %bb.0:
	s_load_dword s33, s[4:5], 0x18
	v_bfe_u32 v1, v0, 10, 10
	v_and_b32_e32 v0, 0x3ff, v0
	s_lshl_b32 s50, s6, 5
	v_lshlrev_b32_e32 v42, 2, v1
	v_lshrrev_b32_e32 v43, 4, v0
	v_add3_u32 v22, s50, v42, v43
	s_waitcnt lgkmcnt(0)
	v_cmp_gt_i32_e32 vcc, s33, v22
	s_and_saveexec_b64 s[0:1], vcc
	s_cbranch_execz .LBB193_31
; %bb.1:
	s_load_dwordx4 s[0:3], s[4:5], 0x0
	s_load_dwordx2 s[34:35], s[4:5], 0x10
	s_waitcnt lgkmcnt(0)
	s_cmp_eq_u64 s[2:3], 0
	s_cbranch_scc1 .LBB193_3
; %bb.2:
	v_ashrrev_i32_e32 v1, 31, v22
	v_mov_b32_e32 v3, s3
	v_add_co_u32_e32 v2, vcc, s2, v22
	v_addc_co_u32_e32 v3, vcc, v3, v1, vcc
	global_load_ubyte v1, v[2:3], off
	s_waitcnt vmcnt(0)
	v_and_b32_e32 v1, 1, v1
	v_cmp_eq_u32_e32 vcc, 1, v1
	s_xor_b64 s[2:3], vcc, -1
	s_orn2_b64 s[46:47], s[2:3], exec
	s_branch .LBB193_4
.LBB193_3:
	s_mov_b64 s[46:47], -1
.LBB193_4:
	s_load_dwordx2 s[6:7], s[4:5], 0x40
	s_load_dwordx4 s[36:39], s[4:5], 0x30
	v_mov_b32_e32 v4, s1
	v_and_b32_e32 v23, 15, v0
	v_lshlrev_b32_e32 v0, 5, v23
	s_waitcnt lgkmcnt(0)
	v_mul_lo_u32 v2, v22, s7
	v_ashrrev_i32_e32 v3, 31, v2
	v_lshlrev_b64 v[2:3], 1, v[2:3]
	v_add_co_u32_e32 v1, vcc, s0, v2
	v_addc_co_u32_e32 v2, vcc, v4, v3, vcc
	v_add_co_u32_e32 v8, vcc, v1, v0
	v_addc_co_u32_e32 v9, vcc, 0, v2, vcc
	global_load_dwordx4 v[12:15], v[8:9], off offset:16
	global_load_dwordx4 v[4:7], v[8:9], off
	v_lshlrev_b32_e32 v26, 4, v23
	v_mov_b32_e32 v24, 0
	v_cmp_gt_u32_e32 vcc, 4, v23
	s_and_saveexec_b64 s[0:1], vcc
	s_cbranch_execz .LBB193_6
; %bb.5:
	v_lshlrev_b32_e32 v0, 1, v23
	v_add_co_u32_e32 v0, vcc, v1, v0
	v_addc_co_u32_e32 v1, vcc, 0, v2, vcc
	global_load_ushort v0, v[0:1], off offset:512
	s_mov_b32 s2, 0x3fb8aa3b
	s_mov_b32 s3, 0x32a5705f
	;; [unrolled: 1-line block ×4, first 2 shown]
	v_mov_b32_e32 v3, 0x7f800000
	v_mul_lo_u32 v1, v22, s39
	s_waitcnt vmcnt(0)
	v_cvt_f32_f16_e64 v2, -v0
	v_mul_f32_e32 v8, 0x3fb8aa3b, v2
	v_fma_mix_f32 v9, -v0, s2, -v8 op_sel_hi:[1,0,0]
	v_rndne_f32_e32 v10, v8
	v_fma_mix_f32 v0, -v0, s3, v9 op_sel_hi:[1,0,0]
	v_sub_f32_e32 v8, v8, v10
	v_add_f32_e32 v0, v8, v0
	v_cvt_i32_f32_e32 v9, v10
	v_exp_f32_e32 v8, v0
	v_cmp_ngt_f32_e32 vcc, s7, v2
	v_add3_u32 v0, v1, s36, v23
	v_ashrrev_i32_e32 v1, 31, v0
	v_ldexp_f32 v8, v8, v9
	v_cndmask_b32_e32 v8, 0, v8, vcc
	v_cmp_nlt_f32_e32 vcc, s8, v2
	v_cndmask_b32_e32 v2, v3, v8, vcc
	v_add_f32_e32 v2, 1.0, v2
	v_div_scale_f32 v3, s[2:3], v2, v2, 1.0
	v_rcp_f32_e32 v8, v3
	v_div_scale_f32 v9, vcc, 1.0, v2, 1.0
	v_lshlrev_b64 v[0:1], 2, v[0:1]
	v_fma_f32 v11, -v3, v8, 1.0
	v_fmac_f32_e32 v8, v11, v8
	v_mul_f32_e32 v11, v9, v8
	v_fma_f32 v16, -v3, v11, v9
	v_fmac_f32_e32 v11, v16, v8
	v_fma_f32 v3, -v3, v11, v9
	v_mov_b32_e32 v10, s35
	v_div_fmas_f32 v3, v3, v8, v11
	v_add_co_u32_e32 v0, vcc, s34, v0
	v_div_fixup_f32 v2, v3, v2, 1.0
	v_addc_co_u32_e32 v1, vcc, v10, v1, vcc
	global_store_dword v[0:1], v2, off
.LBB193_6:
	s_or_b64 exec, exec, s[0:1]
	s_waitcnt vmcnt(0)
	v_cvt_f32_f16_e32 v0, v4
	v_cvt_f32_f16_sdwa v1, v4 dst_sel:DWORD dst_unused:UNUSED_PAD src0_sel:WORD_1
	v_cvt_f32_f16_e32 v2, v5
	v_cmp_lt_f16_sdwa vcc, v4, v4 src0_sel:DWORD src1_sel:WORD_1
	v_or_b32_e32 v27, 1, v26
	v_cndmask_b32_e32 v4, v0, v1, vcc
	v_cndmask_b32_e32 v3, v26, v27, vcc
	v_or_b32_e32 v28, 2, v26
	v_cmp_lt_f32_e32 vcc, v4, v2
	v_cndmask_b32_e32 v8, v3, v28, vcc
	v_cvt_f32_f16_sdwa v3, v5 dst_sel:DWORD dst_unused:UNUSED_PAD src0_sel:WORD_1
	v_cndmask_b32_e32 v4, v4, v2, vcc
	v_or_b32_e32 v29, 3, v26
	v_or_b32_e32 v30, 4, v26
	v_cmp_lt_f32_e32 vcc, v4, v3
	v_cndmask_b32_e32 v5, v8, v29, vcc
	v_cndmask_b32_e32 v8, v4, v3, vcc
	v_cvt_f32_f16_e32 v4, v6
	v_or_b32_e32 v31, 5, v26
	v_or_b32_e32 v32, 6, v26
	;; [unrolled: 1-line block ×3, first 2 shown]
	v_cmp_lt_f32_e32 vcc, v8, v4
	v_cndmask_b32_e32 v9, v5, v30, vcc
	v_cvt_f32_f16_sdwa v5, v6 dst_sel:DWORD dst_unused:UNUSED_PAD src0_sel:WORD_1
	v_cvt_f32_f16_e32 v6, v7
	v_cndmask_b32_e32 v8, v8, v4, vcc
	v_cvt_f32_f16_sdwa v7, v7 dst_sel:DWORD dst_unused:UNUSED_PAD src0_sel:WORD_1
	v_cmp_lt_f32_e32 vcc, v8, v5
	v_cndmask_b32_e32 v8, v8, v5, vcc
	v_cndmask_b32_e32 v9, v9, v31, vcc
	v_cmp_lt_f32_e32 vcc, v8, v6
	v_cndmask_b32_e32 v8, v8, v6, vcc
	v_cndmask_b32_e32 v9, v9, v32, vcc
	v_cmp_lt_f32_e32 vcc, v8, v7
	v_cndmask_b32_e32 v10, v8, v7, vcc
	v_cvt_f32_f16_e32 v8, v12
	v_cndmask_b32_e32 v9, v9, v33, vcc
	v_or_b32_e32 v34, 8, v26
	v_or_b32_e32 v35, 9, v26
	v_cmp_lt_f32_e32 vcc, v10, v8
	v_cndmask_b32_e32 v11, v9, v34, vcc
	v_cvt_f32_f16_sdwa v9, v12 dst_sel:DWORD dst_unused:UNUSED_PAD src0_sel:WORD_1
	v_cndmask_b32_e32 v10, v10, v8, vcc
	v_or_b32_e32 v36, 10, v26
	v_or_b32_e32 v37, 11, v26
	v_cmp_lt_f32_e32 vcc, v10, v9
	v_cndmask_b32_e32 v12, v10, v9, vcc
	v_cvt_f32_f16_e32 v10, v13
	v_cndmask_b32_e32 v11, v11, v35, vcc
	v_or_b32_e32 v38, 12, v26
	v_or_b32_e32 v39, 13, v26
	v_cmp_lt_f32_e32 vcc, v12, v10
	v_cndmask_b32_e32 v16, v11, v36, vcc
	v_cvt_f32_f16_sdwa v11, v13 dst_sel:DWORD dst_unused:UNUSED_PAD src0_sel:WORD_1
	v_cndmask_b32_e32 v12, v12, v10, vcc
	v_or_b32_e32 v40, 14, v26
	v_or_b32_e32 v41, 15, v26
	v_cmp_lt_f32_e32 vcc, v12, v11
	v_cndmask_b32_e32 v13, v16, v37, vcc
	v_cndmask_b32_e32 v16, v12, v11, vcc
	v_cvt_f32_f16_e32 v12, v14
	v_cmp_lt_f32_e32 vcc, v16, v12
	v_cndmask_b32_e32 v17, v13, v38, vcc
	v_cvt_f32_f16_sdwa v13, v14 dst_sel:DWORD dst_unused:UNUSED_PAD src0_sel:WORD_1
	v_cvt_f32_f16_e32 v14, v15
	v_cndmask_b32_e32 v16, v16, v12, vcc
	v_cvt_f32_f16_sdwa v15, v15 dst_sel:DWORD dst_unused:UNUSED_PAD src0_sel:WORD_1
	v_cmp_lt_f32_e32 vcc, v16, v13
	v_cndmask_b32_e32 v16, v16, v13, vcc
	v_cndmask_b32_e32 v17, v17, v39, vcc
	v_cmp_lt_f32_e32 vcc, v16, v14
	v_cndmask_b32_e32 v16, v16, v14, vcc
	v_cndmask_b32_e32 v17, v17, v40, vcc
	;; [unrolled: 3-line block ×3, first 2 shown]
	s_nop 0
	v_mov_b32_dpp v19, v17 quad_perm:[1,0,3,2] row_mask:0xf bank_mask:0xf
	v_mov_b32_dpp v18, v16 quad_perm:[1,0,3,2] row_mask:0xf bank_mask:0xf
	v_cmp_eq_f32_e64 s[0:1], v16, v18
	v_cmp_lt_i32_e64 s[2:3], v19, v17
	v_cmp_lt_f32_e32 vcc, v16, v18
	s_and_b64 s[0:1], s[0:1], s[2:3]
	s_or_b64 vcc, vcc, s[0:1]
	v_cndmask_b32_e32 v16, v16, v18, vcc
	v_cndmask_b32_e32 v17, v17, v19, vcc
	s_nop 0
	v_mov_b32_dpp v18, v16 quad_perm:[2,3,0,1] row_mask:0xf bank_mask:0xf
	v_mov_b32_dpp v19, v17 quad_perm:[2,3,0,1] row_mask:0xf bank_mask:0xf
	v_cmp_eq_f32_e64 s[0:1], v16, v18
	v_cmp_lt_i32_e64 s[2:3], v19, v17
	v_cmp_lt_f32_e32 vcc, v16, v18
	s_and_b64 s[0:1], s[0:1], s[2:3]
	s_or_b64 vcc, vcc, s[0:1]
	v_cndmask_b32_e32 v16, v16, v18, vcc
	v_cndmask_b32_e32 v17, v17, v19, vcc
	s_nop 0
	v_mov_b32_dpp v18, v16 row_half_mirror row_mask:0xf bank_mask:0xf
	v_mov_b32_dpp v19, v17 row_half_mirror row_mask:0xf bank_mask:0xf
	v_cmp_eq_f32_e64 s[0:1], v16, v18
	v_cmp_lt_i32_e64 s[2:3], v19, v17
	v_cmp_lt_f32_e32 vcc, v16, v18
	s_and_b64 s[0:1], s[0:1], s[2:3]
	s_or_b64 vcc, vcc, s[0:1]
	v_cndmask_b32_e32 v18, v16, v18, vcc
	v_cndmask_b32_e32 v16, v17, v19, vcc
	s_nop 0
	v_mov_b32_dpp v19, v18 row_mirror row_mask:0xf bank_mask:0xf
	v_mov_b32_dpp v17, v16 row_mirror row_mask:0xf bank_mask:0xf
	v_cmp_eq_f32_e64 s[0:1], v18, v19
	v_cmp_lt_i32_e64 s[2:3], v17, v16
	v_cmp_lt_f32_e32 vcc, v18, v19
	s_and_b64 s[0:1], s[0:1], s[2:3]
	s_or_b64 s[0:1], vcc, s[0:1]
	s_cmp_gt_i32 s36, 0
	v_cndmask_b32_e64 v25, v18, v19, s[0:1]
	s_cselect_b64 s[44:45], -1, 0
	s_cmp_lt_i32 s36, 1
	v_cmp_eq_u32_e32 vcc, 0, v23
	s_cbranch_scc1 .LBB193_18
; %bb.7:
	s_load_dwordx4 s[40:43], s[4:5], 0x20
	v_cndmask_b32_e64 v44, v16, v17, s[0:1]
	v_mul_lo_u32 v20, v22, s39
	v_mul_lo_u32 v18, v22, s6
	;; [unrolled: 1-line block ×3, first 2 shown]
	v_mov_b32_e32 v24, 0
	s_and_saveexec_b64 s[4:5], vcc
	s_cbranch_execz .LBB193_9
; %bb.8:
	v_sub_f32_e32 v17, v25, v25
	v_mul_f32_e32 v19, 0x3fb8aa3b, v17
	s_mov_b32 s0, 0x3fb8aa3b
	v_rndne_f32_e32 v21, v19
	v_sub_f32_e32 v24, v19, v21
	v_fma_f32 v19, v17, s0, -v19
	v_fmac_f32_e32 v19, 0x32a5705f, v17
	v_add_f32_e32 v19, v24, v19
	v_exp_f32_e32 v19, v19
	v_cvt_i32_f32_e32 v21, v21
	v_cmp_le_i32_e64 s[0:1], s37, v44
	v_cmp_gt_i32_e64 s[2:3], s38, v44
	s_and_b64 s[2:3], s[0:1], s[2:3]
	s_mov_b32 s0, 0xc2ce8ed0
	v_ldexp_f32 v19, v19, v21
	v_cmp_ngt_f32_e64 s[0:1], s0, v17
	v_cndmask_b32_e64 v19, 0, v19, s[0:1]
	s_mov_b32 s0, 0x42b17218
	v_mov_b32_e32 v21, 0x7f800000
	v_cmp_nlt_f32_e64 s[0:1], s0, v17
	v_cndmask_b32_e64 v24, v21, v19, s[0:1]
	v_ashrrev_i32_e32 v21, 31, v20
	v_lshlrev_b64 v[46:47], 2, v[20:21]
	v_mov_b32_e32 v17, s35
	v_add_co_u32_e64 v46, s[0:1], s34, v46
	v_addc_co_u32_e64 v47, s[0:1], v17, v47, s[0:1]
	v_subrev_u32_e32 v17, s37, v44
	v_mov_b32_e32 v19, 0x100
	s_and_b64 s[0:1], s[46:47], s[2:3]
	v_cndmask_b32_e64 v17, v19, v17, s[0:1]
	v_ashrrev_i32_e32 v19, 31, v18
	global_store_dword v[46:47], v24, off
	v_lshlrev_b64 v[46:47], 2, v[18:19]
	s_waitcnt lgkmcnt(0)
	v_mov_b32_e32 v19, s41
	v_add_co_u32_e64 v46, s[0:1], s40, v46
	v_addc_co_u32_e64 v47, s[0:1], v19, v47, s[0:1]
	global_store_dword v[46:47], v17, off
	v_ashrrev_i32_e32 v17, 31, v16
	v_lshlrev_b64 v[46:47], 2, v[16:17]
	v_mov_b32_e32 v17, s43
	v_add_co_u32_e64 v46, s[0:1], s42, v46
	v_addc_co_u32_e64 v47, s[0:1], v17, v47, s[0:1]
	global_store_dword v[46:47], v22, off
.LBB193_9:
	s_or_b64 exec, exec, s[4:5]
	v_ashrrev_i32_e32 v17, 31, v44
	v_lshrrev_b32_e32 v19, 28, v17
	v_add_u32_e32 v19, v44, v19
	v_ashrrev_i32_e32 v19, 4, v19
	v_lshrrev_b32_e32 v21, 28, v19
	v_add_u32_e32 v21, v19, v21
	v_and_b32_e32 v21, -16, v21
	v_sub_u32_e32 v21, v19, v21
	v_cmp_eq_u32_e64 s[0:1], v23, v21
	s_and_saveexec_b64 s[48:49], s[0:1]
	s_cbranch_execz .LBB193_11
; %bb.10:
	v_add_u32_sdwa v17, v44, v17 dst_sel:DWORD dst_unused:UNUSED_PAD src0_sel:DWORD src1_sel:BYTE_3
	v_lshlrev_b32_e32 v19, 4, v19
	v_sub_u32_e32 v19, v44, v19
	v_ashrrev_i32_e32 v17, 8, v17
	v_lshl_add_u32 v17, v17, 4, v19
	v_mov_b32_e32 v19, 0xff800000
	v_cmp_ne_u32_e64 s[0:1], 14, v17
	v_cmp_ne_u32_e64 s[2:3], 13, v17
	;; [unrolled: 1-line block ×16, first 2 shown]
	v_cndmask_b32_e64 v15, v19, v15, s[30:31]
	v_cndmask_b32_e64 v14, v19, v14, s[0:1]
	v_cndmask_b32_e64 v13, v19, v13, s[2:3]
	v_cndmask_b32_e64 v12, v19, v12, s[4:5]
	v_cndmask_b32_e64 v11, v19, v11, s[6:7]
	v_cndmask_b32_e64 v10, v19, v10, s[8:9]
	v_cndmask_b32_e64 v9, v19, v9, s[10:11]
	v_cndmask_b32_e64 v8, v19, v8, s[12:13]
	v_cndmask_b32_e64 v7, v19, v7, s[14:15]
	v_cndmask_b32_e64 v6, v19, v6, s[16:17]
	v_cndmask_b32_e64 v5, v19, v5, s[18:19]
	v_cndmask_b32_e64 v4, v19, v4, s[20:21]
	v_cndmask_b32_e64 v3, v19, v3, s[22:23]
	v_cndmask_b32_e64 v2, v19, v2, s[24:25]
	v_cndmask_b32_e64 v1, v19, v1, s[26:27]
	v_cndmask_b32_e64 v0, v19, v0, s[28:29]
.LBB193_11:
	s_or_b64 exec, exec, s[48:49]
	s_cmp_eq_u32 s36, 1
	s_cbranch_scc1 .LBB193_18
; %bb.12:
	s_add_i32 s50, s50, s33
	s_add_i32 s51, s36, -1
	v_add3_u32 v42, s50, v43, v42
	v_add_u32_e32 v16, 1, v16
	v_add_u32_e32 v18, 1, v18
	;; [unrolled: 1-line block ×3, first 2 shown]
	s_mov_b32 s50, 0x3fb8aa3b
	s_mov_b32 s52, 0xc2ce8ed0
	;; [unrolled: 1-line block ×3, first 2 shown]
	v_mov_b32_e32 v43, 0x7f800000
	v_mov_b32_e32 v44, 0x100
	;; [unrolled: 1-line block ×3, first 2 shown]
	s_branch .LBB193_14
.LBB193_13:                             ;   in Loop: Header=BB193_14 Depth=1
	s_or_b64 exec, exec, s[48:49]
	s_add_i32 s51, s51, -1
	v_add_u32_e32 v42, s33, v42
	v_add_u32_e32 v16, 1, v16
	;; [unrolled: 1-line block ×3, first 2 shown]
	s_cmp_eq_u32 s51, 0
	v_add_u32_e32 v20, 1, v20
	s_cbranch_scc1 .LBB193_18
.LBB193_14:                             ; =>This Inner Loop Header: Depth=1
	v_cmp_gt_f32_e64 s[0:1], v1, v0
	v_cndmask_b32_e64 v19, v0, v1, s[0:1]
	v_cndmask_b32_e64 v17, v26, v27, s[0:1]
	v_cmp_gt_f32_e64 s[0:1], v2, v19
	v_cndmask_b32_e64 v19, v19, v2, s[0:1]
	v_cndmask_b32_e64 v17, v17, v28, s[0:1]
	;; [unrolled: 3-line block ×15, first 2 shown]
	s_nop 0
	v_mov_b32_dpp v46, v17 quad_perm:[1,0,3,2] row_mask:0xf bank_mask:0xf
	v_mov_b32_dpp v21, v19 quad_perm:[1,0,3,2] row_mask:0xf bank_mask:0xf
	v_cmp_eq_f32_e64 s[2:3], v19, v21
	v_cmp_lt_i32_e64 s[4:5], v46, v17
	v_cmp_lt_f32_e64 s[0:1], v19, v21
	s_and_b64 s[2:3], s[2:3], s[4:5]
	s_or_b64 s[0:1], s[0:1], s[2:3]
	v_cndmask_b32_e64 v19, v19, v21, s[0:1]
	v_cndmask_b32_e64 v17, v17, v46, s[0:1]
	s_nop 0
	v_mov_b32_dpp v21, v19 quad_perm:[2,3,0,1] row_mask:0xf bank_mask:0xf
	v_mov_b32_dpp v46, v17 quad_perm:[2,3,0,1] row_mask:0xf bank_mask:0xf
	v_cmp_eq_f32_e64 s[2:3], v19, v21
	v_cmp_lt_i32_e64 s[4:5], v46, v17
	v_cmp_lt_f32_e64 s[0:1], v19, v21
	s_and_b64 s[2:3], s[2:3], s[4:5]
	s_or_b64 s[0:1], s[0:1], s[2:3]
	v_cndmask_b32_e64 v19, v19, v21, s[0:1]
	v_cndmask_b32_e64 v21, v17, v46, s[0:1]
	s_nop 0
	v_mov_b32_dpp v17, v19 row_half_mirror row_mask:0xf bank_mask:0xf
	v_mov_b32_dpp v46, v21 row_half_mirror row_mask:0xf bank_mask:0xf
	v_cmp_eq_f32_e64 s[2:3], v19, v17
	v_cmp_lt_i32_e64 s[4:5], v46, v21
	v_cmp_lt_f32_e64 s[0:1], v19, v17
	s_and_b64 s[2:3], s[2:3], s[4:5]
	s_or_b64 s[0:1], s[0:1], s[2:3]
	v_cndmask_b32_e64 v17, v19, v17, s[0:1]
	v_cndmask_b32_e64 v21, v21, v46, s[0:1]
	s_nop 0
	v_mov_b32_dpp v19, v17 row_mirror row_mask:0xf bank_mask:0xf
	v_mov_b32_dpp v46, v21 row_mirror row_mask:0xf bank_mask:0xf
	v_cmp_eq_f32_e64 s[2:3], v17, v19
	v_cmp_lt_i32_e64 s[4:5], v46, v21
	v_cmp_lt_f32_e64 s[0:1], v17, v19
	s_and_b64 s[2:3], s[2:3], s[4:5]
	s_or_b64 s[0:1], s[0:1], s[2:3]
	v_cndmask_b32_e64 v46, v21, v46, s[0:1]
	s_and_saveexec_b64 s[4:5], vcc
	s_cbranch_execz .LBB193_16
; %bb.15:                               ;   in Loop: Header=BB193_14 Depth=1
	v_cndmask_b32_e64 v17, v17, v19, s[0:1]
	v_sub_f32_e32 v17, v17, v25
	v_mul_f32_e32 v19, 0x3fb8aa3b, v17
	v_fma_f32 v21, v17, s50, -v19
	v_rndne_f32_e32 v47, v19
	v_fmac_f32_e32 v21, 0x32a5705f, v17
	v_sub_f32_e32 v19, v19, v47
	v_add_f32_e32 v19, v19, v21
	v_exp_f32_e32 v19, v19
	v_cvt_i32_f32_e32 v21, v47
	v_cmp_le_i32_e64 s[0:1], s37, v46
	v_cmp_gt_i32_e64 s[2:3], s38, v46
	s_and_b64 s[2:3], s[0:1], s[2:3]
	v_ldexp_f32 v19, v19, v21
	v_cmp_ngt_f32_e64 s[0:1], s52, v17
	v_ashrrev_i32_e32 v21, 31, v20
	v_cndmask_b32_e64 v19, 0, v19, s[0:1]
	v_cmp_nlt_f32_e64 s[0:1], s53, v17
	v_lshlrev_b64 v[48:49], 2, v[20:21]
	v_cndmask_b32_e64 v47, v43, v19, s[0:1]
	v_mov_b32_e32 v17, s35
	v_add_co_u32_e64 v48, s[0:1], s34, v48
	v_addc_co_u32_e64 v49, s[0:1], v17, v49, s[0:1]
	v_ashrrev_i32_e32 v19, 31, v18
	global_store_dword v[48:49], v47, off
	v_subrev_u32_e32 v17, s37, v46
	s_and_b64 s[0:1], s[46:47], s[2:3]
	v_lshlrev_b64 v[48:49], 2, v[18:19]
	v_cndmask_b32_e64 v17, v44, v17, s[0:1]
	s_waitcnt lgkmcnt(0)
	v_mov_b32_e32 v19, s41
	v_add_co_u32_e64 v48, s[0:1], s40, v48
	v_addc_co_u32_e64 v49, s[0:1], v19, v49, s[0:1]
	global_store_dword v[48:49], v17, off
	v_ashrrev_i32_e32 v17, 31, v16
	v_lshlrev_b64 v[48:49], 2, v[16:17]
	v_mov_b32_e32 v17, s43
	v_add_co_u32_e64 v48, s[0:1], s42, v48
	v_addc_co_u32_e64 v49, s[0:1], v17, v49, s[0:1]
	v_add_f32_e32 v24, v24, v47
	global_store_dword v[48:49], v42, off
.LBB193_16:                             ;   in Loop: Header=BB193_14 Depth=1
	s_or_b64 exec, exec, s[4:5]
	v_ashrrev_i32_e32 v17, 31, v46
	v_lshrrev_b32_e32 v19, 28, v17
	v_add_u32_e32 v19, v46, v19
	v_ashrrev_i32_e32 v19, 4, v19
	v_lshrrev_b32_e32 v21, 28, v19
	v_add_u32_e32 v21, v19, v21
	v_and_b32_e32 v21, -16, v21
	v_sub_u32_e32 v21, v19, v21
	v_cmp_eq_u32_e64 s[0:1], v23, v21
	s_and_saveexec_b64 s[48:49], s[0:1]
	s_cbranch_execz .LBB193_13
; %bb.17:                               ;   in Loop: Header=BB193_14 Depth=1
	v_add_u32_sdwa v17, v46, v17 dst_sel:DWORD dst_unused:UNUSED_PAD src0_sel:DWORD src1_sel:BYTE_3
	v_lshlrev_b32_e32 v19, 4, v19
	v_sub_u32_e32 v19, v46, v19
	v_ashrrev_i32_e32 v17, 8, v17
	v_lshl_add_u32 v17, v17, 4, v19
	v_cmp_ne_u32_e64 s[0:1], 14, v17
	v_cmp_ne_u32_e64 s[2:3], 13, v17
	;; [unrolled: 1-line block ×16, first 2 shown]
	v_cndmask_b32_e64 v15, v45, v15, s[30:31]
	v_cndmask_b32_e64 v14, v45, v14, s[0:1]
	;; [unrolled: 1-line block ×16, first 2 shown]
	s_branch .LBB193_13
.LBB193_18:
	v_sub_f32_e32 v0, v0, v25
	s_mov_b32 s2, 0x3fb8aa3b
	v_mul_f32_e32 v16, 0x3fb8aa3b, v0
	v_fma_f32 v17, v0, s2, -v16
	v_rndne_f32_e32 v18, v16
	v_fmac_f32_e32 v17, 0x32a5705f, v0
	v_sub_f32_e32 v16, v16, v18
	v_add_f32_e32 v16, v16, v17
	v_exp_f32_e32 v16, v16
	v_cvt_i32_f32_e32 v17, v18
	v_sub_f32_e32 v1, v1, v25
	s_mov_b32 s4, 0xc2ce8ed0
	s_mov_b32 s3, 0x42b17218
	v_ldexp_f32 v16, v16, v17
	v_mul_f32_e32 v17, 0x3fb8aa3b, v1
	v_fma_f32 v18, v1, s2, -v17
	v_rndne_f32_e32 v19, v17
	v_fmac_f32_e32 v18, 0x32a5705f, v1
	v_sub_f32_e32 v17, v17, v19
	v_add_f32_e32 v17, v17, v18
	v_exp_f32_e32 v17, v17
	v_cvt_i32_f32_e32 v18, v19
	v_cmp_ngt_f32_e32 vcc, s4, v1
	v_cmp_ngt_f32_e64 s[0:1], s4, v0
	v_sub_f32_e32 v2, v2, v25
	v_ldexp_f32 v17, v17, v18
	v_cndmask_b32_e32 v17, 0, v17, vcc
	v_mov_b32_e32 v18, 0x7f800000
	v_cmp_nlt_f32_e32 vcc, s3, v1
	v_cndmask_b32_e64 v1, 0, v16, s[0:1]
	v_cmp_nlt_f32_e64 s[0:1], s3, v0
	v_cndmask_b32_e64 v0, v18, v1, s[0:1]
	v_cndmask_b32_e32 v1, v18, v17, vcc
	v_add_f32_e32 v0, v0, v1
	v_mul_f32_e32 v1, 0x3fb8aa3b, v2
	v_fma_f32 v16, v2, s2, -v1
	v_rndne_f32_e32 v17, v1
	v_fmac_f32_e32 v16, 0x32a5705f, v2
	v_sub_f32_e32 v1, v1, v17
	v_add_f32_e32 v1, v1, v16
	v_exp_f32_e32 v1, v1
	v_cvt_i32_f32_e32 v16, v17
	v_cmp_ngt_f32_e32 vcc, s4, v2
	v_sub_f32_e32 v3, v3, v25
	v_sub_f32_e32 v4, v4, v25
	v_ldexp_f32 v1, v1, v16
	v_cndmask_b32_e32 v1, 0, v1, vcc
	v_cmp_nlt_f32_e32 vcc, s3, v2
	v_cndmask_b32_e32 v1, v18, v1, vcc
	v_add_f32_e32 v0, v0, v1
	v_mul_f32_e32 v1, 0x3fb8aa3b, v3
	v_fma_f32 v2, v3, s2, -v1
	v_rndne_f32_e32 v16, v1
	v_fmac_f32_e32 v2, 0x32a5705f, v3
	v_sub_f32_e32 v1, v1, v16
	v_add_f32_e32 v1, v1, v2
	v_exp_f32_e32 v1, v1
	v_cvt_i32_f32_e32 v2, v16
	v_cmp_ngt_f32_e32 vcc, s4, v3
	v_sub_f32_e32 v5, v5, v25
	v_sub_f32_e32 v6, v6, v25
	v_ldexp_f32 v1, v1, v2
	v_cndmask_b32_e32 v1, 0, v1, vcc
	v_cmp_nlt_f32_e32 vcc, s3, v3
	;; [unrolled: 16-line block ×5, first 2 shown]
	v_cndmask_b32_e32 v1, v18, v1, vcc
	v_add_f32_e32 v0, v0, v1
	v_mul_f32_e32 v1, 0x3fb8aa3b, v7
	v_fma_f32 v2, v7, s2, -v1
	v_rndne_f32_e32 v3, v1
	v_fmac_f32_e32 v2, 0x32a5705f, v7
	v_sub_f32_e32 v1, v1, v3
	v_add_f32_e32 v1, v1, v2
	v_exp_f32_e32 v1, v1
	v_cvt_i32_f32_e32 v2, v3
	v_cmp_ngt_f32_e32 vcc, s4, v7
	v_ldexp_f32 v1, v1, v2
	v_mul_f32_e32 v2, 0x3fb8aa3b, v8
	v_fma_f32 v3, v8, s2, -v2
	v_rndne_f32_e32 v4, v2
	v_fmac_f32_e32 v3, 0x32a5705f, v8
	v_sub_f32_e32 v2, v2, v4
	v_add_f32_e32 v2, v2, v3
	v_exp_f32_e32 v2, v2
	v_cvt_i32_f32_e32 v3, v4
	v_cndmask_b32_e32 v1, 0, v1, vcc
	v_cmp_nlt_f32_e32 vcc, s3, v7
	v_cndmask_b32_e32 v1, v18, v1, vcc
	v_add_f32_e32 v0, v0, v1
	v_ldexp_f32 v1, v2, v3
	v_mul_f32_e32 v2, 0x3fb8aa3b, v9
	v_fma_f32 v3, v9, s2, -v2
	v_rndne_f32_e32 v4, v2
	v_fmac_f32_e32 v3, 0x32a5705f, v9
	v_sub_f32_e32 v2, v2, v4
	v_add_f32_e32 v2, v2, v3
	v_exp_f32_e32 v2, v2
	v_cvt_i32_f32_e32 v3, v4
	v_cmp_ngt_f32_e32 vcc, s4, v8
	v_cndmask_b32_e32 v1, 0, v1, vcc
	v_cmp_nlt_f32_e32 vcc, s3, v8
	v_cndmask_b32_e32 v1, v18, v1, vcc
	v_add_f32_e32 v0, v0, v1
	v_ldexp_f32 v1, v2, v3
	v_mul_f32_e32 v2, 0x3fb8aa3b, v10
	v_fma_f32 v3, v10, s2, -v2
	v_rndne_f32_e32 v4, v2
	v_fmac_f32_e32 v3, 0x32a5705f, v10
	v_sub_f32_e32 v2, v2, v4
	v_add_f32_e32 v2, v2, v3
	v_exp_f32_e32 v2, v2
	v_cvt_i32_f32_e32 v3, v4
	v_cmp_ngt_f32_e32 vcc, s4, v9
	;; [unrolled: 14-line block ×4, first 2 shown]
	v_cndmask_b32_e32 v1, 0, v1, vcc
	v_cmp_nlt_f32_e32 vcc, s3, v11
	v_cndmask_b32_e32 v1, v18, v1, vcc
	v_add_f32_e32 v0, v0, v1
	v_ldexp_f32 v1, v2, v3
	v_sub_f32_e32 v2, v13, v25
	v_mul_f32_e32 v3, 0x3fb8aa3b, v2
	v_fma_f32 v4, v2, s2, -v3
	v_rndne_f32_e32 v5, v3
	v_fmac_f32_e32 v4, 0x32a5705f, v2
	v_sub_f32_e32 v3, v3, v5
	v_add_f32_e32 v3, v3, v4
	v_exp_f32_e32 v3, v3
	v_cvt_i32_f32_e32 v4, v5
	v_cmp_ngt_f32_e32 vcc, s4, v12
	v_cndmask_b32_e32 v1, 0, v1, vcc
	v_cmp_nlt_f32_e32 vcc, s3, v12
	v_cndmask_b32_e32 v1, v18, v1, vcc
	v_add_f32_e32 v0, v0, v1
	v_ldexp_f32 v1, v3, v4
	v_sub_f32_e32 v3, v14, v25
	v_mul_f32_e32 v4, 0x3fb8aa3b, v3
	v_fma_f32 v5, v3, s2, -v4
	v_rndne_f32_e32 v6, v4
	v_fmac_f32_e32 v5, 0x32a5705f, v3
	v_sub_f32_e32 v4, v4, v6
	v_add_f32_e32 v4, v4, v5
	v_exp_f32_e32 v4, v4
	v_cvt_i32_f32_e32 v5, v6
	v_cmp_ngt_f32_e32 vcc, s4, v2
	v_cndmask_b32_e32 v1, 0, v1, vcc
	v_cmp_nlt_f32_e32 vcc, s3, v2
	v_cndmask_b32_e32 v1, v18, v1, vcc
	v_sub_f32_e32 v2, v15, v25
	v_add_f32_e32 v0, v0, v1
	v_ldexp_f32 v1, v4, v5
	v_mul_f32_e32 v4, 0x3fb8aa3b, v2
	v_fma_f32 v5, v2, s2, -v4
	v_rndne_f32_e32 v6, v4
	v_fmac_f32_e32 v5, 0x32a5705f, v2
	v_sub_f32_e32 v4, v4, v6
	v_add_f32_e32 v4, v4, v5
	v_exp_f32_e32 v4, v4
	v_cvt_i32_f32_e32 v5, v6
	v_cmp_ngt_f32_e32 vcc, s4, v3
	v_cndmask_b32_e32 v1, 0, v1, vcc
	v_cmp_nlt_f32_e32 vcc, s3, v3
	v_cndmask_b32_e32 v1, v18, v1, vcc
	v_add_f32_e32 v0, v0, v1
	v_ldexp_f32 v1, v4, v5
	v_cmp_ngt_f32_e32 vcc, s4, v2
	v_cndmask_b32_e32 v1, 0, v1, vcc
	v_cmp_nlt_f32_e32 vcc, s3, v2
	v_cndmask_b32_e32 v1, v18, v1, vcc
	v_add_f32_e32 v0, v0, v1
	v_cmp_eq_u32_e32 vcc, 0, v23
	s_nop 0
	v_mov_b32_dpp v1, v0 quad_perm:[1,0,3,2] row_mask:0xf bank_mask:0xf
	v_add_f32_e32 v0, v0, v1
	s_nop 1
	v_mov_b32_dpp v1, v0 quad_perm:[2,3,0,1] row_mask:0xf bank_mask:0xf
	v_add_f32_e32 v0, v0, v1
	s_nop 1
	v_mov_b32_dpp v1, v0 row_half_mirror row_mask:0xf bank_mask:0xf
	v_add_f32_e32 v0, v0, v1
	s_nop 1
	v_mov_b32_dpp v1, v0 row_mirror row_mask:0xf bank_mask:0xf
	s_and_b64 exec, exec, vcc
	s_cbranch_execz .LBB193_31
; %bb.19:
	v_add_f32_e32 v0, v0, v1
	v_add_f32_e32 v0, v24, v0
	v_cmp_neq_f32_e32 vcc, 0, v0
	s_and_b64 exec, exec, vcc
	s_cbranch_execz .LBB193_31
; %bb.20:
	s_andn2_b64 vcc, exec, s[44:45]
	s_cbranch_vccnz .LBB193_31
; %bb.21:
	v_div_scale_f32 v1, s[0:1], v0, v0, 1.0
	v_rcp_f32_e32 v2, v1
	v_div_scale_f32 v3, vcc, 1.0, v0, 1.0
	s_cmp_gt_u32 s36, 3
	v_fma_f32 v4, -v1, v2, 1.0
	v_fmac_f32_e32 v2, v4, v2
	v_mul_f32_e32 v4, v3, v2
	v_fma_f32 v5, -v1, v4, v3
	v_fmac_f32_e32 v4, v5, v2
	v_fma_f32 v1, -v1, v4, v3
	v_div_fmas_f32 v1, v1, v2, v4
	v_mul_lo_u32 v2, v22, s39
	v_div_fixup_f32 v0, v1, v0, 1.0
	v_ashrrev_i32_e32 v3, 31, v2
	s_cbranch_scc0 .LBB193_25
; %bb.22:
	v_lshlrev_b64 v[4:5], 2, v[2:3]
	v_mov_b32_e32 v6, s35
	v_add_co_u32_e32 v4, vcc, s34, v4
	v_addc_co_u32_e32 v5, vcc, v5, v6, vcc
	s_and_b32 s4, s36, 0x7ffffffc
	v_add_co_u32_e32 v4, vcc, 8, v4
	v_mov_b32_e32 v1, v0
	v_addc_co_u32_e32 v5, vcc, 0, v5, vcc
	s_mov_b32 s0, s4
.LBB193_23:                             ; =>This Inner Loop Header: Depth=1
	global_load_dwordx4 v[6:9], v[4:5], off offset:-8
	s_add_i32 s0, s0, -4
	s_cmp_lg_u32 s0, 0
	s_waitcnt vmcnt(0)
	v_pk_mul_f32 v[6:7], v[0:1], v[6:7]
	v_pk_mul_f32 v[8:9], v[0:1], v[8:9]
	global_store_dwordx4 v[4:5], v[6:9], off offset:-8
	v_add_co_u32_e32 v4, vcc, 16, v4
	v_addc_co_u32_e32 v5, vcc, 0, v5, vcc
	s_cbranch_scc1 .LBB193_23
; %bb.24:
	s_cmp_lg_u32 s4, s36
	s_mov_b64 s[2:3], 0
	s_cselect_b64 s[0:1], -1, 0
	s_branch .LBB193_26
.LBB193_25:
	s_mov_b64 s[2:3], -1
	s_mov_b64 s[0:1], 0
                                        ; implicit-def: $sgpr4
.LBB193_26:
	s_and_b64 vcc, exec, s[2:3]
	s_cbranch_vccz .LBB193_28
; %bb.27:
	s_mov_b64 s[0:1], -1
	s_mov_b32 s4, 0
.LBB193_28:
	s_andn2_b64 vcc, exec, s[0:1]
	s_cbranch_vccnz .LBB193_31
; %bb.29:
	v_add_co_u32_e32 v2, vcc, s4, v2
	v_addc_co_u32_e32 v3, vcc, 0, v3, vcc
	v_lshlrev_b64 v[2:3], 2, v[2:3]
	v_mov_b32_e32 v1, s35
	v_add_co_u32_e32 v2, vcc, s34, v2
	s_sub_i32 s0, s36, s4
	v_addc_co_u32_e32 v3, vcc, v1, v3, vcc
.LBB193_30:                             ; =>This Inner Loop Header: Depth=1
	global_load_dword v1, v[2:3], off
	s_add_i32 s0, s0, -1
	s_cmp_lg_u32 s0, 0
	s_waitcnt vmcnt(0)
	v_mul_f32_e32 v1, v0, v1
	global_store_dword v[2:3], v1, off
	v_add_co_u32_e32 v2, vcc, 4, v2
	v_addc_co_u32_e32 v3, vcc, 0, v3, vcc
	s_cbranch_scc1 .LBB193_30
.LBB193_31:
	s_endpgm
	.section	.rodata,"a",@progbits
	.p2align	6, 0x0
	.amdhsa_kernel _ZN4vllm3moe17topkGatingSoftmaxIDF16_Li16ELi256ELi8ELi32ELb0ELi4ELNS0_23SharedExpertScoringFuncE1EEEvPKT_PKbPfiPiS9_iiiiii
		.amdhsa_group_segment_fixed_size 0
		.amdhsa_private_segment_fixed_size 0
		.amdhsa_kernarg_size 72
		.amdhsa_user_sgpr_count 6
		.amdhsa_user_sgpr_private_segment_buffer 1
		.amdhsa_user_sgpr_dispatch_ptr 0
		.amdhsa_user_sgpr_queue_ptr 0
		.amdhsa_user_sgpr_kernarg_segment_ptr 1
		.amdhsa_user_sgpr_dispatch_id 0
		.amdhsa_user_sgpr_flat_scratch_init 0
		.amdhsa_user_sgpr_kernarg_preload_length 0
		.amdhsa_user_sgpr_kernarg_preload_offset 0
		.amdhsa_user_sgpr_private_segment_size 0
		.amdhsa_uses_dynamic_stack 0
		.amdhsa_system_sgpr_private_segment_wavefront_offset 0
		.amdhsa_system_sgpr_workgroup_id_x 1
		.amdhsa_system_sgpr_workgroup_id_y 0
		.amdhsa_system_sgpr_workgroup_id_z 0
		.amdhsa_system_sgpr_workgroup_info 0
		.amdhsa_system_vgpr_workitem_id 1
		.amdhsa_next_free_vgpr 50
		.amdhsa_next_free_sgpr 54
		.amdhsa_accum_offset 52
		.amdhsa_reserve_vcc 1
		.amdhsa_reserve_flat_scratch 0
		.amdhsa_float_round_mode_32 0
		.amdhsa_float_round_mode_16_64 0
		.amdhsa_float_denorm_mode_32 3
		.amdhsa_float_denorm_mode_16_64 3
		.amdhsa_dx10_clamp 1
		.amdhsa_ieee_mode 1
		.amdhsa_fp16_overflow 0
		.amdhsa_tg_split 0
		.amdhsa_exception_fp_ieee_invalid_op 0
		.amdhsa_exception_fp_denorm_src 0
		.amdhsa_exception_fp_ieee_div_zero 0
		.amdhsa_exception_fp_ieee_overflow 0
		.amdhsa_exception_fp_ieee_underflow 0
		.amdhsa_exception_fp_ieee_inexact 0
		.amdhsa_exception_int_div_zero 0
	.end_amdhsa_kernel
	.section	.text._ZN4vllm3moe17topkGatingSoftmaxIDF16_Li16ELi256ELi8ELi32ELb0ELi4ELNS0_23SharedExpertScoringFuncE1EEEvPKT_PKbPfiPiS9_iiiiii,"axG",@progbits,_ZN4vllm3moe17topkGatingSoftmaxIDF16_Li16ELi256ELi8ELi32ELb0ELi4ELNS0_23SharedExpertScoringFuncE1EEEvPKT_PKbPfiPiS9_iiiiii,comdat
.Lfunc_end193:
	.size	_ZN4vllm3moe17topkGatingSoftmaxIDF16_Li16ELi256ELi8ELi32ELb0ELi4ELNS0_23SharedExpertScoringFuncE1EEEvPKT_PKbPfiPiS9_iiiiii, .Lfunc_end193-_ZN4vllm3moe17topkGatingSoftmaxIDF16_Li16ELi256ELi8ELi32ELb0ELi4ELNS0_23SharedExpertScoringFuncE1EEEvPKT_PKbPfiPiS9_iiiiii
                                        ; -- End function
	.section	.AMDGPU.csdata,"",@progbits
; Kernel info:
; codeLenInByte = 4820
; NumSgprs: 58
; NumVgprs: 50
; NumAgprs: 0
; TotalNumVgprs: 50
; ScratchSize: 0
; MemoryBound: 0
; FloatMode: 240
; IeeeMode: 1
; LDSByteSize: 0 bytes/workgroup (compile time only)
; SGPRBlocks: 7
; VGPRBlocks: 6
; NumSGPRsForWavesPerEU: 58
; NumVGPRsForWavesPerEU: 50
; AccumOffset: 52
; Occupancy: 8
; WaveLimiterHint : 0
; COMPUTE_PGM_RSRC2:SCRATCH_EN: 0
; COMPUTE_PGM_RSRC2:USER_SGPR: 6
; COMPUTE_PGM_RSRC2:TRAP_HANDLER: 0
; COMPUTE_PGM_RSRC2:TGID_X_EN: 1
; COMPUTE_PGM_RSRC2:TGID_Y_EN: 0
; COMPUTE_PGM_RSRC2:TGID_Z_EN: 0
; COMPUTE_PGM_RSRC2:TIDIG_COMP_CNT: 1
; COMPUTE_PGM_RSRC3_GFX90A:ACCUM_OFFSET: 12
; COMPUTE_PGM_RSRC3_GFX90A:TG_SPLIT: 0
	.section	.text._ZN4vllm3moe17topkGatingSoftmaxIDF16_Li16ELi256ELi8ELi32ELb1ELi8ELNS0_23SharedExpertScoringFuncE1EEEvPKT_PKbPfiPiS9_iiiiii,"axG",@progbits,_ZN4vllm3moe17topkGatingSoftmaxIDF16_Li16ELi256ELi8ELi32ELb1ELi8ELNS0_23SharedExpertScoringFuncE1EEEvPKT_PKbPfiPiS9_iiiiii,comdat
	.protected	_ZN4vllm3moe17topkGatingSoftmaxIDF16_Li16ELi256ELi8ELi32ELb1ELi8ELNS0_23SharedExpertScoringFuncE1EEEvPKT_PKbPfiPiS9_iiiiii ; -- Begin function _ZN4vllm3moe17topkGatingSoftmaxIDF16_Li16ELi256ELi8ELi32ELb1ELi8ELNS0_23SharedExpertScoringFuncE1EEEvPKT_PKbPfiPiS9_iiiiii
	.globl	_ZN4vllm3moe17topkGatingSoftmaxIDF16_Li16ELi256ELi8ELi32ELb1ELi8ELNS0_23SharedExpertScoringFuncE1EEEvPKT_PKbPfiPiS9_iiiiii
	.p2align	8
	.type	_ZN4vllm3moe17topkGatingSoftmaxIDF16_Li16ELi256ELi8ELi32ELb1ELi8ELNS0_23SharedExpertScoringFuncE1EEEvPKT_PKbPfiPiS9_iiiiii,@function
_ZN4vllm3moe17topkGatingSoftmaxIDF16_Li16ELi256ELi8ELi32ELb1ELi8ELNS0_23SharedExpertScoringFuncE1EEEvPKT_PKbPfiPiS9_iiiiii: ; @_ZN4vllm3moe17topkGatingSoftmaxIDF16_Li16ELi256ELi8ELi32ELb1ELi8ELNS0_23SharedExpertScoringFuncE1EEEvPKT_PKbPfiPiS9_iiiiii
; %bb.0:
	s_load_dword s33, s[4:5], 0x18
	v_bfe_u32 v1, v0, 10, 10
	v_and_b32_e32 v0, 0x3ff, v0
	s_lshl_b32 s50, s6, 5
	v_lshlrev_b32_e32 v41, 2, v1
	v_lshrrev_b32_e32 v42, 4, v0
	v_add3_u32 v22, s50, v41, v42
	s_waitcnt lgkmcnt(0)
	v_cmp_gt_i32_e32 vcc, s33, v22
	s_and_saveexec_b64 s[0:1], vcc
	s_cbranch_execz .LBB194_29
; %bb.1:
	s_load_dwordx4 s[0:3], s[4:5], 0x0
	s_load_dwordx2 s[34:35], s[4:5], 0x10
	s_waitcnt lgkmcnt(0)
	s_cmp_eq_u64 s[2:3], 0
	s_cbranch_scc1 .LBB194_3
; %bb.2:
	v_ashrrev_i32_e32 v1, 31, v22
	v_mov_b32_e32 v3, s3
	v_add_co_u32_e32 v2, vcc, s2, v22
	v_addc_co_u32_e32 v3, vcc, v3, v1, vcc
	global_load_ubyte v1, v[2:3], off
	s_waitcnt vmcnt(0)
	v_and_b32_e32 v1, 1, v1
	v_cmp_eq_u32_e32 vcc, 1, v1
	s_xor_b64 s[2:3], vcc, -1
	s_orn2_b64 s[44:45], s[2:3], exec
	s_branch .LBB194_4
.LBB194_3:
	s_mov_b64 s[44:45], -1
.LBB194_4:
	s_load_dwordx2 s[8:9], s[4:5], 0x40
	s_load_dwordx4 s[36:39], s[4:5], 0x30
	v_mov_b32_e32 v4, s1
	v_and_b32_e32 v23, 15, v0
	v_lshlrev_b32_e32 v0, 5, v23
	s_waitcnt lgkmcnt(0)
	v_mul_lo_u32 v2, v22, s9
	v_ashrrev_i32_e32 v3, 31, v2
	v_lshlrev_b64 v[2:3], 1, v[2:3]
	v_add_co_u32_e32 v1, vcc, s0, v2
	v_addc_co_u32_e32 v2, vcc, v4, v3, vcc
	v_add_co_u32_e32 v8, vcc, v1, v0
	v_addc_co_u32_e32 v9, vcc, 0, v2, vcc
	global_load_dwordx4 v[12:15], v[8:9], off offset:16
	global_load_dwordx4 v[4:7], v[8:9], off
	v_lshlrev_b32_e32 v25, 4, v23
	v_mov_b32_e32 v24, 0
	v_cmp_gt_u32_e32 vcc, 8, v23
	s_and_saveexec_b64 s[0:1], vcc
	s_cbranch_execz .LBB194_6
; %bb.5:
	v_lshlrev_b32_e32 v0, 1, v23
	v_add_co_u32_e32 v0, vcc, v1, v0
	v_addc_co_u32_e32 v1, vcc, 0, v2, vcc
	global_load_ushort v0, v[0:1], off offset:512
	s_mov_b32 s2, 0x3fb8aa3b
	s_mov_b32 s3, 0x32a5705f
	;; [unrolled: 1-line block ×4, first 2 shown]
	v_mov_b32_e32 v3, 0x7f800000
	v_mul_lo_u32 v1, v22, s39
	s_waitcnt vmcnt(0)
	v_cvt_f32_f16_e64 v2, -v0
	v_mul_f32_e32 v8, 0x3fb8aa3b, v2
	v_fma_mix_f32 v9, -v0, s2, -v8 op_sel_hi:[1,0,0]
	v_rndne_f32_e32 v10, v8
	v_fma_mix_f32 v0, -v0, s3, v9 op_sel_hi:[1,0,0]
	v_sub_f32_e32 v8, v8, v10
	v_add_f32_e32 v0, v8, v0
	v_cvt_i32_f32_e32 v9, v10
	v_exp_f32_e32 v8, v0
	v_cmp_ngt_f32_e32 vcc, s6, v2
	v_add3_u32 v0, v1, s36, v23
	v_ashrrev_i32_e32 v1, 31, v0
	v_ldexp_f32 v8, v8, v9
	v_cndmask_b32_e32 v8, 0, v8, vcc
	v_cmp_nlt_f32_e32 vcc, s7, v2
	v_cndmask_b32_e32 v2, v3, v8, vcc
	v_add_f32_e32 v2, 1.0, v2
	v_div_scale_f32 v3, s[2:3], v2, v2, 1.0
	v_rcp_f32_e32 v8, v3
	v_div_scale_f32 v9, vcc, 1.0, v2, 1.0
	v_lshlrev_b64 v[0:1], 2, v[0:1]
	v_fma_f32 v11, -v3, v8, 1.0
	v_fmac_f32_e32 v8, v11, v8
	v_mul_f32_e32 v11, v9, v8
	v_fma_f32 v16, -v3, v11, v9
	v_fmac_f32_e32 v11, v16, v8
	v_fma_f32 v3, -v3, v11, v9
	v_mov_b32_e32 v10, s35
	v_div_fmas_f32 v3, v3, v8, v11
	v_add_co_u32_e32 v0, vcc, s34, v0
	v_div_fixup_f32 v2, v3, v2, 1.0
	v_addc_co_u32_e32 v1, vcc, v10, v1, vcc
	global_store_dword v[0:1], v2, off
.LBB194_6:
	s_or_b64 exec, exec, s[0:1]
	s_waitcnt vmcnt(0)
	v_cvt_f32_f16_e32 v0, v4
	v_cvt_f32_f16_sdwa v1, v4 dst_sel:DWORD dst_unused:UNUSED_PAD src0_sel:WORD_1
	v_cvt_f32_f16_e32 v2, v5
	v_cmp_lt_f16_sdwa vcc, v4, v4 src0_sel:DWORD src1_sel:WORD_1
	v_or_b32_e32 v26, 1, v25
	v_cndmask_b32_e32 v4, v0, v1, vcc
	v_cndmask_b32_e32 v3, v25, v26, vcc
	v_or_b32_e32 v27, 2, v25
	v_cmp_lt_f32_e32 vcc, v4, v2
	v_cndmask_b32_e32 v8, v3, v27, vcc
	v_cvt_f32_f16_sdwa v3, v5 dst_sel:DWORD dst_unused:UNUSED_PAD src0_sel:WORD_1
	v_cndmask_b32_e32 v4, v4, v2, vcc
	v_or_b32_e32 v28, 3, v25
	v_or_b32_e32 v29, 4, v25
	v_cmp_lt_f32_e32 vcc, v4, v3
	v_cndmask_b32_e32 v5, v8, v28, vcc
	v_cndmask_b32_e32 v8, v4, v3, vcc
	v_cvt_f32_f16_e32 v4, v6
	v_or_b32_e32 v30, 5, v25
	v_or_b32_e32 v31, 6, v25
	;; [unrolled: 1-line block ×3, first 2 shown]
	v_cmp_lt_f32_e32 vcc, v8, v4
	v_cndmask_b32_e32 v9, v5, v29, vcc
	v_cvt_f32_f16_sdwa v5, v6 dst_sel:DWORD dst_unused:UNUSED_PAD src0_sel:WORD_1
	v_cvt_f32_f16_e32 v6, v7
	v_cndmask_b32_e32 v8, v8, v4, vcc
	v_cvt_f32_f16_sdwa v7, v7 dst_sel:DWORD dst_unused:UNUSED_PAD src0_sel:WORD_1
	v_cmp_lt_f32_e32 vcc, v8, v5
	v_cndmask_b32_e32 v8, v8, v5, vcc
	v_cndmask_b32_e32 v9, v9, v30, vcc
	v_cmp_lt_f32_e32 vcc, v8, v6
	v_cndmask_b32_e32 v8, v8, v6, vcc
	v_cndmask_b32_e32 v9, v9, v31, vcc
	v_cmp_lt_f32_e32 vcc, v8, v7
	v_cndmask_b32_e32 v10, v8, v7, vcc
	v_cvt_f32_f16_e32 v8, v12
	v_cndmask_b32_e32 v9, v9, v32, vcc
	v_or_b32_e32 v33, 8, v25
	v_or_b32_e32 v34, 9, v25
	v_cmp_lt_f32_e32 vcc, v10, v8
	v_cndmask_b32_e32 v11, v9, v33, vcc
	v_cvt_f32_f16_sdwa v9, v12 dst_sel:DWORD dst_unused:UNUSED_PAD src0_sel:WORD_1
	v_cndmask_b32_e32 v10, v10, v8, vcc
	v_or_b32_e32 v35, 10, v25
	v_or_b32_e32 v36, 11, v25
	v_cmp_lt_f32_e32 vcc, v10, v9
	v_cndmask_b32_e32 v12, v10, v9, vcc
	v_cvt_f32_f16_e32 v10, v13
	v_cndmask_b32_e32 v11, v11, v34, vcc
	v_or_b32_e32 v37, 12, v25
	v_or_b32_e32 v38, 13, v25
	v_cmp_lt_f32_e32 vcc, v12, v10
	v_cndmask_b32_e32 v16, v11, v35, vcc
	v_cvt_f32_f16_sdwa v11, v13 dst_sel:DWORD dst_unused:UNUSED_PAD src0_sel:WORD_1
	v_cndmask_b32_e32 v12, v12, v10, vcc
	v_or_b32_e32 v39, 14, v25
	v_or_b32_e32 v40, 15, v25
	v_cmp_lt_f32_e32 vcc, v12, v11
	v_cndmask_b32_e32 v13, v16, v36, vcc
	v_cndmask_b32_e32 v16, v12, v11, vcc
	v_cvt_f32_f16_e32 v12, v14
	v_cmp_lt_f32_e32 vcc, v16, v12
	v_cndmask_b32_e32 v17, v13, v37, vcc
	v_cvt_f32_f16_sdwa v13, v14 dst_sel:DWORD dst_unused:UNUSED_PAD src0_sel:WORD_1
	v_cvt_f32_f16_e32 v14, v15
	v_cndmask_b32_e32 v16, v16, v12, vcc
	v_cvt_f32_f16_sdwa v15, v15 dst_sel:DWORD dst_unused:UNUSED_PAD src0_sel:WORD_1
	v_cmp_lt_f32_e32 vcc, v16, v13
	v_cndmask_b32_e32 v16, v16, v13, vcc
	v_cndmask_b32_e32 v17, v17, v38, vcc
	v_cmp_lt_f32_e32 vcc, v16, v14
	v_cndmask_b32_e32 v16, v16, v14, vcc
	v_cndmask_b32_e32 v17, v17, v39, vcc
	;; [unrolled: 3-line block ×3, first 2 shown]
	s_nop 0
	v_mov_b32_dpp v19, v17 quad_perm:[1,0,3,2] row_mask:0xf bank_mask:0xf
	v_mov_b32_dpp v18, v16 quad_perm:[1,0,3,2] row_mask:0xf bank_mask:0xf
	v_cmp_eq_f32_e64 s[0:1], v16, v18
	v_cmp_lt_i32_e64 s[2:3], v19, v17
	v_cmp_lt_f32_e32 vcc, v16, v18
	s_and_b64 s[0:1], s[0:1], s[2:3]
	s_or_b64 vcc, vcc, s[0:1]
	v_cndmask_b32_e32 v16, v16, v18, vcc
	v_cndmask_b32_e32 v17, v17, v19, vcc
	s_nop 0
	v_mov_b32_dpp v18, v16 quad_perm:[2,3,0,1] row_mask:0xf bank_mask:0xf
	v_mov_b32_dpp v19, v17 quad_perm:[2,3,0,1] row_mask:0xf bank_mask:0xf
	v_cmp_eq_f32_e64 s[0:1], v16, v18
	v_cmp_lt_i32_e64 s[2:3], v19, v17
	v_cmp_lt_f32_e32 vcc, v16, v18
	s_and_b64 s[0:1], s[0:1], s[2:3]
	s_or_b64 vcc, vcc, s[0:1]
	v_cndmask_b32_e32 v16, v16, v18, vcc
	v_cndmask_b32_e32 v17, v17, v19, vcc
	s_nop 0
	v_mov_b32_dpp v18, v16 row_half_mirror row_mask:0xf bank_mask:0xf
	v_mov_b32_dpp v19, v17 row_half_mirror row_mask:0xf bank_mask:0xf
	v_cmp_eq_f32_e64 s[0:1], v16, v18
	v_cmp_lt_i32_e64 s[2:3], v19, v17
	v_cmp_lt_f32_e32 vcc, v16, v18
	s_and_b64 s[0:1], s[0:1], s[2:3]
	s_or_b64 vcc, vcc, s[0:1]
	v_cndmask_b32_e32 v16, v16, v18, vcc
	v_cndmask_b32_e32 v17, v17, v19, vcc
	s_cmp_gt_i32 s36, 0
	s_cselect_b64 s[46:47], -1, 0
	s_cmp_lt_i32 s36, 1
	v_cmp_eq_u32_e32 vcc, 0, v23
	v_mov_b32_dpp v18, v17 row_mirror row_mask:0xf bank_mask:0xf
	v_mov_b32_dpp v19, v16 row_mirror row_mask:0xf bank_mask:0xf
	s_cbranch_scc1 .LBB194_18
; %bb.7:
	s_load_dwordx4 s[40:43], s[4:5], 0x20
	v_cmp_eq_f32_e64 s[2:3], v16, v19
	v_cmp_lt_i32_e64 s[6:7], v18, v17
	v_cmp_lt_f32_e64 s[0:1], v16, v19
	s_and_b64 s[2:3], s[2:3], s[6:7]
	s_or_b64 s[0:1], s[0:1], s[2:3]
	v_cndmask_b32_e64 v44, v17, v18, s[0:1]
	v_cndmask_b32_e64 v43, v16, v19, s[0:1]
	v_mul_lo_u32 v20, v22, s39
	v_mul_lo_u32 v18, v22, s8
	;; [unrolled: 1-line block ×3, first 2 shown]
	v_mov_b32_e32 v24, 0
	s_and_saveexec_b64 s[4:5], vcc
	s_cbranch_execz .LBB194_9
; %bb.8:
	v_sub_f32_e32 v17, v43, v43
	v_mul_f32_e32 v19, 0x3fb8aa3b, v17
	s_mov_b32 s0, 0x3fb8aa3b
	v_rndne_f32_e32 v21, v19
	v_sub_f32_e32 v24, v19, v21
	v_fma_f32 v19, v17, s0, -v19
	v_fmac_f32_e32 v19, 0x32a5705f, v17
	v_add_f32_e32 v19, v24, v19
	v_exp_f32_e32 v19, v19
	v_cvt_i32_f32_e32 v21, v21
	v_cmp_le_i32_e64 s[0:1], s37, v44
	v_cmp_gt_i32_e64 s[2:3], s38, v44
	s_and_b64 s[2:3], s[0:1], s[2:3]
	s_mov_b32 s0, 0xc2ce8ed0
	v_ldexp_f32 v19, v19, v21
	v_cmp_ngt_f32_e64 s[0:1], s0, v17
	v_cndmask_b32_e64 v19, 0, v19, s[0:1]
	s_mov_b32 s0, 0x42b17218
	v_mov_b32_e32 v21, 0x7f800000
	v_cmp_nlt_f32_e64 s[0:1], s0, v17
	v_cndmask_b32_e64 v24, v21, v19, s[0:1]
	v_ashrrev_i32_e32 v21, 31, v20
	v_lshlrev_b64 v[46:47], 2, v[20:21]
	v_mov_b32_e32 v17, s35
	v_add_co_u32_e64 v46, s[0:1], s34, v46
	v_addc_co_u32_e64 v47, s[0:1], v17, v47, s[0:1]
	v_subrev_u32_e32 v17, s37, v44
	v_mov_b32_e32 v19, 0x100
	s_and_b64 s[0:1], s[44:45], s[2:3]
	v_cndmask_b32_e64 v17, v19, v17, s[0:1]
	v_ashrrev_i32_e32 v19, 31, v18
	global_store_dword v[46:47], v24, off
	v_lshlrev_b64 v[46:47], 2, v[18:19]
	s_waitcnt lgkmcnt(0)
	v_mov_b32_e32 v19, s41
	v_add_co_u32_e64 v46, s[0:1], s40, v46
	v_addc_co_u32_e64 v47, s[0:1], v19, v47, s[0:1]
	global_store_dword v[46:47], v17, off
	v_ashrrev_i32_e32 v17, 31, v16
	v_lshlrev_b64 v[46:47], 2, v[16:17]
	v_mov_b32_e32 v17, s43
	v_add_co_u32_e64 v46, s[0:1], s42, v46
	v_addc_co_u32_e64 v47, s[0:1], v17, v47, s[0:1]
	global_store_dword v[46:47], v22, off
.LBB194_9:
	s_or_b64 exec, exec, s[4:5]
	v_ashrrev_i32_e32 v17, 31, v44
	v_lshrrev_b32_e32 v19, 28, v17
	v_add_u32_e32 v19, v44, v19
	v_ashrrev_i32_e32 v19, 4, v19
	v_lshrrev_b32_e32 v21, 28, v19
	v_add_u32_e32 v21, v19, v21
	v_and_b32_e32 v21, -16, v21
	v_sub_u32_e32 v21, v19, v21
	v_cmp_eq_u32_e64 s[0:1], v23, v21
	s_and_saveexec_b64 s[48:49], s[0:1]
	s_cbranch_execz .LBB194_11
; %bb.10:
	v_add_u32_sdwa v17, v44, v17 dst_sel:DWORD dst_unused:UNUSED_PAD src0_sel:DWORD src1_sel:BYTE_3
	v_lshlrev_b32_e32 v19, 4, v19
	v_sub_u32_e32 v19, v44, v19
	v_ashrrev_i32_e32 v17, 8, v17
	v_lshl_add_u32 v17, v17, 4, v19
	v_mov_b32_e32 v19, 0xff800000
	v_cmp_ne_u32_e64 s[0:1], 14, v17
	v_cmp_ne_u32_e64 s[2:3], 13, v17
	v_cmp_ne_u32_e64 s[4:5], 12, v17
	v_cmp_ne_u32_e64 s[6:7], 11, v17
	v_cmp_ne_u32_e64 s[8:9], 10, v17
	v_cmp_ne_u32_e64 s[10:11], 9, v17
	v_cmp_ne_u32_e64 s[12:13], 8, v17
	v_cmp_ne_u32_e64 s[14:15], 7, v17
	v_cmp_ne_u32_e64 s[16:17], 6, v17
	v_cmp_ne_u32_e64 s[18:19], 5, v17
	v_cmp_ne_u32_e64 s[20:21], 4, v17
	v_cmp_ne_u32_e64 s[22:23], 3, v17
	v_cmp_ne_u32_e64 s[24:25], 2, v17
	v_cmp_ne_u32_e64 s[26:27], 1, v17
	v_cmp_ne_u32_e64 s[28:29], 0, v17
	v_cmp_ne_u32_e64 s[30:31], 15, v17
	v_cndmask_b32_e64 v15, v19, v15, s[30:31]
	v_cndmask_b32_e64 v14, v19, v14, s[0:1]
	;; [unrolled: 1-line block ×16, first 2 shown]
.LBB194_11:
	s_or_b64 exec, exec, s[48:49]
	s_cmp_eq_u32 s36, 1
	s_cbranch_scc1 .LBB194_18
; %bb.12:
	s_add_i32 s50, s50, s33
	s_add_i32 s51, s36, -1
	v_add3_u32 v41, s50, v42, v41
	v_add_u32_e32 v16, 1, v16
	v_add_u32_e32 v18, 1, v18
	;; [unrolled: 1-line block ×3, first 2 shown]
	s_mov_b32 s50, 0x3fb8aa3b
	s_mov_b32 s52, 0xc2ce8ed0
	;; [unrolled: 1-line block ×3, first 2 shown]
	v_mov_b32_e32 v42, 0x7f800000
	v_mov_b32_e32 v44, 0x100
	;; [unrolled: 1-line block ×3, first 2 shown]
	s_branch .LBB194_14
.LBB194_13:                             ;   in Loop: Header=BB194_14 Depth=1
	s_or_b64 exec, exec, s[48:49]
	s_add_i32 s51, s51, -1
	v_add_u32_e32 v41, s33, v41
	v_add_u32_e32 v16, 1, v16
	;; [unrolled: 1-line block ×3, first 2 shown]
	s_cmp_eq_u32 s51, 0
	v_add_u32_e32 v20, 1, v20
	s_cbranch_scc1 .LBB194_18
.LBB194_14:                             ; =>This Inner Loop Header: Depth=1
	v_cmp_gt_f32_e64 s[0:1], v1, v0
	v_cndmask_b32_e64 v19, v0, v1, s[0:1]
	v_cndmask_b32_e64 v17, v25, v26, s[0:1]
	v_cmp_gt_f32_e64 s[0:1], v2, v19
	v_cndmask_b32_e64 v19, v19, v2, s[0:1]
	v_cndmask_b32_e64 v17, v17, v27, s[0:1]
	;; [unrolled: 3-line block ×15, first 2 shown]
	s_nop 0
	v_mov_b32_dpp v46, v17 quad_perm:[1,0,3,2] row_mask:0xf bank_mask:0xf
	v_mov_b32_dpp v21, v19 quad_perm:[1,0,3,2] row_mask:0xf bank_mask:0xf
	v_cmp_eq_f32_e64 s[2:3], v19, v21
	v_cmp_lt_i32_e64 s[4:5], v46, v17
	v_cmp_lt_f32_e64 s[0:1], v19, v21
	s_and_b64 s[2:3], s[2:3], s[4:5]
	s_or_b64 s[0:1], s[0:1], s[2:3]
	v_cndmask_b32_e64 v19, v19, v21, s[0:1]
	v_cndmask_b32_e64 v17, v17, v46, s[0:1]
	s_nop 0
	v_mov_b32_dpp v21, v19 quad_perm:[2,3,0,1] row_mask:0xf bank_mask:0xf
	v_mov_b32_dpp v46, v17 quad_perm:[2,3,0,1] row_mask:0xf bank_mask:0xf
	v_cmp_eq_f32_e64 s[2:3], v19, v21
	v_cmp_lt_i32_e64 s[4:5], v46, v17
	v_cmp_lt_f32_e64 s[0:1], v19, v21
	s_and_b64 s[2:3], s[2:3], s[4:5]
	s_or_b64 s[0:1], s[0:1], s[2:3]
	v_cndmask_b32_e64 v19, v19, v21, s[0:1]
	v_cndmask_b32_e64 v21, v17, v46, s[0:1]
	s_nop 0
	v_mov_b32_dpp v17, v19 row_half_mirror row_mask:0xf bank_mask:0xf
	v_mov_b32_dpp v46, v21 row_half_mirror row_mask:0xf bank_mask:0xf
	v_cmp_eq_f32_e64 s[2:3], v19, v17
	v_cmp_lt_i32_e64 s[4:5], v46, v21
	v_cmp_lt_f32_e64 s[0:1], v19, v17
	s_and_b64 s[2:3], s[2:3], s[4:5]
	s_or_b64 s[0:1], s[0:1], s[2:3]
	v_cndmask_b32_e64 v17, v19, v17, s[0:1]
	v_cndmask_b32_e64 v21, v21, v46, s[0:1]
	s_nop 0
	v_mov_b32_dpp v19, v17 row_mirror row_mask:0xf bank_mask:0xf
	v_mov_b32_dpp v46, v21 row_mirror row_mask:0xf bank_mask:0xf
	v_cmp_eq_f32_e64 s[2:3], v17, v19
	v_cmp_lt_i32_e64 s[4:5], v46, v21
	v_cmp_lt_f32_e64 s[0:1], v17, v19
	s_and_b64 s[2:3], s[2:3], s[4:5]
	s_or_b64 s[0:1], s[0:1], s[2:3]
	v_cndmask_b32_e64 v46, v21, v46, s[0:1]
	s_and_saveexec_b64 s[4:5], vcc
	s_cbranch_execz .LBB194_16
; %bb.15:                               ;   in Loop: Header=BB194_14 Depth=1
	v_cndmask_b32_e64 v17, v17, v19, s[0:1]
	v_sub_f32_e32 v17, v17, v43
	v_mul_f32_e32 v19, 0x3fb8aa3b, v17
	v_fma_f32 v21, v17, s50, -v19
	v_rndne_f32_e32 v47, v19
	v_fmac_f32_e32 v21, 0x32a5705f, v17
	v_sub_f32_e32 v19, v19, v47
	v_add_f32_e32 v19, v19, v21
	v_exp_f32_e32 v19, v19
	v_cvt_i32_f32_e32 v21, v47
	v_cmp_le_i32_e64 s[0:1], s37, v46
	v_cmp_gt_i32_e64 s[2:3], s38, v46
	s_and_b64 s[2:3], s[0:1], s[2:3]
	v_ldexp_f32 v19, v19, v21
	v_cmp_ngt_f32_e64 s[0:1], s52, v17
	v_ashrrev_i32_e32 v21, 31, v20
	v_cndmask_b32_e64 v19, 0, v19, s[0:1]
	v_cmp_nlt_f32_e64 s[0:1], s53, v17
	v_lshlrev_b64 v[48:49], 2, v[20:21]
	v_cndmask_b32_e64 v47, v42, v19, s[0:1]
	v_mov_b32_e32 v17, s35
	v_add_co_u32_e64 v48, s[0:1], s34, v48
	v_addc_co_u32_e64 v49, s[0:1], v17, v49, s[0:1]
	v_ashrrev_i32_e32 v19, 31, v18
	global_store_dword v[48:49], v47, off
	v_subrev_u32_e32 v17, s37, v46
	s_and_b64 s[0:1], s[44:45], s[2:3]
	v_lshlrev_b64 v[48:49], 2, v[18:19]
	v_cndmask_b32_e64 v17, v44, v17, s[0:1]
	s_waitcnt lgkmcnt(0)
	v_mov_b32_e32 v19, s41
	v_add_co_u32_e64 v48, s[0:1], s40, v48
	v_addc_co_u32_e64 v49, s[0:1], v19, v49, s[0:1]
	global_store_dword v[48:49], v17, off
	v_ashrrev_i32_e32 v17, 31, v16
	v_lshlrev_b64 v[48:49], 2, v[16:17]
	v_mov_b32_e32 v17, s43
	v_add_co_u32_e64 v48, s[0:1], s42, v48
	v_addc_co_u32_e64 v49, s[0:1], v17, v49, s[0:1]
	v_add_f32_e32 v24, v24, v47
	global_store_dword v[48:49], v41, off
.LBB194_16:                             ;   in Loop: Header=BB194_14 Depth=1
	s_or_b64 exec, exec, s[4:5]
	v_ashrrev_i32_e32 v17, 31, v46
	v_lshrrev_b32_e32 v19, 28, v17
	v_add_u32_e32 v19, v46, v19
	v_ashrrev_i32_e32 v19, 4, v19
	v_lshrrev_b32_e32 v21, 28, v19
	v_add_u32_e32 v21, v19, v21
	v_and_b32_e32 v21, -16, v21
	v_sub_u32_e32 v21, v19, v21
	v_cmp_eq_u32_e64 s[0:1], v23, v21
	s_and_saveexec_b64 s[48:49], s[0:1]
	s_cbranch_execz .LBB194_13
; %bb.17:                               ;   in Loop: Header=BB194_14 Depth=1
	v_add_u32_sdwa v17, v46, v17 dst_sel:DWORD dst_unused:UNUSED_PAD src0_sel:DWORD src1_sel:BYTE_3
	v_lshlrev_b32_e32 v19, 4, v19
	v_sub_u32_e32 v19, v46, v19
	v_ashrrev_i32_e32 v17, 8, v17
	v_lshl_add_u32 v17, v17, 4, v19
	v_cmp_ne_u32_e64 s[0:1], 14, v17
	v_cmp_ne_u32_e64 s[2:3], 13, v17
	;; [unrolled: 1-line block ×16, first 2 shown]
	v_cndmask_b32_e64 v15, v45, v15, s[30:31]
	v_cndmask_b32_e64 v14, v45, v14, s[0:1]
	;; [unrolled: 1-line block ×16, first 2 shown]
	s_branch .LBB194_13
.LBB194_18:
	v_cmp_eq_u32_e32 vcc, 0, v23
	v_cmp_neq_f32_e64 s[0:1], 0, v24
	s_and_b64 s[0:1], vcc, s[0:1]
	s_and_b64 exec, exec, s[0:1]
	s_cbranch_execz .LBB194_29
; %bb.19:
	s_andn2_b64 vcc, exec, s[46:47]
	s_cbranch_vccnz .LBB194_29
; %bb.20:
	v_div_scale_f32 v0, s[0:1], v24, v24, 1.0
	v_rcp_f32_e32 v1, v0
	v_div_scale_f32 v2, vcc, 1.0, v24, 1.0
	s_cmp_gt_u32 s36, 3
	v_fma_f32 v3, -v0, v1, 1.0
	v_fmac_f32_e32 v1, v3, v1
	v_mul_f32_e32 v3, v2, v1
	v_fma_f32 v4, -v0, v3, v2
	v_fmac_f32_e32 v3, v4, v1
	v_fma_f32 v0, -v0, v3, v2
	v_div_fmas_f32 v0, v0, v1, v3
	v_mul_lo_u32 v2, v22, s39
	v_div_fixup_f32 v0, v0, v24, 1.0
	v_ashrrev_i32_e32 v3, 31, v2
	s_cbranch_scc0 .LBB194_24
; %bb.21:
	v_lshlrev_b64 v[4:5], 2, v[2:3]
	v_mov_b32_e32 v6, s35
	v_add_co_u32_e32 v4, vcc, s34, v4
	v_addc_co_u32_e32 v5, vcc, v5, v6, vcc
	s_and_b32 s4, s36, 0x7ffffffc
	v_add_co_u32_e32 v4, vcc, 8, v4
	v_mov_b32_e32 v1, v0
	v_addc_co_u32_e32 v5, vcc, 0, v5, vcc
	s_mov_b32 s0, s4
.LBB194_22:                             ; =>This Inner Loop Header: Depth=1
	global_load_dwordx4 v[6:9], v[4:5], off offset:-8
	s_add_i32 s0, s0, -4
	s_cmp_lg_u32 s0, 0
	s_waitcnt vmcnt(0)
	v_pk_mul_f32 v[6:7], v[0:1], v[6:7]
	v_pk_mul_f32 v[8:9], v[0:1], v[8:9]
	global_store_dwordx4 v[4:5], v[6:9], off offset:-8
	v_add_co_u32_e32 v4, vcc, 16, v4
	v_addc_co_u32_e32 v5, vcc, 0, v5, vcc
	s_cbranch_scc1 .LBB194_22
; %bb.23:
	s_cmp_lg_u32 s4, s36
	s_cselect_b64 s[0:1], -1, 0
	s_branch .LBB194_26
.LBB194_24:
	s_mov_b64 s[0:1], 0
                                        ; implicit-def: $sgpr4
	s_cbranch_execz .LBB194_26
; %bb.25:
	s_mov_b64 s[0:1], -1
	s_mov_b32 s4, 0
.LBB194_26:
	s_andn2_b64 vcc, exec, s[0:1]
	s_cbranch_vccnz .LBB194_29
; %bb.27:
	v_add_co_u32_e32 v2, vcc, s4, v2
	v_addc_co_u32_e32 v3, vcc, 0, v3, vcc
	v_lshlrev_b64 v[2:3], 2, v[2:3]
	v_mov_b32_e32 v1, s35
	v_add_co_u32_e32 v2, vcc, s34, v2
	s_sub_i32 s0, s36, s4
	v_addc_co_u32_e32 v3, vcc, v1, v3, vcc
.LBB194_28:                             ; =>This Inner Loop Header: Depth=1
	global_load_dword v1, v[2:3], off
	s_add_i32 s0, s0, -1
	s_cmp_lg_u32 s0, 0
	s_waitcnt vmcnt(0)
	v_mul_f32_e32 v1, v0, v1
	global_store_dword v[2:3], v1, off
	v_add_co_u32_e32 v2, vcc, 4, v2
	v_addc_co_u32_e32 v3, vcc, 0, v3, vcc
	s_cbranch_scc1 .LBB194_28
.LBB194_29:
	s_endpgm
	.section	.rodata,"a",@progbits
	.p2align	6, 0x0
	.amdhsa_kernel _ZN4vllm3moe17topkGatingSoftmaxIDF16_Li16ELi256ELi8ELi32ELb1ELi8ELNS0_23SharedExpertScoringFuncE1EEEvPKT_PKbPfiPiS9_iiiiii
		.amdhsa_group_segment_fixed_size 0
		.amdhsa_private_segment_fixed_size 0
		.amdhsa_kernarg_size 72
		.amdhsa_user_sgpr_count 6
		.amdhsa_user_sgpr_private_segment_buffer 1
		.amdhsa_user_sgpr_dispatch_ptr 0
		.amdhsa_user_sgpr_queue_ptr 0
		.amdhsa_user_sgpr_kernarg_segment_ptr 1
		.amdhsa_user_sgpr_dispatch_id 0
		.amdhsa_user_sgpr_flat_scratch_init 0
		.amdhsa_user_sgpr_kernarg_preload_length 0
		.amdhsa_user_sgpr_kernarg_preload_offset 0
		.amdhsa_user_sgpr_private_segment_size 0
		.amdhsa_uses_dynamic_stack 0
		.amdhsa_system_sgpr_private_segment_wavefront_offset 0
		.amdhsa_system_sgpr_workgroup_id_x 1
		.amdhsa_system_sgpr_workgroup_id_y 0
		.amdhsa_system_sgpr_workgroup_id_z 0
		.amdhsa_system_sgpr_workgroup_info 0
		.amdhsa_system_vgpr_workitem_id 1
		.amdhsa_next_free_vgpr 50
		.amdhsa_next_free_sgpr 54
		.amdhsa_accum_offset 52
		.amdhsa_reserve_vcc 1
		.amdhsa_reserve_flat_scratch 0
		.amdhsa_float_round_mode_32 0
		.amdhsa_float_round_mode_16_64 0
		.amdhsa_float_denorm_mode_32 3
		.amdhsa_float_denorm_mode_16_64 3
		.amdhsa_dx10_clamp 1
		.amdhsa_ieee_mode 1
		.amdhsa_fp16_overflow 0
		.amdhsa_tg_split 0
		.amdhsa_exception_fp_ieee_invalid_op 0
		.amdhsa_exception_fp_denorm_src 0
		.amdhsa_exception_fp_ieee_div_zero 0
		.amdhsa_exception_fp_ieee_overflow 0
		.amdhsa_exception_fp_ieee_underflow 0
		.amdhsa_exception_fp_ieee_inexact 0
		.amdhsa_exception_int_div_zero 0
	.end_amdhsa_kernel
	.section	.text._ZN4vllm3moe17topkGatingSoftmaxIDF16_Li16ELi256ELi8ELi32ELb1ELi8ELNS0_23SharedExpertScoringFuncE1EEEvPKT_PKbPfiPiS9_iiiiii,"axG",@progbits,_ZN4vllm3moe17topkGatingSoftmaxIDF16_Li16ELi256ELi8ELi32ELb1ELi8ELNS0_23SharedExpertScoringFuncE1EEEvPKT_PKbPfiPiS9_iiiiii,comdat
.Lfunc_end194:
	.size	_ZN4vllm3moe17topkGatingSoftmaxIDF16_Li16ELi256ELi8ELi32ELb1ELi8ELNS0_23SharedExpertScoringFuncE1EEEvPKT_PKbPfiPiS9_iiiiii, .Lfunc_end194-_ZN4vllm3moe17topkGatingSoftmaxIDF16_Li16ELi256ELi8ELi32ELb1ELi8ELNS0_23SharedExpertScoringFuncE1EEEvPKT_PKbPfiPiS9_iiiiii
                                        ; -- End function
	.section	.AMDGPU.csdata,"",@progbits
; Kernel info:
; codeLenInByte = 3480
; NumSgprs: 58
; NumVgprs: 50
; NumAgprs: 0
; TotalNumVgprs: 50
; ScratchSize: 0
; MemoryBound: 0
; FloatMode: 240
; IeeeMode: 1
; LDSByteSize: 0 bytes/workgroup (compile time only)
; SGPRBlocks: 7
; VGPRBlocks: 6
; NumSGPRsForWavesPerEU: 58
; NumVGPRsForWavesPerEU: 50
; AccumOffset: 52
; Occupancy: 8
; WaveLimiterHint : 0
; COMPUTE_PGM_RSRC2:SCRATCH_EN: 0
; COMPUTE_PGM_RSRC2:USER_SGPR: 6
; COMPUTE_PGM_RSRC2:TRAP_HANDLER: 0
; COMPUTE_PGM_RSRC2:TGID_X_EN: 1
; COMPUTE_PGM_RSRC2:TGID_Y_EN: 0
; COMPUTE_PGM_RSRC2:TGID_Z_EN: 0
; COMPUTE_PGM_RSRC2:TIDIG_COMP_CNT: 1
; COMPUTE_PGM_RSRC3_GFX90A:ACCUM_OFFSET: 12
; COMPUTE_PGM_RSRC3_GFX90A:TG_SPLIT: 0
	.section	.text._ZN4vllm3moe17topkGatingSoftmaxIDF16_Li16ELi256ELi8ELi32ELb0ELi8ELNS0_23SharedExpertScoringFuncE1EEEvPKT_PKbPfiPiS9_iiiiii,"axG",@progbits,_ZN4vllm3moe17topkGatingSoftmaxIDF16_Li16ELi256ELi8ELi32ELb0ELi8ELNS0_23SharedExpertScoringFuncE1EEEvPKT_PKbPfiPiS9_iiiiii,comdat
	.protected	_ZN4vllm3moe17topkGatingSoftmaxIDF16_Li16ELi256ELi8ELi32ELb0ELi8ELNS0_23SharedExpertScoringFuncE1EEEvPKT_PKbPfiPiS9_iiiiii ; -- Begin function _ZN4vllm3moe17topkGatingSoftmaxIDF16_Li16ELi256ELi8ELi32ELb0ELi8ELNS0_23SharedExpertScoringFuncE1EEEvPKT_PKbPfiPiS9_iiiiii
	.globl	_ZN4vllm3moe17topkGatingSoftmaxIDF16_Li16ELi256ELi8ELi32ELb0ELi8ELNS0_23SharedExpertScoringFuncE1EEEvPKT_PKbPfiPiS9_iiiiii
	.p2align	8
	.type	_ZN4vllm3moe17topkGatingSoftmaxIDF16_Li16ELi256ELi8ELi32ELb0ELi8ELNS0_23SharedExpertScoringFuncE1EEEvPKT_PKbPfiPiS9_iiiiii,@function
_ZN4vllm3moe17topkGatingSoftmaxIDF16_Li16ELi256ELi8ELi32ELb0ELi8ELNS0_23SharedExpertScoringFuncE1EEEvPKT_PKbPfiPiS9_iiiiii: ; @_ZN4vllm3moe17topkGatingSoftmaxIDF16_Li16ELi256ELi8ELi32ELb0ELi8ELNS0_23SharedExpertScoringFuncE1EEEvPKT_PKbPfiPiS9_iiiiii
; %bb.0:
	s_load_dword s33, s[4:5], 0x18
	v_bfe_u32 v1, v0, 10, 10
	v_and_b32_e32 v0, 0x3ff, v0
	s_lshl_b32 s50, s6, 5
	v_lshlrev_b32_e32 v42, 2, v1
	v_lshrrev_b32_e32 v43, 4, v0
	v_add3_u32 v22, s50, v42, v43
	s_waitcnt lgkmcnt(0)
	v_cmp_gt_i32_e32 vcc, s33, v22
	s_and_saveexec_b64 s[0:1], vcc
	s_cbranch_execz .LBB195_31
; %bb.1:
	s_load_dwordx4 s[0:3], s[4:5], 0x0
	s_load_dwordx2 s[34:35], s[4:5], 0x10
	s_waitcnt lgkmcnt(0)
	s_cmp_eq_u64 s[2:3], 0
	s_cbranch_scc1 .LBB195_3
; %bb.2:
	v_ashrrev_i32_e32 v1, 31, v22
	v_mov_b32_e32 v3, s3
	v_add_co_u32_e32 v2, vcc, s2, v22
	v_addc_co_u32_e32 v3, vcc, v3, v1, vcc
	global_load_ubyte v1, v[2:3], off
	s_waitcnt vmcnt(0)
	v_and_b32_e32 v1, 1, v1
	v_cmp_eq_u32_e32 vcc, 1, v1
	s_xor_b64 s[2:3], vcc, -1
	s_orn2_b64 s[46:47], s[2:3], exec
	s_branch .LBB195_4
.LBB195_3:
	s_mov_b64 s[46:47], -1
.LBB195_4:
	s_load_dwordx2 s[6:7], s[4:5], 0x40
	s_load_dwordx4 s[36:39], s[4:5], 0x30
	v_mov_b32_e32 v4, s1
	v_and_b32_e32 v23, 15, v0
	v_lshlrev_b32_e32 v0, 5, v23
	s_waitcnt lgkmcnt(0)
	v_mul_lo_u32 v2, v22, s7
	v_ashrrev_i32_e32 v3, 31, v2
	v_lshlrev_b64 v[2:3], 1, v[2:3]
	v_add_co_u32_e32 v1, vcc, s0, v2
	v_addc_co_u32_e32 v2, vcc, v4, v3, vcc
	v_add_co_u32_e32 v8, vcc, v1, v0
	v_addc_co_u32_e32 v9, vcc, 0, v2, vcc
	global_load_dwordx4 v[12:15], v[8:9], off offset:16
	global_load_dwordx4 v[4:7], v[8:9], off
	v_lshlrev_b32_e32 v26, 4, v23
	v_mov_b32_e32 v24, 0
	v_cmp_gt_u32_e32 vcc, 8, v23
	s_and_saveexec_b64 s[0:1], vcc
	s_cbranch_execz .LBB195_6
; %bb.5:
	v_lshlrev_b32_e32 v0, 1, v23
	v_add_co_u32_e32 v0, vcc, v1, v0
	v_addc_co_u32_e32 v1, vcc, 0, v2, vcc
	global_load_ushort v0, v[0:1], off offset:512
	s_mov_b32 s2, 0x3fb8aa3b
	s_mov_b32 s3, 0x32a5705f
	;; [unrolled: 1-line block ×4, first 2 shown]
	v_mov_b32_e32 v3, 0x7f800000
	v_mul_lo_u32 v1, v22, s39
	s_waitcnt vmcnt(0)
	v_cvt_f32_f16_e64 v2, -v0
	v_mul_f32_e32 v8, 0x3fb8aa3b, v2
	v_fma_mix_f32 v9, -v0, s2, -v8 op_sel_hi:[1,0,0]
	v_rndne_f32_e32 v10, v8
	v_fma_mix_f32 v0, -v0, s3, v9 op_sel_hi:[1,0,0]
	v_sub_f32_e32 v8, v8, v10
	v_add_f32_e32 v0, v8, v0
	v_cvt_i32_f32_e32 v9, v10
	v_exp_f32_e32 v8, v0
	v_cmp_ngt_f32_e32 vcc, s7, v2
	v_add3_u32 v0, v1, s36, v23
	v_ashrrev_i32_e32 v1, 31, v0
	v_ldexp_f32 v8, v8, v9
	v_cndmask_b32_e32 v8, 0, v8, vcc
	v_cmp_nlt_f32_e32 vcc, s8, v2
	v_cndmask_b32_e32 v2, v3, v8, vcc
	v_add_f32_e32 v2, 1.0, v2
	v_div_scale_f32 v3, s[2:3], v2, v2, 1.0
	v_rcp_f32_e32 v8, v3
	v_div_scale_f32 v9, vcc, 1.0, v2, 1.0
	v_lshlrev_b64 v[0:1], 2, v[0:1]
	v_fma_f32 v11, -v3, v8, 1.0
	v_fmac_f32_e32 v8, v11, v8
	v_mul_f32_e32 v11, v9, v8
	v_fma_f32 v16, -v3, v11, v9
	v_fmac_f32_e32 v11, v16, v8
	v_fma_f32 v3, -v3, v11, v9
	v_mov_b32_e32 v10, s35
	v_div_fmas_f32 v3, v3, v8, v11
	v_add_co_u32_e32 v0, vcc, s34, v0
	v_div_fixup_f32 v2, v3, v2, 1.0
	v_addc_co_u32_e32 v1, vcc, v10, v1, vcc
	global_store_dword v[0:1], v2, off
.LBB195_6:
	s_or_b64 exec, exec, s[0:1]
	s_waitcnt vmcnt(0)
	v_cvt_f32_f16_e32 v0, v4
	v_cvt_f32_f16_sdwa v1, v4 dst_sel:DWORD dst_unused:UNUSED_PAD src0_sel:WORD_1
	v_cvt_f32_f16_e32 v2, v5
	v_cmp_lt_f16_sdwa vcc, v4, v4 src0_sel:DWORD src1_sel:WORD_1
	v_or_b32_e32 v27, 1, v26
	v_cndmask_b32_e32 v4, v0, v1, vcc
	v_cndmask_b32_e32 v3, v26, v27, vcc
	v_or_b32_e32 v28, 2, v26
	v_cmp_lt_f32_e32 vcc, v4, v2
	v_cndmask_b32_e32 v8, v3, v28, vcc
	v_cvt_f32_f16_sdwa v3, v5 dst_sel:DWORD dst_unused:UNUSED_PAD src0_sel:WORD_1
	v_cndmask_b32_e32 v4, v4, v2, vcc
	v_or_b32_e32 v29, 3, v26
	v_or_b32_e32 v30, 4, v26
	v_cmp_lt_f32_e32 vcc, v4, v3
	v_cndmask_b32_e32 v5, v8, v29, vcc
	v_cndmask_b32_e32 v8, v4, v3, vcc
	v_cvt_f32_f16_e32 v4, v6
	v_or_b32_e32 v31, 5, v26
	v_or_b32_e32 v32, 6, v26
	;; [unrolled: 1-line block ×3, first 2 shown]
	v_cmp_lt_f32_e32 vcc, v8, v4
	v_cndmask_b32_e32 v9, v5, v30, vcc
	v_cvt_f32_f16_sdwa v5, v6 dst_sel:DWORD dst_unused:UNUSED_PAD src0_sel:WORD_1
	v_cvt_f32_f16_e32 v6, v7
	v_cndmask_b32_e32 v8, v8, v4, vcc
	v_cvt_f32_f16_sdwa v7, v7 dst_sel:DWORD dst_unused:UNUSED_PAD src0_sel:WORD_1
	v_cmp_lt_f32_e32 vcc, v8, v5
	v_cndmask_b32_e32 v8, v8, v5, vcc
	v_cndmask_b32_e32 v9, v9, v31, vcc
	v_cmp_lt_f32_e32 vcc, v8, v6
	v_cndmask_b32_e32 v8, v8, v6, vcc
	v_cndmask_b32_e32 v9, v9, v32, vcc
	v_cmp_lt_f32_e32 vcc, v8, v7
	v_cndmask_b32_e32 v10, v8, v7, vcc
	v_cvt_f32_f16_e32 v8, v12
	v_cndmask_b32_e32 v9, v9, v33, vcc
	v_or_b32_e32 v34, 8, v26
	v_or_b32_e32 v35, 9, v26
	v_cmp_lt_f32_e32 vcc, v10, v8
	v_cndmask_b32_e32 v11, v9, v34, vcc
	v_cvt_f32_f16_sdwa v9, v12 dst_sel:DWORD dst_unused:UNUSED_PAD src0_sel:WORD_1
	v_cndmask_b32_e32 v10, v10, v8, vcc
	v_or_b32_e32 v36, 10, v26
	v_or_b32_e32 v37, 11, v26
	v_cmp_lt_f32_e32 vcc, v10, v9
	v_cndmask_b32_e32 v12, v10, v9, vcc
	v_cvt_f32_f16_e32 v10, v13
	v_cndmask_b32_e32 v11, v11, v35, vcc
	v_or_b32_e32 v38, 12, v26
	v_or_b32_e32 v39, 13, v26
	v_cmp_lt_f32_e32 vcc, v12, v10
	v_cndmask_b32_e32 v16, v11, v36, vcc
	v_cvt_f32_f16_sdwa v11, v13 dst_sel:DWORD dst_unused:UNUSED_PAD src0_sel:WORD_1
	v_cndmask_b32_e32 v12, v12, v10, vcc
	v_or_b32_e32 v40, 14, v26
	v_or_b32_e32 v41, 15, v26
	v_cmp_lt_f32_e32 vcc, v12, v11
	v_cndmask_b32_e32 v13, v16, v37, vcc
	v_cndmask_b32_e32 v16, v12, v11, vcc
	v_cvt_f32_f16_e32 v12, v14
	v_cmp_lt_f32_e32 vcc, v16, v12
	v_cndmask_b32_e32 v17, v13, v38, vcc
	v_cvt_f32_f16_sdwa v13, v14 dst_sel:DWORD dst_unused:UNUSED_PAD src0_sel:WORD_1
	v_cvt_f32_f16_e32 v14, v15
	v_cndmask_b32_e32 v16, v16, v12, vcc
	v_cvt_f32_f16_sdwa v15, v15 dst_sel:DWORD dst_unused:UNUSED_PAD src0_sel:WORD_1
	v_cmp_lt_f32_e32 vcc, v16, v13
	v_cndmask_b32_e32 v16, v16, v13, vcc
	v_cndmask_b32_e32 v17, v17, v39, vcc
	v_cmp_lt_f32_e32 vcc, v16, v14
	v_cndmask_b32_e32 v16, v16, v14, vcc
	v_cndmask_b32_e32 v17, v17, v40, vcc
	;; [unrolled: 3-line block ×3, first 2 shown]
	s_nop 0
	v_mov_b32_dpp v19, v17 quad_perm:[1,0,3,2] row_mask:0xf bank_mask:0xf
	v_mov_b32_dpp v18, v16 quad_perm:[1,0,3,2] row_mask:0xf bank_mask:0xf
	v_cmp_eq_f32_e64 s[0:1], v16, v18
	v_cmp_lt_i32_e64 s[2:3], v19, v17
	v_cmp_lt_f32_e32 vcc, v16, v18
	s_and_b64 s[0:1], s[0:1], s[2:3]
	s_or_b64 vcc, vcc, s[0:1]
	v_cndmask_b32_e32 v16, v16, v18, vcc
	v_cndmask_b32_e32 v17, v17, v19, vcc
	s_nop 0
	v_mov_b32_dpp v18, v16 quad_perm:[2,3,0,1] row_mask:0xf bank_mask:0xf
	v_mov_b32_dpp v19, v17 quad_perm:[2,3,0,1] row_mask:0xf bank_mask:0xf
	v_cmp_eq_f32_e64 s[0:1], v16, v18
	v_cmp_lt_i32_e64 s[2:3], v19, v17
	v_cmp_lt_f32_e32 vcc, v16, v18
	s_and_b64 s[0:1], s[0:1], s[2:3]
	s_or_b64 vcc, vcc, s[0:1]
	v_cndmask_b32_e32 v16, v16, v18, vcc
	v_cndmask_b32_e32 v17, v17, v19, vcc
	s_nop 0
	v_mov_b32_dpp v18, v16 row_half_mirror row_mask:0xf bank_mask:0xf
	v_mov_b32_dpp v19, v17 row_half_mirror row_mask:0xf bank_mask:0xf
	v_cmp_eq_f32_e64 s[0:1], v16, v18
	v_cmp_lt_i32_e64 s[2:3], v19, v17
	v_cmp_lt_f32_e32 vcc, v16, v18
	s_and_b64 s[0:1], s[0:1], s[2:3]
	s_or_b64 vcc, vcc, s[0:1]
	v_cndmask_b32_e32 v18, v16, v18, vcc
	v_cndmask_b32_e32 v16, v17, v19, vcc
	s_nop 0
	v_mov_b32_dpp v19, v18 row_mirror row_mask:0xf bank_mask:0xf
	v_mov_b32_dpp v17, v16 row_mirror row_mask:0xf bank_mask:0xf
	v_cmp_eq_f32_e64 s[0:1], v18, v19
	v_cmp_lt_i32_e64 s[2:3], v17, v16
	v_cmp_lt_f32_e32 vcc, v18, v19
	s_and_b64 s[0:1], s[0:1], s[2:3]
	s_or_b64 s[0:1], vcc, s[0:1]
	s_cmp_gt_i32 s36, 0
	v_cndmask_b32_e64 v25, v18, v19, s[0:1]
	s_cselect_b64 s[44:45], -1, 0
	s_cmp_lt_i32 s36, 1
	v_cmp_eq_u32_e32 vcc, 0, v23
	s_cbranch_scc1 .LBB195_18
; %bb.7:
	s_load_dwordx4 s[40:43], s[4:5], 0x20
	v_cndmask_b32_e64 v44, v16, v17, s[0:1]
	v_mul_lo_u32 v20, v22, s39
	v_mul_lo_u32 v18, v22, s6
	;; [unrolled: 1-line block ×3, first 2 shown]
	v_mov_b32_e32 v24, 0
	s_and_saveexec_b64 s[4:5], vcc
	s_cbranch_execz .LBB195_9
; %bb.8:
	v_sub_f32_e32 v17, v25, v25
	v_mul_f32_e32 v19, 0x3fb8aa3b, v17
	s_mov_b32 s0, 0x3fb8aa3b
	v_rndne_f32_e32 v21, v19
	v_sub_f32_e32 v24, v19, v21
	v_fma_f32 v19, v17, s0, -v19
	v_fmac_f32_e32 v19, 0x32a5705f, v17
	v_add_f32_e32 v19, v24, v19
	v_exp_f32_e32 v19, v19
	v_cvt_i32_f32_e32 v21, v21
	v_cmp_le_i32_e64 s[0:1], s37, v44
	v_cmp_gt_i32_e64 s[2:3], s38, v44
	s_and_b64 s[2:3], s[0:1], s[2:3]
	s_mov_b32 s0, 0xc2ce8ed0
	v_ldexp_f32 v19, v19, v21
	v_cmp_ngt_f32_e64 s[0:1], s0, v17
	v_cndmask_b32_e64 v19, 0, v19, s[0:1]
	s_mov_b32 s0, 0x42b17218
	v_mov_b32_e32 v21, 0x7f800000
	v_cmp_nlt_f32_e64 s[0:1], s0, v17
	v_cndmask_b32_e64 v24, v21, v19, s[0:1]
	v_ashrrev_i32_e32 v21, 31, v20
	v_lshlrev_b64 v[46:47], 2, v[20:21]
	v_mov_b32_e32 v17, s35
	v_add_co_u32_e64 v46, s[0:1], s34, v46
	v_addc_co_u32_e64 v47, s[0:1], v17, v47, s[0:1]
	v_subrev_u32_e32 v17, s37, v44
	v_mov_b32_e32 v19, 0x100
	s_and_b64 s[0:1], s[46:47], s[2:3]
	v_cndmask_b32_e64 v17, v19, v17, s[0:1]
	v_ashrrev_i32_e32 v19, 31, v18
	global_store_dword v[46:47], v24, off
	v_lshlrev_b64 v[46:47], 2, v[18:19]
	s_waitcnt lgkmcnt(0)
	v_mov_b32_e32 v19, s41
	v_add_co_u32_e64 v46, s[0:1], s40, v46
	v_addc_co_u32_e64 v47, s[0:1], v19, v47, s[0:1]
	global_store_dword v[46:47], v17, off
	v_ashrrev_i32_e32 v17, 31, v16
	v_lshlrev_b64 v[46:47], 2, v[16:17]
	v_mov_b32_e32 v17, s43
	v_add_co_u32_e64 v46, s[0:1], s42, v46
	v_addc_co_u32_e64 v47, s[0:1], v17, v47, s[0:1]
	global_store_dword v[46:47], v22, off
.LBB195_9:
	s_or_b64 exec, exec, s[4:5]
	v_ashrrev_i32_e32 v17, 31, v44
	v_lshrrev_b32_e32 v19, 28, v17
	v_add_u32_e32 v19, v44, v19
	v_ashrrev_i32_e32 v19, 4, v19
	v_lshrrev_b32_e32 v21, 28, v19
	v_add_u32_e32 v21, v19, v21
	v_and_b32_e32 v21, -16, v21
	v_sub_u32_e32 v21, v19, v21
	v_cmp_eq_u32_e64 s[0:1], v23, v21
	s_and_saveexec_b64 s[48:49], s[0:1]
	s_cbranch_execz .LBB195_11
; %bb.10:
	v_add_u32_sdwa v17, v44, v17 dst_sel:DWORD dst_unused:UNUSED_PAD src0_sel:DWORD src1_sel:BYTE_3
	v_lshlrev_b32_e32 v19, 4, v19
	v_sub_u32_e32 v19, v44, v19
	v_ashrrev_i32_e32 v17, 8, v17
	v_lshl_add_u32 v17, v17, 4, v19
	v_mov_b32_e32 v19, 0xff800000
	v_cmp_ne_u32_e64 s[0:1], 14, v17
	v_cmp_ne_u32_e64 s[2:3], 13, v17
	;; [unrolled: 1-line block ×16, first 2 shown]
	v_cndmask_b32_e64 v15, v19, v15, s[30:31]
	v_cndmask_b32_e64 v14, v19, v14, s[0:1]
	;; [unrolled: 1-line block ×16, first 2 shown]
.LBB195_11:
	s_or_b64 exec, exec, s[48:49]
	s_cmp_eq_u32 s36, 1
	s_cbranch_scc1 .LBB195_18
; %bb.12:
	s_add_i32 s50, s50, s33
	s_add_i32 s51, s36, -1
	v_add3_u32 v42, s50, v43, v42
	v_add_u32_e32 v16, 1, v16
	v_add_u32_e32 v18, 1, v18
	;; [unrolled: 1-line block ×3, first 2 shown]
	s_mov_b32 s50, 0x3fb8aa3b
	s_mov_b32 s52, 0xc2ce8ed0
	;; [unrolled: 1-line block ×3, first 2 shown]
	v_mov_b32_e32 v43, 0x7f800000
	v_mov_b32_e32 v44, 0x100
	;; [unrolled: 1-line block ×3, first 2 shown]
	s_branch .LBB195_14
.LBB195_13:                             ;   in Loop: Header=BB195_14 Depth=1
	s_or_b64 exec, exec, s[48:49]
	s_add_i32 s51, s51, -1
	v_add_u32_e32 v42, s33, v42
	v_add_u32_e32 v16, 1, v16
	;; [unrolled: 1-line block ×3, first 2 shown]
	s_cmp_eq_u32 s51, 0
	v_add_u32_e32 v20, 1, v20
	s_cbranch_scc1 .LBB195_18
.LBB195_14:                             ; =>This Inner Loop Header: Depth=1
	v_cmp_gt_f32_e64 s[0:1], v1, v0
	v_cndmask_b32_e64 v19, v0, v1, s[0:1]
	v_cndmask_b32_e64 v17, v26, v27, s[0:1]
	v_cmp_gt_f32_e64 s[0:1], v2, v19
	v_cndmask_b32_e64 v19, v19, v2, s[0:1]
	v_cndmask_b32_e64 v17, v17, v28, s[0:1]
	;; [unrolled: 3-line block ×15, first 2 shown]
	s_nop 0
	v_mov_b32_dpp v46, v17 quad_perm:[1,0,3,2] row_mask:0xf bank_mask:0xf
	v_mov_b32_dpp v21, v19 quad_perm:[1,0,3,2] row_mask:0xf bank_mask:0xf
	v_cmp_eq_f32_e64 s[2:3], v19, v21
	v_cmp_lt_i32_e64 s[4:5], v46, v17
	v_cmp_lt_f32_e64 s[0:1], v19, v21
	s_and_b64 s[2:3], s[2:3], s[4:5]
	s_or_b64 s[0:1], s[0:1], s[2:3]
	v_cndmask_b32_e64 v19, v19, v21, s[0:1]
	v_cndmask_b32_e64 v17, v17, v46, s[0:1]
	s_nop 0
	v_mov_b32_dpp v21, v19 quad_perm:[2,3,0,1] row_mask:0xf bank_mask:0xf
	v_mov_b32_dpp v46, v17 quad_perm:[2,3,0,1] row_mask:0xf bank_mask:0xf
	v_cmp_eq_f32_e64 s[2:3], v19, v21
	v_cmp_lt_i32_e64 s[4:5], v46, v17
	v_cmp_lt_f32_e64 s[0:1], v19, v21
	s_and_b64 s[2:3], s[2:3], s[4:5]
	s_or_b64 s[0:1], s[0:1], s[2:3]
	v_cndmask_b32_e64 v19, v19, v21, s[0:1]
	v_cndmask_b32_e64 v21, v17, v46, s[0:1]
	s_nop 0
	v_mov_b32_dpp v17, v19 row_half_mirror row_mask:0xf bank_mask:0xf
	v_mov_b32_dpp v46, v21 row_half_mirror row_mask:0xf bank_mask:0xf
	v_cmp_eq_f32_e64 s[2:3], v19, v17
	v_cmp_lt_i32_e64 s[4:5], v46, v21
	v_cmp_lt_f32_e64 s[0:1], v19, v17
	s_and_b64 s[2:3], s[2:3], s[4:5]
	s_or_b64 s[0:1], s[0:1], s[2:3]
	v_cndmask_b32_e64 v17, v19, v17, s[0:1]
	v_cndmask_b32_e64 v21, v21, v46, s[0:1]
	s_nop 0
	v_mov_b32_dpp v19, v17 row_mirror row_mask:0xf bank_mask:0xf
	v_mov_b32_dpp v46, v21 row_mirror row_mask:0xf bank_mask:0xf
	v_cmp_eq_f32_e64 s[2:3], v17, v19
	v_cmp_lt_i32_e64 s[4:5], v46, v21
	v_cmp_lt_f32_e64 s[0:1], v17, v19
	s_and_b64 s[2:3], s[2:3], s[4:5]
	s_or_b64 s[0:1], s[0:1], s[2:3]
	v_cndmask_b32_e64 v46, v21, v46, s[0:1]
	s_and_saveexec_b64 s[4:5], vcc
	s_cbranch_execz .LBB195_16
; %bb.15:                               ;   in Loop: Header=BB195_14 Depth=1
	v_cndmask_b32_e64 v17, v17, v19, s[0:1]
	v_sub_f32_e32 v17, v17, v25
	v_mul_f32_e32 v19, 0x3fb8aa3b, v17
	v_fma_f32 v21, v17, s50, -v19
	v_rndne_f32_e32 v47, v19
	v_fmac_f32_e32 v21, 0x32a5705f, v17
	v_sub_f32_e32 v19, v19, v47
	v_add_f32_e32 v19, v19, v21
	v_exp_f32_e32 v19, v19
	v_cvt_i32_f32_e32 v21, v47
	v_cmp_le_i32_e64 s[0:1], s37, v46
	v_cmp_gt_i32_e64 s[2:3], s38, v46
	s_and_b64 s[2:3], s[0:1], s[2:3]
	v_ldexp_f32 v19, v19, v21
	v_cmp_ngt_f32_e64 s[0:1], s52, v17
	v_ashrrev_i32_e32 v21, 31, v20
	v_cndmask_b32_e64 v19, 0, v19, s[0:1]
	v_cmp_nlt_f32_e64 s[0:1], s53, v17
	v_lshlrev_b64 v[48:49], 2, v[20:21]
	v_cndmask_b32_e64 v47, v43, v19, s[0:1]
	v_mov_b32_e32 v17, s35
	v_add_co_u32_e64 v48, s[0:1], s34, v48
	v_addc_co_u32_e64 v49, s[0:1], v17, v49, s[0:1]
	v_ashrrev_i32_e32 v19, 31, v18
	global_store_dword v[48:49], v47, off
	v_subrev_u32_e32 v17, s37, v46
	s_and_b64 s[0:1], s[46:47], s[2:3]
	v_lshlrev_b64 v[48:49], 2, v[18:19]
	v_cndmask_b32_e64 v17, v44, v17, s[0:1]
	s_waitcnt lgkmcnt(0)
	v_mov_b32_e32 v19, s41
	v_add_co_u32_e64 v48, s[0:1], s40, v48
	v_addc_co_u32_e64 v49, s[0:1], v19, v49, s[0:1]
	global_store_dword v[48:49], v17, off
	v_ashrrev_i32_e32 v17, 31, v16
	v_lshlrev_b64 v[48:49], 2, v[16:17]
	v_mov_b32_e32 v17, s43
	v_add_co_u32_e64 v48, s[0:1], s42, v48
	v_addc_co_u32_e64 v49, s[0:1], v17, v49, s[0:1]
	v_add_f32_e32 v24, v24, v47
	global_store_dword v[48:49], v42, off
.LBB195_16:                             ;   in Loop: Header=BB195_14 Depth=1
	s_or_b64 exec, exec, s[4:5]
	v_ashrrev_i32_e32 v17, 31, v46
	v_lshrrev_b32_e32 v19, 28, v17
	v_add_u32_e32 v19, v46, v19
	v_ashrrev_i32_e32 v19, 4, v19
	v_lshrrev_b32_e32 v21, 28, v19
	v_add_u32_e32 v21, v19, v21
	v_and_b32_e32 v21, -16, v21
	v_sub_u32_e32 v21, v19, v21
	v_cmp_eq_u32_e64 s[0:1], v23, v21
	s_and_saveexec_b64 s[48:49], s[0:1]
	s_cbranch_execz .LBB195_13
; %bb.17:                               ;   in Loop: Header=BB195_14 Depth=1
	v_add_u32_sdwa v17, v46, v17 dst_sel:DWORD dst_unused:UNUSED_PAD src0_sel:DWORD src1_sel:BYTE_3
	v_lshlrev_b32_e32 v19, 4, v19
	v_sub_u32_e32 v19, v46, v19
	v_ashrrev_i32_e32 v17, 8, v17
	v_lshl_add_u32 v17, v17, 4, v19
	v_cmp_ne_u32_e64 s[0:1], 14, v17
	v_cmp_ne_u32_e64 s[2:3], 13, v17
	;; [unrolled: 1-line block ×16, first 2 shown]
	v_cndmask_b32_e64 v15, v45, v15, s[30:31]
	v_cndmask_b32_e64 v14, v45, v14, s[0:1]
	;; [unrolled: 1-line block ×16, first 2 shown]
	s_branch .LBB195_13
.LBB195_18:
	v_sub_f32_e32 v0, v0, v25
	s_mov_b32 s2, 0x3fb8aa3b
	v_mul_f32_e32 v16, 0x3fb8aa3b, v0
	v_fma_f32 v17, v0, s2, -v16
	v_rndne_f32_e32 v18, v16
	v_fmac_f32_e32 v17, 0x32a5705f, v0
	v_sub_f32_e32 v16, v16, v18
	v_add_f32_e32 v16, v16, v17
	v_exp_f32_e32 v16, v16
	v_cvt_i32_f32_e32 v17, v18
	v_sub_f32_e32 v1, v1, v25
	s_mov_b32 s4, 0xc2ce8ed0
	s_mov_b32 s3, 0x42b17218
	v_ldexp_f32 v16, v16, v17
	v_mul_f32_e32 v17, 0x3fb8aa3b, v1
	v_fma_f32 v18, v1, s2, -v17
	v_rndne_f32_e32 v19, v17
	v_fmac_f32_e32 v18, 0x32a5705f, v1
	v_sub_f32_e32 v17, v17, v19
	v_add_f32_e32 v17, v17, v18
	v_exp_f32_e32 v17, v17
	v_cvt_i32_f32_e32 v18, v19
	v_cmp_ngt_f32_e32 vcc, s4, v1
	v_cmp_ngt_f32_e64 s[0:1], s4, v0
	v_sub_f32_e32 v2, v2, v25
	v_ldexp_f32 v17, v17, v18
	v_cndmask_b32_e32 v17, 0, v17, vcc
	v_mov_b32_e32 v18, 0x7f800000
	v_cmp_nlt_f32_e32 vcc, s3, v1
	v_cndmask_b32_e64 v1, 0, v16, s[0:1]
	v_cmp_nlt_f32_e64 s[0:1], s3, v0
	v_cndmask_b32_e64 v0, v18, v1, s[0:1]
	v_cndmask_b32_e32 v1, v18, v17, vcc
	v_add_f32_e32 v0, v0, v1
	v_mul_f32_e32 v1, 0x3fb8aa3b, v2
	v_fma_f32 v16, v2, s2, -v1
	v_rndne_f32_e32 v17, v1
	v_fmac_f32_e32 v16, 0x32a5705f, v2
	v_sub_f32_e32 v1, v1, v17
	v_add_f32_e32 v1, v1, v16
	v_exp_f32_e32 v1, v1
	v_cvt_i32_f32_e32 v16, v17
	v_cmp_ngt_f32_e32 vcc, s4, v2
	v_sub_f32_e32 v3, v3, v25
	v_sub_f32_e32 v4, v4, v25
	v_ldexp_f32 v1, v1, v16
	v_cndmask_b32_e32 v1, 0, v1, vcc
	v_cmp_nlt_f32_e32 vcc, s3, v2
	v_cndmask_b32_e32 v1, v18, v1, vcc
	v_add_f32_e32 v0, v0, v1
	v_mul_f32_e32 v1, 0x3fb8aa3b, v3
	v_fma_f32 v2, v3, s2, -v1
	v_rndne_f32_e32 v16, v1
	v_fmac_f32_e32 v2, 0x32a5705f, v3
	v_sub_f32_e32 v1, v1, v16
	v_add_f32_e32 v1, v1, v2
	v_exp_f32_e32 v1, v1
	v_cvt_i32_f32_e32 v2, v16
	v_cmp_ngt_f32_e32 vcc, s4, v3
	v_sub_f32_e32 v5, v5, v25
	v_sub_f32_e32 v6, v6, v25
	v_ldexp_f32 v1, v1, v2
	v_cndmask_b32_e32 v1, 0, v1, vcc
	v_cmp_nlt_f32_e32 vcc, s3, v3
	;; [unrolled: 16-line block ×5, first 2 shown]
	v_cndmask_b32_e32 v1, v18, v1, vcc
	v_add_f32_e32 v0, v0, v1
	v_mul_f32_e32 v1, 0x3fb8aa3b, v7
	v_fma_f32 v2, v7, s2, -v1
	v_rndne_f32_e32 v3, v1
	v_fmac_f32_e32 v2, 0x32a5705f, v7
	v_sub_f32_e32 v1, v1, v3
	v_add_f32_e32 v1, v1, v2
	v_exp_f32_e32 v1, v1
	v_cvt_i32_f32_e32 v2, v3
	v_cmp_ngt_f32_e32 vcc, s4, v7
	v_ldexp_f32 v1, v1, v2
	v_mul_f32_e32 v2, 0x3fb8aa3b, v8
	v_fma_f32 v3, v8, s2, -v2
	v_rndne_f32_e32 v4, v2
	v_fmac_f32_e32 v3, 0x32a5705f, v8
	v_sub_f32_e32 v2, v2, v4
	v_add_f32_e32 v2, v2, v3
	v_exp_f32_e32 v2, v2
	v_cvt_i32_f32_e32 v3, v4
	v_cndmask_b32_e32 v1, 0, v1, vcc
	v_cmp_nlt_f32_e32 vcc, s3, v7
	v_cndmask_b32_e32 v1, v18, v1, vcc
	v_add_f32_e32 v0, v0, v1
	v_ldexp_f32 v1, v2, v3
	v_mul_f32_e32 v2, 0x3fb8aa3b, v9
	v_fma_f32 v3, v9, s2, -v2
	v_rndne_f32_e32 v4, v2
	v_fmac_f32_e32 v3, 0x32a5705f, v9
	v_sub_f32_e32 v2, v2, v4
	v_add_f32_e32 v2, v2, v3
	v_exp_f32_e32 v2, v2
	v_cvt_i32_f32_e32 v3, v4
	v_cmp_ngt_f32_e32 vcc, s4, v8
	v_cndmask_b32_e32 v1, 0, v1, vcc
	v_cmp_nlt_f32_e32 vcc, s3, v8
	v_cndmask_b32_e32 v1, v18, v1, vcc
	v_add_f32_e32 v0, v0, v1
	v_ldexp_f32 v1, v2, v3
	v_mul_f32_e32 v2, 0x3fb8aa3b, v10
	v_fma_f32 v3, v10, s2, -v2
	v_rndne_f32_e32 v4, v2
	v_fmac_f32_e32 v3, 0x32a5705f, v10
	v_sub_f32_e32 v2, v2, v4
	v_add_f32_e32 v2, v2, v3
	v_exp_f32_e32 v2, v2
	v_cvt_i32_f32_e32 v3, v4
	v_cmp_ngt_f32_e32 vcc, s4, v9
	v_cndmask_b32_e32 v1, 0, v1, vcc
	v_cmp_nlt_f32_e32 vcc, s3, v9
	v_cndmask_b32_e32 v1, v18, v1, vcc
	v_add_f32_e32 v0, v0, v1
	v_ldexp_f32 v1, v2, v3
	v_mul_f32_e32 v2, 0x3fb8aa3b, v11
	v_fma_f32 v3, v11, s2, -v2
	v_rndne_f32_e32 v4, v2
	v_fmac_f32_e32 v3, 0x32a5705f, v11
	v_sub_f32_e32 v2, v2, v4
	v_add_f32_e32 v2, v2, v3
	v_exp_f32_e32 v2, v2
	v_cvt_i32_f32_e32 v3, v4
	v_cmp_ngt_f32_e32 vcc, s4, v10
	v_cndmask_b32_e32 v1, 0, v1, vcc
	v_cmp_nlt_f32_e32 vcc, s3, v10
	v_cndmask_b32_e32 v1, v18, v1, vcc
	v_add_f32_e32 v0, v0, v1
	v_ldexp_f32 v1, v2, v3
	v_mul_f32_e32 v2, 0x3fb8aa3b, v12
	v_fma_f32 v3, v12, s2, -v2
	v_rndne_f32_e32 v4, v2
	v_fmac_f32_e32 v3, 0x32a5705f, v12
	v_sub_f32_e32 v2, v2, v4
	v_add_f32_e32 v2, v2, v3
	v_exp_f32_e32 v2, v2
	v_cvt_i32_f32_e32 v3, v4
	v_cmp_ngt_f32_e32 vcc, s4, v11
	v_cndmask_b32_e32 v1, 0, v1, vcc
	v_cmp_nlt_f32_e32 vcc, s3, v11
	v_cndmask_b32_e32 v1, v18, v1, vcc
	v_add_f32_e32 v0, v0, v1
	v_ldexp_f32 v1, v2, v3
	v_sub_f32_e32 v2, v13, v25
	v_mul_f32_e32 v3, 0x3fb8aa3b, v2
	v_fma_f32 v4, v2, s2, -v3
	v_rndne_f32_e32 v5, v3
	v_fmac_f32_e32 v4, 0x32a5705f, v2
	v_sub_f32_e32 v3, v3, v5
	v_add_f32_e32 v3, v3, v4
	v_exp_f32_e32 v3, v3
	v_cvt_i32_f32_e32 v4, v5
	v_cmp_ngt_f32_e32 vcc, s4, v12
	v_cndmask_b32_e32 v1, 0, v1, vcc
	v_cmp_nlt_f32_e32 vcc, s3, v12
	v_cndmask_b32_e32 v1, v18, v1, vcc
	v_add_f32_e32 v0, v0, v1
	v_ldexp_f32 v1, v3, v4
	v_sub_f32_e32 v3, v14, v25
	v_mul_f32_e32 v4, 0x3fb8aa3b, v3
	v_fma_f32 v5, v3, s2, -v4
	v_rndne_f32_e32 v6, v4
	v_fmac_f32_e32 v5, 0x32a5705f, v3
	v_sub_f32_e32 v4, v4, v6
	v_add_f32_e32 v4, v4, v5
	v_exp_f32_e32 v4, v4
	v_cvt_i32_f32_e32 v5, v6
	v_cmp_ngt_f32_e32 vcc, s4, v2
	v_cndmask_b32_e32 v1, 0, v1, vcc
	v_cmp_nlt_f32_e32 vcc, s3, v2
	v_cndmask_b32_e32 v1, v18, v1, vcc
	v_sub_f32_e32 v2, v15, v25
	v_add_f32_e32 v0, v0, v1
	v_ldexp_f32 v1, v4, v5
	v_mul_f32_e32 v4, 0x3fb8aa3b, v2
	v_fma_f32 v5, v2, s2, -v4
	v_rndne_f32_e32 v6, v4
	v_fmac_f32_e32 v5, 0x32a5705f, v2
	v_sub_f32_e32 v4, v4, v6
	v_add_f32_e32 v4, v4, v5
	v_exp_f32_e32 v4, v4
	v_cvt_i32_f32_e32 v5, v6
	v_cmp_ngt_f32_e32 vcc, s4, v3
	v_cndmask_b32_e32 v1, 0, v1, vcc
	v_cmp_nlt_f32_e32 vcc, s3, v3
	v_cndmask_b32_e32 v1, v18, v1, vcc
	v_add_f32_e32 v0, v0, v1
	v_ldexp_f32 v1, v4, v5
	v_cmp_ngt_f32_e32 vcc, s4, v2
	v_cndmask_b32_e32 v1, 0, v1, vcc
	v_cmp_nlt_f32_e32 vcc, s3, v2
	v_cndmask_b32_e32 v1, v18, v1, vcc
	v_add_f32_e32 v0, v0, v1
	v_cmp_eq_u32_e32 vcc, 0, v23
	s_nop 0
	v_mov_b32_dpp v1, v0 quad_perm:[1,0,3,2] row_mask:0xf bank_mask:0xf
	v_add_f32_e32 v0, v0, v1
	s_nop 1
	v_mov_b32_dpp v1, v0 quad_perm:[2,3,0,1] row_mask:0xf bank_mask:0xf
	v_add_f32_e32 v0, v0, v1
	s_nop 1
	v_mov_b32_dpp v1, v0 row_half_mirror row_mask:0xf bank_mask:0xf
	v_add_f32_e32 v0, v0, v1
	s_nop 1
	v_mov_b32_dpp v1, v0 row_mirror row_mask:0xf bank_mask:0xf
	s_and_b64 exec, exec, vcc
	s_cbranch_execz .LBB195_31
; %bb.19:
	v_add_f32_e32 v0, v0, v1
	v_add_f32_e32 v0, v24, v0
	v_cmp_neq_f32_e32 vcc, 0, v0
	s_and_b64 exec, exec, vcc
	s_cbranch_execz .LBB195_31
; %bb.20:
	s_andn2_b64 vcc, exec, s[44:45]
	s_cbranch_vccnz .LBB195_31
; %bb.21:
	v_div_scale_f32 v1, s[0:1], v0, v0, 1.0
	v_rcp_f32_e32 v2, v1
	v_div_scale_f32 v3, vcc, 1.0, v0, 1.0
	s_cmp_gt_u32 s36, 3
	v_fma_f32 v4, -v1, v2, 1.0
	v_fmac_f32_e32 v2, v4, v2
	v_mul_f32_e32 v4, v3, v2
	v_fma_f32 v5, -v1, v4, v3
	v_fmac_f32_e32 v4, v5, v2
	v_fma_f32 v1, -v1, v4, v3
	v_div_fmas_f32 v1, v1, v2, v4
	v_mul_lo_u32 v2, v22, s39
	v_div_fixup_f32 v0, v1, v0, 1.0
	v_ashrrev_i32_e32 v3, 31, v2
	s_cbranch_scc0 .LBB195_25
; %bb.22:
	v_lshlrev_b64 v[4:5], 2, v[2:3]
	v_mov_b32_e32 v6, s35
	v_add_co_u32_e32 v4, vcc, s34, v4
	v_addc_co_u32_e32 v5, vcc, v5, v6, vcc
	s_and_b32 s4, s36, 0x7ffffffc
	v_add_co_u32_e32 v4, vcc, 8, v4
	v_mov_b32_e32 v1, v0
	v_addc_co_u32_e32 v5, vcc, 0, v5, vcc
	s_mov_b32 s0, s4
.LBB195_23:                             ; =>This Inner Loop Header: Depth=1
	global_load_dwordx4 v[6:9], v[4:5], off offset:-8
	s_add_i32 s0, s0, -4
	s_cmp_lg_u32 s0, 0
	s_waitcnt vmcnt(0)
	v_pk_mul_f32 v[6:7], v[0:1], v[6:7]
	v_pk_mul_f32 v[8:9], v[0:1], v[8:9]
	global_store_dwordx4 v[4:5], v[6:9], off offset:-8
	v_add_co_u32_e32 v4, vcc, 16, v4
	v_addc_co_u32_e32 v5, vcc, 0, v5, vcc
	s_cbranch_scc1 .LBB195_23
; %bb.24:
	s_cmp_lg_u32 s4, s36
	s_mov_b64 s[2:3], 0
	s_cselect_b64 s[0:1], -1, 0
	s_branch .LBB195_26
.LBB195_25:
	s_mov_b64 s[2:3], -1
	s_mov_b64 s[0:1], 0
                                        ; implicit-def: $sgpr4
.LBB195_26:
	s_and_b64 vcc, exec, s[2:3]
	s_cbranch_vccz .LBB195_28
; %bb.27:
	s_mov_b64 s[0:1], -1
	s_mov_b32 s4, 0
.LBB195_28:
	s_andn2_b64 vcc, exec, s[0:1]
	s_cbranch_vccnz .LBB195_31
; %bb.29:
	v_add_co_u32_e32 v2, vcc, s4, v2
	v_addc_co_u32_e32 v3, vcc, 0, v3, vcc
	v_lshlrev_b64 v[2:3], 2, v[2:3]
	v_mov_b32_e32 v1, s35
	v_add_co_u32_e32 v2, vcc, s34, v2
	s_sub_i32 s0, s36, s4
	v_addc_co_u32_e32 v3, vcc, v1, v3, vcc
.LBB195_30:                             ; =>This Inner Loop Header: Depth=1
	global_load_dword v1, v[2:3], off
	s_add_i32 s0, s0, -1
	s_cmp_lg_u32 s0, 0
	s_waitcnt vmcnt(0)
	v_mul_f32_e32 v1, v0, v1
	global_store_dword v[2:3], v1, off
	v_add_co_u32_e32 v2, vcc, 4, v2
	v_addc_co_u32_e32 v3, vcc, 0, v3, vcc
	s_cbranch_scc1 .LBB195_30
.LBB195_31:
	s_endpgm
	.section	.rodata,"a",@progbits
	.p2align	6, 0x0
	.amdhsa_kernel _ZN4vllm3moe17topkGatingSoftmaxIDF16_Li16ELi256ELi8ELi32ELb0ELi8ELNS0_23SharedExpertScoringFuncE1EEEvPKT_PKbPfiPiS9_iiiiii
		.amdhsa_group_segment_fixed_size 0
		.amdhsa_private_segment_fixed_size 0
		.amdhsa_kernarg_size 72
		.amdhsa_user_sgpr_count 6
		.amdhsa_user_sgpr_private_segment_buffer 1
		.amdhsa_user_sgpr_dispatch_ptr 0
		.amdhsa_user_sgpr_queue_ptr 0
		.amdhsa_user_sgpr_kernarg_segment_ptr 1
		.amdhsa_user_sgpr_dispatch_id 0
		.amdhsa_user_sgpr_flat_scratch_init 0
		.amdhsa_user_sgpr_kernarg_preload_length 0
		.amdhsa_user_sgpr_kernarg_preload_offset 0
		.amdhsa_user_sgpr_private_segment_size 0
		.amdhsa_uses_dynamic_stack 0
		.amdhsa_system_sgpr_private_segment_wavefront_offset 0
		.amdhsa_system_sgpr_workgroup_id_x 1
		.amdhsa_system_sgpr_workgroup_id_y 0
		.amdhsa_system_sgpr_workgroup_id_z 0
		.amdhsa_system_sgpr_workgroup_info 0
		.amdhsa_system_vgpr_workitem_id 1
		.amdhsa_next_free_vgpr 50
		.amdhsa_next_free_sgpr 54
		.amdhsa_accum_offset 52
		.amdhsa_reserve_vcc 1
		.amdhsa_reserve_flat_scratch 0
		.amdhsa_float_round_mode_32 0
		.amdhsa_float_round_mode_16_64 0
		.amdhsa_float_denorm_mode_32 3
		.amdhsa_float_denorm_mode_16_64 3
		.amdhsa_dx10_clamp 1
		.amdhsa_ieee_mode 1
		.amdhsa_fp16_overflow 0
		.amdhsa_tg_split 0
		.amdhsa_exception_fp_ieee_invalid_op 0
		.amdhsa_exception_fp_denorm_src 0
		.amdhsa_exception_fp_ieee_div_zero 0
		.amdhsa_exception_fp_ieee_overflow 0
		.amdhsa_exception_fp_ieee_underflow 0
		.amdhsa_exception_fp_ieee_inexact 0
		.amdhsa_exception_int_div_zero 0
	.end_amdhsa_kernel
	.section	.text._ZN4vllm3moe17topkGatingSoftmaxIDF16_Li16ELi256ELi8ELi32ELb0ELi8ELNS0_23SharedExpertScoringFuncE1EEEvPKT_PKbPfiPiS9_iiiiii,"axG",@progbits,_ZN4vllm3moe17topkGatingSoftmaxIDF16_Li16ELi256ELi8ELi32ELb0ELi8ELNS0_23SharedExpertScoringFuncE1EEEvPKT_PKbPfiPiS9_iiiiii,comdat
.Lfunc_end195:
	.size	_ZN4vllm3moe17topkGatingSoftmaxIDF16_Li16ELi256ELi8ELi32ELb0ELi8ELNS0_23SharedExpertScoringFuncE1EEEvPKT_PKbPfiPiS9_iiiiii, .Lfunc_end195-_ZN4vllm3moe17topkGatingSoftmaxIDF16_Li16ELi256ELi8ELi32ELb0ELi8ELNS0_23SharedExpertScoringFuncE1EEEvPKT_PKbPfiPiS9_iiiiii
                                        ; -- End function
	.section	.AMDGPU.csdata,"",@progbits
; Kernel info:
; codeLenInByte = 4820
; NumSgprs: 58
; NumVgprs: 50
; NumAgprs: 0
; TotalNumVgprs: 50
; ScratchSize: 0
; MemoryBound: 0
; FloatMode: 240
; IeeeMode: 1
; LDSByteSize: 0 bytes/workgroup (compile time only)
; SGPRBlocks: 7
; VGPRBlocks: 6
; NumSGPRsForWavesPerEU: 58
; NumVGPRsForWavesPerEU: 50
; AccumOffset: 52
; Occupancy: 8
; WaveLimiterHint : 0
; COMPUTE_PGM_RSRC2:SCRATCH_EN: 0
; COMPUTE_PGM_RSRC2:USER_SGPR: 6
; COMPUTE_PGM_RSRC2:TRAP_HANDLER: 0
; COMPUTE_PGM_RSRC2:TGID_X_EN: 1
; COMPUTE_PGM_RSRC2:TGID_Y_EN: 0
; COMPUTE_PGM_RSRC2:TGID_Z_EN: 0
; COMPUTE_PGM_RSRC2:TIDIG_COMP_CNT: 1
; COMPUTE_PGM_RSRC3_GFX90A:ACCUM_OFFSET: 12
; COMPUTE_PGM_RSRC3_GFX90A:TG_SPLIT: 0
	.section	.text._ZN4vllm3moe17topkGatingSoftmaxIDF16_Li32ELi512ELi2ELi64ELb1ELi0ELNS0_23SharedExpertScoringFuncE0EEEvPKT_PKbPfiPiS9_iiiiii,"axG",@progbits,_ZN4vllm3moe17topkGatingSoftmaxIDF16_Li32ELi512ELi2ELi64ELb1ELi0ELNS0_23SharedExpertScoringFuncE0EEEvPKT_PKbPfiPiS9_iiiiii,comdat
	.protected	_ZN4vllm3moe17topkGatingSoftmaxIDF16_Li32ELi512ELi2ELi64ELb1ELi0ELNS0_23SharedExpertScoringFuncE0EEEvPKT_PKbPfiPiS9_iiiiii ; -- Begin function _ZN4vllm3moe17topkGatingSoftmaxIDF16_Li32ELi512ELi2ELi64ELb1ELi0ELNS0_23SharedExpertScoringFuncE0EEEvPKT_PKbPfiPiS9_iiiiii
	.globl	_ZN4vllm3moe17topkGatingSoftmaxIDF16_Li32ELi512ELi2ELi64ELb1ELi0ELNS0_23SharedExpertScoringFuncE0EEEvPKT_PKbPfiPiS9_iiiiii
	.p2align	8
	.type	_ZN4vllm3moe17topkGatingSoftmaxIDF16_Li32ELi512ELi2ELi64ELb1ELi0ELNS0_23SharedExpertScoringFuncE0EEEvPKT_PKbPfiPiS9_iiiiii,@function
_ZN4vllm3moe17topkGatingSoftmaxIDF16_Li32ELi512ELi2ELi64ELb1ELi0ELNS0_23SharedExpertScoringFuncE0EEEvPKT_PKbPfiPiS9_iiiiii: ; @_ZN4vllm3moe17topkGatingSoftmaxIDF16_Li32ELi512ELi2ELi64ELb1ELi0ELNS0_23SharedExpertScoringFuncE0EEEvPKT_PKbPfiPiS9_iiiiii
; %bb.0:
	s_load_dword s28, s[4:5], 0x18
	s_add_u32 s0, s0, s9
	v_bfe_u32 v1, v0, 10, 10
	v_and_b32_e32 v0, 0x3ff, v0
	s_addc_u32 s1, s1, 0
	s_lshl_b32 s29, s8, 3
	v_lshlrev_b32_e32 v36, 2, v1
	v_lshrrev_b32_e32 v37, 4, v0
	v_add3_u32 v6, s29, v36, v37
	s_waitcnt lgkmcnt(0)
	v_cmp_gt_i32_e32 vcc, s28, v6
	s_and_saveexec_b64 s[6:7], vcc
	s_cbranch_execz .LBB196_27
; %bb.1:
	s_load_dwordx4 s[8:11], s[4:5], 0x0
	s_load_dwordx2 s[20:21], s[4:5], 0x10
	s_waitcnt lgkmcnt(0)
	s_cmp_eq_u64 s[10:11], 0
	s_cbranch_scc1 .LBB196_3
; %bb.2:
	v_ashrrev_i32_e32 v1, 31, v6
	v_mov_b32_e32 v3, s11
	v_add_co_u32_e32 v2, vcc, s10, v6
	v_addc_co_u32_e32 v3, vcc, v3, v1, vcc
	global_load_ubyte v1, v[2:3], off
	s_waitcnt vmcnt(0)
	v_and_b32_e32 v1, 1, v1
	v_cmp_eq_u32_e32 vcc, 1, v1
	s_xor_b64 s[6:7], vcc, -1
	s_orn2_b64 s[22:23], s[6:7], exec
	s_branch .LBB196_4
.LBB196_3:
	s_mov_b64 s[22:23], -1
.LBB196_4:
	s_load_dwordx2 s[26:27], s[4:5], 0x40
	s_load_dwordx4 s[12:15], s[4:5], 0x30
	v_mov_b32_e32 v1, s9
	v_and_b32_e32 v7, 15, v0
	v_lshlrev_b32_e32 v0, 6, v7
	s_waitcnt lgkmcnt(0)
	v_mul_lo_u32 v2, v6, s27
	v_ashrrev_i32_e32 v3, 31, v2
	v_lshlrev_b64 v[2:3], 1, v[2:3]
	v_add_co_u32_e32 v2, vcc, s8, v2
	v_addc_co_u32_e32 v1, vcc, v1, v3, vcc
	v_add_co_u32_e32 v4, vcc, v2, v0
	v_addc_co_u32_e32 v5, vcc, 0, v1, vcc
	global_load_dwordx4 v[0:3], v[4:5], off
	global_load_dwordx4 v[32:35], v[4:5], off offset:16
	global_load_dwordx4 v[38:41], v[4:5], off offset:32
	;; [unrolled: 1-line block ×3, first 2 shown]
	v_lshlrev_b32_e32 v9, 5, v7
	v_or_b32_e32 v10, 1, v9
	v_or_b32_e32 v11, 2, v9
	;; [unrolled: 1-line block ×21, first 2 shown]
	v_mov_b32_e32 v8, 0
	s_waitcnt vmcnt(3)
	v_cvt_f32_f16_e32 v47, v3
	s_waitcnt vmcnt(2)
	v_cvt_f32_f16_sdwa v51, v35 dst_sel:DWORD dst_unused:UNUSED_PAD src0_sel:WORD_1
	s_waitcnt vmcnt(1)
	v_cvt_f32_f16_sdwa v53, v39 dst_sel:DWORD dst_unused:UNUSED_PAD src0_sel:WORD_1
	s_waitcnt vmcnt(0)
	v_cvt_f32_f16_sdwa v59, v45 dst_sel:DWORD dst_unused:UNUSED_PAD src0_sel:WORD_1
	v_cvt_f32_f16_e32 v45, v45
	v_cvt_f32_f16_sdwa v58, v44 dst_sel:DWORD dst_unused:UNUSED_PAD src0_sel:WORD_1
	v_cvt_f32_f16_e32 v39, v39
	v_cvt_f32_f16_e32 v44, v44
	v_cvt_f32_f16_sdwa v52, v38 dst_sel:DWORD dst_unused:UNUSED_PAD src0_sel:WORD_1
	v_cvt_f32_f16_e32 v38, v38
	v_cvt_f32_f16_sdwa v54, v40 dst_sel:DWORD dst_unused:UNUSED_PAD src0_sel:WORD_1
	;; [unrolled: 2-line block ×5, first 2 shown]
	v_cvt_f32_f16_e32 v43, v43
	buffer_store_dword v59, off, s[0:3], 0 offset:124
	buffer_store_dword v45, off, s[0:3], 0 offset:120
	;; [unrolled: 1-line block ×13, first 2 shown]
	buffer_load_dword v40, off, s[0:3], 0 offset:68
	v_cvt_f32_f16_e32 v35, v35
	buffer_store_dword v53, off, s[0:3], 0 offset:76
	buffer_store_dword v39, off, s[0:3], 0 offset:72
	v_cvt_f32_f16_e32 v50, v34
	v_cvt_f32_f16_sdwa v34, v34 dst_sel:DWORD dst_unused:UNUSED_PAD src0_sel:WORD_1
	buffer_load_dword v39, off, s[0:3], 0 offset:72
	s_nop 0
	buffer_store_dword v38, off, s[0:3], 0 offset:64
	buffer_store_dword v51, off, s[0:3], 0 offset:60
	v_cvt_f32_f16_e32 v49, v33
	v_cvt_f32_f16_sdwa v33, v33 dst_sel:DWORD dst_unused:UNUSED_PAD src0_sel:WORD_1
	buffer_load_dword v41, off, s[0:3], 0 offset:76
	s_nop 0
	buffer_store_dword v35, off, s[0:3], 0 offset:56
	buffer_store_dword v34, off, s[0:3], 0 offset:52
	v_cvt_f32_f16_e32 v48, v32
	v_cvt_f32_f16_sdwa v32, v32 dst_sel:DWORD dst_unused:UNUSED_PAD src0_sel:WORD_1
	buffer_load_dword v42, off, s[0:3], 0 offset:80
	v_cvt_f32_f16_sdwa v3, v3 dst_sel:DWORD dst_unused:UNUSED_PAD src0_sel:WORD_1
	buffer_store_dword v50, off, s[0:3], 0 offset:48
	buffer_store_dword v33, off, s[0:3], 0 offset:44
	buffer_load_dword v43, off, s[0:3], 0 offset:84
	v_cvt_f32_f16_e32 v46, v2
	v_cvt_f32_f16_sdwa v2, v2 dst_sel:DWORD dst_unused:UNUSED_PAD src0_sel:WORD_1
	buffer_store_dword v49, off, s[0:3], 0 offset:40
	buffer_store_dword v32, off, s[0:3], 0 offset:36
	;; [unrolled: 1-line block ×3, first 2 shown]
	v_cvt_f32_f16_e32 v31, v1
	v_cvt_f32_f16_sdwa v1, v1 dst_sel:DWORD dst_unused:UNUSED_PAD src0_sel:WORD_1
	buffer_load_dword v44, off, s[0:3], 0 offset:88
	v_cvt_f32_f16_sdwa v5, v0 dst_sel:DWORD dst_unused:UNUSED_PAD src0_sel:WORD_1
	buffer_store_dword v3, off, s[0:3], 0 offset:28
	buffer_store_dword v47, off, s[0:3], 0 offset:24
	;; [unrolled: 1-line block ×3, first 2 shown]
	v_cvt_f32_f16_e32 v4, v0
	buffer_load_dword v45, off, s[0:3], 0 offset:92
	s_nop 0
	buffer_store_dword v46, off, s[0:3], 0 offset:16
	buffer_store_dword v1, off, s[0:3], 0 offset:12
	;; [unrolled: 1-line block ×3, first 2 shown]
	buffer_load_dword v52, off, s[0:3], 0 offset:96
	v_cmp_lt_f16_sdwa vcc, v0, v0 src0_sel:DWORD src1_sel:WORD_1
	buffer_store_dword v5, off, s[0:3], 0 offset:4
	buffer_store_dword v4, off, s[0:3], 0
	v_cndmask_b32_e32 v4, v4, v5, vcc
	buffer_load_dword v5, off, s[0:3], 0 offset:100
	buffer_load_dword v53, off, s[0:3], 0 offset:104
	buffer_load_dword v54, off, s[0:3], 0 offset:108
	buffer_load_dword v55, off, s[0:3], 0 offset:112
	buffer_load_dword v56, off, s[0:3], 0 offset:116
	buffer_load_dword v57, off, s[0:3], 0 offset:120
	buffer_load_dword v58, off, s[0:3], 0 offset:124
	v_cndmask_b32_e32 v0, v9, v10, vcc
	v_cmp_lt_f32_e32 vcc, v4, v31
	v_cndmask_b32_e32 v4, v4, v31, vcc
	v_cndmask_b32_e32 v0, v0, v11, vcc
	v_cmp_lt_f32_e32 vcc, v4, v1
	v_cndmask_b32_e32 v1, v4, v1, vcc
	;; [unrolled: 3-line block ×15, first 2 shown]
	v_cndmask_b32_e32 v0, v0, v25, vcc
	s_waitcnt vmcnt(33)
	v_cmp_lt_f32_e32 vcc, v1, v40
	v_cndmask_b32_e32 v1, v1, v40, vcc
	v_cndmask_b32_e32 v0, v0, v26, vcc
	v_or_b32_e32 v31, 22, v9
	v_or_b32_e32 v32, 23, v9
	s_waitcnt vmcnt(30)
	v_cmp_lt_f32_e32 vcc, v1, v39
	v_cndmask_b32_e32 v1, v1, v39, vcc
	v_cndmask_b32_e32 v0, v0, v27, vcc
	v_or_b32_e32 v33, 24, v9
	s_waitcnt vmcnt(27)
	v_cmp_lt_f32_e32 vcc, v1, v41
	v_cndmask_b32_e32 v1, v1, v41, vcc
	v_cndmask_b32_e32 v0, v0, v28, vcc
	;; [unrolled: 5-line block ×3, first 2 shown]
	s_waitcnt vmcnt(21)
	v_cmp_lt_f32_e32 vcc, v1, v43
	v_cndmask_b32_e32 v1, v1, v43, vcc
	v_cndmask_b32_e32 v0, v0, v30, vcc
	v_or_b32_e32 v35, 26, v9
	v_or_b32_e32 v38, 27, v9
	;; [unrolled: 1-line block ×3, first 2 shown]
	s_waitcnt vmcnt(17)
	v_cmp_lt_f32_e32 vcc, v1, v44
	v_cndmask_b32_e32 v1, v1, v44, vcc
	v_cndmask_b32_e32 v0, v0, v31, vcc
	v_or_b32_e32 v40, 29, v9
	s_waitcnt vmcnt(13)
	v_cmp_lt_f32_e32 vcc, v1, v45
	v_cndmask_b32_e32 v1, v1, v45, vcc
	v_cndmask_b32_e32 v0, v0, v32, vcc
	s_waitcnt vmcnt(9)
	v_cmp_lt_f32_e32 vcc, v1, v52
	v_cndmask_b32_e32 v1, v1, v52, vcc
	v_cndmask_b32_e32 v0, v0, v33, vcc
	s_waitcnt vmcnt(6)
	v_cmp_lt_f32_e32 vcc, v1, v5
	v_cndmask_b32_e32 v1, v1, v5, vcc
	v_cndmask_b32_e32 v0, v0, v34, vcc
	s_waitcnt vmcnt(5)
	v_cmp_lt_f32_e32 vcc, v1, v53
	v_cndmask_b32_e32 v1, v1, v53, vcc
	v_cndmask_b32_e32 v0, v0, v35, vcc
	s_waitcnt vmcnt(4)
	v_cmp_lt_f32_e32 vcc, v1, v54
	v_cndmask_b32_e32 v1, v1, v54, vcc
	v_cndmask_b32_e32 v0, v0, v38, vcc
	s_waitcnt vmcnt(3)
	v_cmp_lt_f32_e32 vcc, v1, v55
	v_cndmask_b32_e32 v1, v1, v55, vcc
	v_cndmask_b32_e32 v0, v0, v39, vcc
	s_waitcnt vmcnt(2)
	v_cmp_lt_f32_e32 vcc, v1, v56
	v_cndmask_b32_e32 v1, v1, v56, vcc
	v_cndmask_b32_e32 v0, v0, v40, vcc
	s_waitcnt vmcnt(1)
	v_cmp_lt_f32_e32 vcc, v1, v57
	v_or_b32_e32 v41, 30, v9
	v_cndmask_b32_e32 v1, v1, v57, vcc
	v_cndmask_b32_e32 v0, v0, v41, vcc
	v_or_b32_e32 v42, 31, v9
	s_waitcnt vmcnt(0)
	v_cmp_lt_f32_e32 vcc, v1, v58
	v_cndmask_b32_e32 v0, v0, v42, vcc
	v_cndmask_b32_e32 v1, v1, v58, vcc
	s_nop 0
	v_mov_b32_dpp v2, v0 quad_perm:[1,0,3,2] row_mask:0xf bank_mask:0xf
	v_mov_b32_dpp v3, v1 quad_perm:[1,0,3,2] row_mask:0xf bank_mask:0xf
	v_cmp_eq_f32_e64 s[6:7], v1, v3
	v_cmp_lt_i32_e64 s[8:9], v2, v0
	v_cmp_lt_f32_e32 vcc, v1, v3
	s_and_b64 s[6:7], s[6:7], s[8:9]
	s_or_b64 vcc, vcc, s[6:7]
	v_cndmask_b32_e32 v1, v1, v3, vcc
	v_cndmask_b32_e32 v0, v0, v2, vcc
	s_nop 0
	v_mov_b32_dpp v3, v1 quad_perm:[2,3,0,1] row_mask:0xf bank_mask:0xf
	v_mov_b32_dpp v2, v0 quad_perm:[2,3,0,1] row_mask:0xf bank_mask:0xf
	v_cmp_eq_f32_e64 s[6:7], v1, v3
	v_cmp_lt_i32_e64 s[8:9], v2, v0
	v_cmp_lt_f32_e32 vcc, v1, v3
	s_and_b64 s[6:7], s[6:7], s[8:9]
	s_or_b64 vcc, vcc, s[6:7]
	v_cndmask_b32_e32 v1, v1, v3, vcc
	v_cndmask_b32_e32 v2, v0, v2, vcc
	s_nop 0
	v_mov_b32_dpp v0, v1 row_half_mirror row_mask:0xf bank_mask:0xf
	v_mov_b32_dpp v3, v2 row_half_mirror row_mask:0xf bank_mask:0xf
	v_cmp_eq_f32_e64 s[6:7], v1, v0
	v_cmp_lt_i32_e64 s[8:9], v3, v2
	v_cmp_lt_f32_e32 vcc, v1, v0
	s_and_b64 s[6:7], s[6:7], s[8:9]
	s_or_b64 vcc, vcc, s[6:7]
	v_cndmask_b32_e32 v0, v1, v0, vcc
	v_cndmask_b32_e32 v1, v2, v3, vcc
	s_cmp_gt_i32 s12, 0
	v_mov_b32_dpp v3, v0 row_mirror row_mask:0xf bank_mask:0xf
	v_mov_b32_dpp v2, v1 row_mirror row_mask:0xf bank_mask:0xf
	s_cselect_b64 s[24:25], -1, 0
	s_cmp_lt_i32 s12, 1
	v_cmp_eq_u32_e32 vcc, 0, v7
	s_cbranch_scc1 .LBB196_16
; %bb.5:
	s_load_dwordx4 s[16:19], s[4:5], 0x20
	v_cmp_eq_f32_e64 s[8:9], v0, v3
	v_cmp_lt_i32_e64 s[10:11], v2, v1
	v_cmp_lt_f32_e64 s[6:7], v0, v3
	s_and_b64 s[8:9], s[8:9], s[10:11]
	s_or_b64 s[6:7], s[6:7], s[8:9]
	v_cndmask_b32_e64 v44, v1, v2, s[6:7]
	v_cndmask_b32_e64 v43, v0, v3, s[6:7]
	v_mul_lo_u32 v4, v6, s15
	v_mul_lo_u32 v2, v6, s26
	;; [unrolled: 1-line block ×3, first 2 shown]
	v_mov_b32_e32 v8, 0
	s_and_saveexec_b64 s[8:9], vcc
	s_cbranch_execz .LBB196_7
; %bb.6:
	v_sub_f32_e32 v1, v43, v43
	v_mul_f32_e32 v3, 0x3fb8aa3b, v1
	s_mov_b32 s4, 0x3fb8aa3b
	v_rndne_f32_e32 v5, v3
	v_sub_f32_e32 v8, v3, v5
	v_fma_f32 v3, v1, s4, -v3
	v_fmac_f32_e32 v3, 0x32a5705f, v1
	v_add_f32_e32 v3, v8, v3
	v_exp_f32_e32 v3, v3
	v_cvt_i32_f32_e32 v5, v5
	v_cmp_le_i32_e64 s[4:5], s13, v44
	v_cmp_gt_i32_e64 s[6:7], s14, v44
	s_and_b64 s[6:7], s[4:5], s[6:7]
	s_mov_b32 s4, 0xc2ce8ed0
	v_ldexp_f32 v3, v3, v5
	v_cmp_ngt_f32_e64 s[4:5], s4, v1
	v_cndmask_b32_e64 v3, 0, v3, s[4:5]
	s_mov_b32 s4, 0x42b17218
	v_mov_b32_e32 v5, 0x7f800000
	v_cmp_nlt_f32_e64 s[4:5], s4, v1
	v_cndmask_b32_e64 v8, v5, v3, s[4:5]
	v_ashrrev_i32_e32 v5, 31, v4
	v_lshlrev_b64 v[46:47], 2, v[4:5]
	v_mov_b32_e32 v1, s21
	v_add_co_u32_e64 v46, s[4:5], s20, v46
	v_addc_co_u32_e64 v47, s[4:5], v1, v47, s[4:5]
	v_subrev_u32_e32 v1, s13, v44
	v_mov_b32_e32 v3, 0x200
	s_and_b64 s[4:5], s[22:23], s[6:7]
	v_cndmask_b32_e64 v1, v3, v1, s[4:5]
	v_ashrrev_i32_e32 v3, 31, v2
	global_store_dword v[46:47], v8, off
	v_lshlrev_b64 v[46:47], 2, v[2:3]
	s_waitcnt lgkmcnt(0)
	v_mov_b32_e32 v3, s17
	v_add_co_u32_e64 v46, s[4:5], s16, v46
	v_addc_co_u32_e64 v47, s[4:5], v3, v47, s[4:5]
	global_store_dword v[46:47], v1, off
	v_ashrrev_i32_e32 v1, 31, v0
	v_lshlrev_b64 v[46:47], 2, v[0:1]
	v_mov_b32_e32 v1, s19
	v_add_co_u32_e64 v46, s[4:5], s18, v46
	v_addc_co_u32_e64 v47, s[4:5], v1, v47, s[4:5]
	global_store_dword v[46:47], v6, off
.LBB196_7:
	s_or_b64 exec, exec, s[8:9]
	v_ashrrev_i32_e32 v3, 31, v44
	v_lshrrev_b32_e32 v1, 27, v3
	v_add_u32_e32 v1, v44, v1
	v_ashrrev_i32_e32 v1, 5, v1
	v_lshrrev_b32_e32 v5, 28, v1
	v_add_u32_e32 v5, v1, v5
	v_and_b32_e32 v5, -16, v5
	v_sub_u32_e32 v5, v1, v5
	v_cmp_eq_u32_e64 s[4:5], v7, v5
	s_and_saveexec_b64 s[6:7], s[4:5]
	s_cbranch_execz .LBB196_9
; %bb.8:
	v_lshrrev_b32_e32 v3, 23, v3
	v_add_u32_e32 v3, v44, v3
	v_lshlrev_b32_e32 v1, 5, v1
	v_ashrrev_i32_e32 v3, 9, v3
	v_sub_u32_e32 v1, v44, v1
	v_lshl_add_u32 v1, v3, 5, v1
	v_mov_b32_e32 v3, 0
	v_lshl_add_u32 v1, v1, 2, v3
	v_mov_b32_e32 v3, 0xff800000
	buffer_store_dword v3, v1, s[0:3], 0 offen
.LBB196_9:
	s_or_b64 exec, exec, s[6:7]
	s_cmp_eq_u32 s12, 1
	s_cbranch_scc1 .LBB196_16
; %bb.10:
	s_add_i32 s29, s29, s28
	s_add_i32 s10, s12, -1
	v_add3_u32 v36, s29, v37, v36
	v_add_u32_e32 v0, 1, v0
	v_add_u32_e32 v2, 1, v2
	;; [unrolled: 1-line block ×3, first 2 shown]
	s_mov_b32 s11, 0x3fb8aa3b
	s_mov_b32 s26, 0xc2ce8ed0
	;; [unrolled: 1-line block ×3, first 2 shown]
	v_mov_b32_e32 v37, 0
	v_mov_b32_e32 v44, 0xff800000
	;; [unrolled: 1-line block ×4, first 2 shown]
	s_branch .LBB196_12
.LBB196_11:                             ;   in Loop: Header=BB196_12 Depth=1
	s_or_b64 exec, exec, s[6:7]
	s_add_i32 s10, s10, -1
	v_add_u32_e32 v36, s28, v36
	v_add_u32_e32 v0, 1, v0
	;; [unrolled: 1-line block ×3, first 2 shown]
	s_cmp_eq_u32 s10, 0
	v_add_u32_e32 v4, 1, v4
	s_cbranch_scc1 .LBB196_16
.LBB196_12:                             ; =>This Inner Loop Header: Depth=1
	buffer_load_dword v1, off, s[0:3], 0
	buffer_load_dword v3, off, s[0:3], 0 offset:4
	buffer_load_dword v5, off, s[0:3], 0 offset:8
	;; [unrolled: 1-line block ×31, first 2 shown]
	s_waitcnt vmcnt(30)
	v_cmp_gt_f32_e64 s[4:5], v3, v1
	v_cndmask_b32_e64 v1, v1, v3, s[4:5]
	s_waitcnt vmcnt(29)
	v_cmp_gt_f32_e64 s[6:7], v5, v1
	v_cndmask_b32_e64 v1, v1, v5, s[6:7]
	v_cndmask_b32_e64 v3, v9, v10, s[4:5]
	s_waitcnt vmcnt(28)
	v_cmp_gt_f32_e64 s[4:5], v47, v1
	v_cndmask_b32_e64 v1, v1, v47, s[4:5]
	;; [unrolled: 4-line block ×4, first 2 shown]
	v_cndmask_b32_e64 v1, v1, v49, s[4:5]
	v_cndmask_b32_e64 v3, v3, v14, s[4:5]
	s_waitcnt vmcnt(25)
	v_cmp_gt_f32_e64 s[4:5], v50, v1
	v_cndmask_b32_e64 v1, v1, v50, s[4:5]
	v_cndmask_b32_e64 v3, v3, v15, s[4:5]
	s_waitcnt vmcnt(24)
	v_cmp_gt_f32_e64 s[4:5], v51, v1
	;; [unrolled: 4-line block ×26, first 2 shown]
	v_cndmask_b32_e64 v3, v3, v42, s[4:5]
	v_cndmask_b32_e64 v1, v1, v75, s[4:5]
	s_nop 0
	v_mov_b32_dpp v5, v3 quad_perm:[1,0,3,2] row_mask:0xf bank_mask:0xf
	v_mov_b32_dpp v47, v1 quad_perm:[1,0,3,2] row_mask:0xf bank_mask:0xf
	v_cmp_lt_i32_e64 s[4:5], v5, v3
	v_cmp_eq_f32_e64 s[8:9], v1, v47
	v_cmp_lt_f32_e64 s[6:7], v1, v47
	s_and_b64 s[4:5], s[8:9], s[4:5]
	s_or_b64 s[4:5], s[6:7], s[4:5]
	v_cndmask_b32_e64 v1, v1, v47, s[4:5]
	v_cndmask_b32_e64 v3, v3, v5, s[4:5]
	s_nop 0
	v_mov_b32_dpp v5, v1 quad_perm:[2,3,0,1] row_mask:0xf bank_mask:0xf
	v_mov_b32_dpp v47, v3 quad_perm:[2,3,0,1] row_mask:0xf bank_mask:0xf
	v_cmp_eq_f32_e64 s[6:7], v1, v5
	v_cmp_lt_i32_e64 s[8:9], v47, v3
	v_cmp_lt_f32_e64 s[4:5], v1, v5
	s_and_b64 s[6:7], s[6:7], s[8:9]
	s_or_b64 s[4:5], s[4:5], s[6:7]
	v_cndmask_b32_e64 v1, v1, v5, s[4:5]
	v_cndmask_b32_e64 v3, v3, v47, s[4:5]
	s_nop 0
	v_mov_b32_dpp v5, v1 row_half_mirror row_mask:0xf bank_mask:0xf
	v_mov_b32_dpp v47, v3 row_half_mirror row_mask:0xf bank_mask:0xf
	v_cmp_eq_f32_e64 s[6:7], v1, v5
	v_cmp_lt_i32_e64 s[8:9], v47, v3
	v_cmp_lt_f32_e64 s[4:5], v1, v5
	s_and_b64 s[6:7], s[6:7], s[8:9]
	s_or_b64 s[4:5], s[4:5], s[6:7]
	v_cndmask_b32_e64 v1, v1, v5, s[4:5]
	v_cndmask_b32_e64 v5, v3, v47, s[4:5]
	s_nop 0
	v_mov_b32_dpp v3, v1 row_mirror row_mask:0xf bank_mask:0xf
	v_mov_b32_dpp v47, v5 row_mirror row_mask:0xf bank_mask:0xf
	v_cmp_eq_f32_e64 s[6:7], v1, v3
	v_cmp_lt_i32_e64 s[8:9], v47, v5
	v_cmp_lt_f32_e64 s[4:5], v1, v3
	s_and_b64 s[6:7], s[6:7], s[8:9]
	s_or_b64 s[4:5], s[4:5], s[6:7]
	v_cndmask_b32_e64 v47, v5, v47, s[4:5]
	s_and_saveexec_b64 s[8:9], vcc
	s_cbranch_execz .LBB196_14
; %bb.13:                               ;   in Loop: Header=BB196_12 Depth=1
	v_cndmask_b32_e64 v1, v1, v3, s[4:5]
	v_sub_f32_e32 v1, v1, v43
	v_mul_f32_e32 v3, 0x3fb8aa3b, v1
	v_fma_f32 v5, v1, s11, -v3
	v_rndne_f32_e32 v48, v3
	v_fmac_f32_e32 v5, 0x32a5705f, v1
	v_sub_f32_e32 v3, v3, v48
	v_add_f32_e32 v3, v3, v5
	v_exp_f32_e32 v3, v3
	v_cvt_i32_f32_e32 v5, v48
	v_cmp_le_i32_e64 s[4:5], s13, v47
	v_cmp_gt_i32_e64 s[6:7], s14, v47
	s_and_b64 s[6:7], s[4:5], s[6:7]
	v_ldexp_f32 v3, v3, v5
	v_cmp_ngt_f32_e64 s[4:5], s26, v1
	v_ashrrev_i32_e32 v5, 31, v4
	v_cndmask_b32_e64 v3, 0, v3, s[4:5]
	v_cmp_nlt_f32_e64 s[4:5], s27, v1
	v_lshlrev_b64 v[48:49], 2, v[4:5]
	v_cndmask_b32_e64 v50, v45, v3, s[4:5]
	v_mov_b32_e32 v1, s21
	v_add_co_u32_e64 v48, s[4:5], s20, v48
	v_addc_co_u32_e64 v49, s[4:5], v1, v49, s[4:5]
	v_ashrrev_i32_e32 v3, 31, v2
	global_store_dword v[48:49], v50, off
	v_subrev_u32_e32 v1, s13, v47
	s_and_b64 s[4:5], s[22:23], s[6:7]
	v_lshlrev_b64 v[48:49], 2, v[2:3]
	v_cndmask_b32_e64 v1, v46, v1, s[4:5]
	s_waitcnt lgkmcnt(0)
	v_mov_b32_e32 v3, s17
	v_add_co_u32_e64 v48, s[4:5], s16, v48
	v_addc_co_u32_e64 v49, s[4:5], v3, v49, s[4:5]
	global_store_dword v[48:49], v1, off
	v_ashrrev_i32_e32 v1, 31, v0
	v_lshlrev_b64 v[48:49], 2, v[0:1]
	v_mov_b32_e32 v1, s19
	v_add_co_u32_e64 v48, s[4:5], s18, v48
	v_addc_co_u32_e64 v49, s[4:5], v1, v49, s[4:5]
	v_add_f32_e32 v8, v8, v50
	global_store_dword v[48:49], v36, off
.LBB196_14:                             ;   in Loop: Header=BB196_12 Depth=1
	s_or_b64 exec, exec, s[8:9]
	v_ashrrev_i32_e32 v3, 31, v47
	v_lshrrev_b32_e32 v1, 27, v3
	v_add_u32_e32 v1, v47, v1
	v_ashrrev_i32_e32 v1, 5, v1
	v_lshrrev_b32_e32 v5, 28, v1
	v_add_u32_e32 v5, v1, v5
	v_and_b32_e32 v5, -16, v5
	v_sub_u32_e32 v5, v1, v5
	v_cmp_eq_u32_e64 s[4:5], v7, v5
	s_and_saveexec_b64 s[6:7], s[4:5]
	s_cbranch_execz .LBB196_11
; %bb.15:                               ;   in Loop: Header=BB196_12 Depth=1
	v_lshrrev_b32_e32 v3, 23, v3
	v_add_u32_e32 v3, v47, v3
	v_lshlrev_b32_e32 v1, 5, v1
	v_ashrrev_i32_e32 v3, 9, v3
	v_sub_u32_e32 v1, v47, v1
	v_lshl_add_u32 v1, v3, 5, v1
	v_lshl_add_u32 v1, v1, 2, v37
	buffer_store_dword v44, v1, s[0:3], 0 offen
	s_branch .LBB196_11
.LBB196_16:
	v_cmp_eq_u32_e32 vcc, 0, v7
	v_cmp_neq_f32_e64 s[4:5], 0, v8
	s_and_b64 s[4:5], vcc, s[4:5]
	s_and_b64 exec, exec, s[4:5]
	s_cbranch_execz .LBB196_27
; %bb.17:
	s_andn2_b64 vcc, exec, s[24:25]
	s_cbranch_vccnz .LBB196_27
; %bb.18:
	v_div_scale_f32 v0, s[4:5], v8, v8, 1.0
	v_rcp_f32_e32 v1, v0
	v_div_scale_f32 v2, vcc, 1.0, v8, 1.0
	s_cmp_gt_u32 s12, 3
	v_fma_f32 v3, -v0, v1, 1.0
	v_fmac_f32_e32 v1, v3, v1
	v_mul_f32_e32 v3, v2, v1
	v_fma_f32 v4, -v0, v3, v2
	v_fmac_f32_e32 v3, v4, v1
	v_fma_f32 v0, -v0, v3, v2
	v_div_fmas_f32 v0, v0, v1, v3
	v_mul_lo_u32 v2, v6, s15
	v_div_fixup_f32 v0, v0, v8, 1.0
	v_ashrrev_i32_e32 v3, 31, v2
	s_cbranch_scc0 .LBB196_22
; %bb.19:
	v_lshlrev_b64 v[4:5], 2, v[2:3]
	v_mov_b32_e32 v6, s21
	v_add_co_u32_e32 v4, vcc, s20, v4
	v_addc_co_u32_e32 v5, vcc, v5, v6, vcc
	s_and_b32 s8, s12, 0x7ffffffc
	v_add_co_u32_e32 v4, vcc, 8, v4
	v_mov_b32_e32 v1, v0
	v_addc_co_u32_e32 v5, vcc, 0, v5, vcc
	s_mov_b32 s4, s8
.LBB196_20:                             ; =>This Inner Loop Header: Depth=1
	global_load_dwordx4 v[6:9], v[4:5], off offset:-8
	s_add_i32 s4, s4, -4
	s_cmp_lg_u32 s4, 0
	s_waitcnt vmcnt(0)
	v_pk_mul_f32 v[6:7], v[0:1], v[6:7]
	v_pk_mul_f32 v[8:9], v[0:1], v[8:9]
	global_store_dwordx4 v[4:5], v[6:9], off offset:-8
	v_add_co_u32_e32 v4, vcc, 16, v4
	v_addc_co_u32_e32 v5, vcc, 0, v5, vcc
	s_cbranch_scc1 .LBB196_20
; %bb.21:
	s_cmp_lg_u32 s8, s12
	s_cselect_b64 s[4:5], -1, 0
	s_branch .LBB196_24
.LBB196_22:
	s_mov_b64 s[4:5], 0
                                        ; implicit-def: $sgpr8
	s_cbranch_execz .LBB196_24
; %bb.23:
	s_mov_b64 s[4:5], -1
	s_mov_b32 s8, 0
.LBB196_24:
	s_andn2_b64 vcc, exec, s[4:5]
	s_cbranch_vccnz .LBB196_27
; %bb.25:
	v_add_co_u32_e32 v2, vcc, s8, v2
	v_addc_co_u32_e32 v3, vcc, 0, v3, vcc
	v_lshlrev_b64 v[2:3], 2, v[2:3]
	v_mov_b32_e32 v1, s21
	v_add_co_u32_e32 v2, vcc, s20, v2
	s_sub_i32 s4, s12, s8
	v_addc_co_u32_e32 v3, vcc, v1, v3, vcc
.LBB196_26:                             ; =>This Inner Loop Header: Depth=1
	global_load_dword v1, v[2:3], off
	s_add_i32 s4, s4, -1
	s_cmp_lg_u32 s4, 0
	s_waitcnt vmcnt(0)
	v_mul_f32_e32 v1, v0, v1
	global_store_dword v[2:3], v1, off
	v_add_co_u32_e32 v2, vcc, 4, v2
	v_addc_co_u32_e32 v3, vcc, 0, v3, vcc
	s_cbranch_scc1 .LBB196_26
.LBB196_27:
	s_endpgm
	.section	.rodata,"a",@progbits
	.p2align	6, 0x0
	.amdhsa_kernel _ZN4vllm3moe17topkGatingSoftmaxIDF16_Li32ELi512ELi2ELi64ELb1ELi0ELNS0_23SharedExpertScoringFuncE0EEEvPKT_PKbPfiPiS9_iiiiii
		.amdhsa_group_segment_fixed_size 0
		.amdhsa_private_segment_fixed_size 144
		.amdhsa_kernarg_size 72
		.amdhsa_user_sgpr_count 8
		.amdhsa_user_sgpr_private_segment_buffer 1
		.amdhsa_user_sgpr_dispatch_ptr 0
		.amdhsa_user_sgpr_queue_ptr 0
		.amdhsa_user_sgpr_kernarg_segment_ptr 1
		.amdhsa_user_sgpr_dispatch_id 0
		.amdhsa_user_sgpr_flat_scratch_init 1
		.amdhsa_user_sgpr_kernarg_preload_length 0
		.amdhsa_user_sgpr_kernarg_preload_offset 0
		.amdhsa_user_sgpr_private_segment_size 0
		.amdhsa_uses_dynamic_stack 0
		.amdhsa_system_sgpr_private_segment_wavefront_offset 1
		.amdhsa_system_sgpr_workgroup_id_x 1
		.amdhsa_system_sgpr_workgroup_id_y 0
		.amdhsa_system_sgpr_workgroup_id_z 0
		.amdhsa_system_sgpr_workgroup_info 0
		.amdhsa_system_vgpr_workitem_id 1
		.amdhsa_next_free_vgpr 76
		.amdhsa_next_free_sgpr 30
		.amdhsa_accum_offset 76
		.amdhsa_reserve_vcc 1
		.amdhsa_reserve_flat_scratch 0
		.amdhsa_float_round_mode_32 0
		.amdhsa_float_round_mode_16_64 0
		.amdhsa_float_denorm_mode_32 3
		.amdhsa_float_denorm_mode_16_64 3
		.amdhsa_dx10_clamp 1
		.amdhsa_ieee_mode 1
		.amdhsa_fp16_overflow 0
		.amdhsa_tg_split 0
		.amdhsa_exception_fp_ieee_invalid_op 0
		.amdhsa_exception_fp_denorm_src 0
		.amdhsa_exception_fp_ieee_div_zero 0
		.amdhsa_exception_fp_ieee_overflow 0
		.amdhsa_exception_fp_ieee_underflow 0
		.amdhsa_exception_fp_ieee_inexact 0
		.amdhsa_exception_int_div_zero 0
	.end_amdhsa_kernel
	.section	.text._ZN4vllm3moe17topkGatingSoftmaxIDF16_Li32ELi512ELi2ELi64ELb1ELi0ELNS0_23SharedExpertScoringFuncE0EEEvPKT_PKbPfiPiS9_iiiiii,"axG",@progbits,_ZN4vllm3moe17topkGatingSoftmaxIDF16_Li32ELi512ELi2ELi64ELb1ELi0ELNS0_23SharedExpertScoringFuncE0EEEvPKT_PKbPfiPiS9_iiiiii,comdat
.Lfunc_end196:
	.size	_ZN4vllm3moe17topkGatingSoftmaxIDF16_Li32ELi512ELi2ELi64ELb1ELi0ELNS0_23SharedExpertScoringFuncE0EEEvPKT_PKbPfiPiS9_iiiiii, .Lfunc_end196-_ZN4vllm3moe17topkGatingSoftmaxIDF16_Li32ELi512ELi2ELi64ELb1ELi0ELNS0_23SharedExpertScoringFuncE0EEEvPKT_PKbPfiPiS9_iiiiii
                                        ; -- End function
	.section	.AMDGPU.csdata,"",@progbits
; Kernel info:
; codeLenInByte = 4328
; NumSgprs: 34
; NumVgprs: 76
; NumAgprs: 0
; TotalNumVgprs: 76
; ScratchSize: 144
; MemoryBound: 0
; FloatMode: 240
; IeeeMode: 1
; LDSByteSize: 0 bytes/workgroup (compile time only)
; SGPRBlocks: 4
; VGPRBlocks: 9
; NumSGPRsForWavesPerEU: 34
; NumVGPRsForWavesPerEU: 76
; AccumOffset: 76
; Occupancy: 6
; WaveLimiterHint : 1
; COMPUTE_PGM_RSRC2:SCRATCH_EN: 1
; COMPUTE_PGM_RSRC2:USER_SGPR: 8
; COMPUTE_PGM_RSRC2:TRAP_HANDLER: 0
; COMPUTE_PGM_RSRC2:TGID_X_EN: 1
; COMPUTE_PGM_RSRC2:TGID_Y_EN: 0
; COMPUTE_PGM_RSRC2:TGID_Z_EN: 0
; COMPUTE_PGM_RSRC2:TIDIG_COMP_CNT: 1
; COMPUTE_PGM_RSRC3_GFX90A:ACCUM_OFFSET: 18
; COMPUTE_PGM_RSRC3_GFX90A:TG_SPLIT: 0
	.section	.text._ZN4vllm3moe17topkGatingSoftmaxIDF16_Li32ELi512ELi2ELi64ELb0ELi0ELNS0_23SharedExpertScoringFuncE0EEEvPKT_PKbPfiPiS9_iiiiii,"axG",@progbits,_ZN4vllm3moe17topkGatingSoftmaxIDF16_Li32ELi512ELi2ELi64ELb0ELi0ELNS0_23SharedExpertScoringFuncE0EEEvPKT_PKbPfiPiS9_iiiiii,comdat
	.protected	_ZN4vllm3moe17topkGatingSoftmaxIDF16_Li32ELi512ELi2ELi64ELb0ELi0ELNS0_23SharedExpertScoringFuncE0EEEvPKT_PKbPfiPiS9_iiiiii ; -- Begin function _ZN4vllm3moe17topkGatingSoftmaxIDF16_Li32ELi512ELi2ELi64ELb0ELi0ELNS0_23SharedExpertScoringFuncE0EEEvPKT_PKbPfiPiS9_iiiiii
	.globl	_ZN4vllm3moe17topkGatingSoftmaxIDF16_Li32ELi512ELi2ELi64ELb0ELi0ELNS0_23SharedExpertScoringFuncE0EEEvPKT_PKbPfiPiS9_iiiiii
	.p2align	8
	.type	_ZN4vllm3moe17topkGatingSoftmaxIDF16_Li32ELi512ELi2ELi64ELb0ELi0ELNS0_23SharedExpertScoringFuncE0EEEvPKT_PKbPfiPiS9_iiiiii,@function
_ZN4vllm3moe17topkGatingSoftmaxIDF16_Li32ELi512ELi2ELi64ELb0ELi0ELNS0_23SharedExpertScoringFuncE0EEEvPKT_PKbPfiPiS9_iiiiii: ; @_ZN4vllm3moe17topkGatingSoftmaxIDF16_Li32ELi512ELi2ELi64ELb0ELi0ELNS0_23SharedExpertScoringFuncE0EEEvPKT_PKbPfiPiS9_iiiiii
; %bb.0:
	s_load_dword s26, s[4:5], 0x18
	s_add_u32 s0, s0, s9
	v_bfe_u32 v1, v0, 10, 10
	v_and_b32_e32 v0, 0x3ff, v0
	s_addc_u32 s1, s1, 0
	s_lshl_b32 s27, s8, 3
	v_lshlrev_b32_e32 v42, 2, v1
	v_lshrrev_b32_e32 v43, 4, v0
	v_add3_u32 v6, s27, v42, v43
	s_waitcnt lgkmcnt(0)
	v_cmp_gt_i32_e32 vcc, s26, v6
	s_and_saveexec_b64 s[6:7], vcc
	s_cbranch_execz .LBB197_30
; %bb.1:
	s_load_dwordx4 s[8:11], s[4:5], 0x0
	s_load_dwordx2 s[20:21], s[4:5], 0x10
	s_waitcnt lgkmcnt(0)
	s_cmp_eq_u64 s[10:11], 0
	s_cbranch_scc1 .LBB197_3
; %bb.2:
	v_ashrrev_i32_e32 v1, 31, v6
	v_mov_b32_e32 v3, s11
	v_add_co_u32_e32 v2, vcc, s10, v6
	v_addc_co_u32_e32 v3, vcc, v3, v1, vcc
	global_load_ubyte v1, v[2:3], off
	s_waitcnt vmcnt(0)
	v_and_b32_e32 v1, 1, v1
	v_cmp_eq_u32_e32 vcc, 1, v1
	s_xor_b64 s[6:7], vcc, -1
	s_orn2_b64 s[22:23], s[6:7], exec
	s_branch .LBB197_4
.LBB197_3:
	s_mov_b64 s[22:23], -1
.LBB197_4:
	s_load_dwordx2 s[24:25], s[4:5], 0x40
	s_load_dwordx4 s[12:15], s[4:5], 0x30
	v_mov_b32_e32 v1, s9
	v_and_b32_e32 v7, 15, v0
	v_lshlrev_b32_e32 v0, 6, v7
	s_waitcnt lgkmcnt(0)
	v_mul_lo_u32 v2, v6, s25
	v_ashrrev_i32_e32 v3, 31, v2
	v_lshlrev_b64 v[2:3], 1, v[2:3]
	v_add_co_u32_e32 v2, vcc, s8, v2
	v_addc_co_u32_e32 v1, vcc, v1, v3, vcc
	v_add_co_u32_e32 v4, vcc, v2, v0
	v_addc_co_u32_e32 v5, vcc, 0, v1, vcc
	global_load_dwordx4 v[0:3], v[4:5], off
	global_load_dwordx4 v[32:35], v[4:5], off offset:16
	global_load_dwordx4 v[36:39], v[4:5], off offset:32
	;; [unrolled: 1-line block ×3, first 2 shown]
	v_lshlrev_b32_e32 v10, 5, v7
	v_or_b32_e32 v11, 1, v10
	v_or_b32_e32 v12, 2, v10
	;; [unrolled: 1-line block ×21, first 2 shown]
	v_mov_b32_e32 v8, 0
	s_waitcnt vmcnt(3)
	v_cvt_f32_f16_e32 v4, v0
	v_cvt_f32_f16_sdwa v5, v0 dst_sel:DWORD dst_unused:UNUSED_PAD src0_sel:WORD_1
	s_waitcnt vmcnt(1)
	v_cvt_f32_f16_sdwa v55, v38 dst_sel:DWORD dst_unused:UNUSED_PAD src0_sel:WORD_1
	s_waitcnt vmcnt(0)
	v_cvt_f32_f16_sdwa v59, v47 dst_sel:DWORD dst_unused:UNUSED_PAD src0_sel:WORD_1
	v_cvt_f32_f16_e32 v47, v47
	v_cvt_f32_f16_sdwa v58, v45 dst_sel:DWORD dst_unused:UNUSED_PAD src0_sel:WORD_1
	v_cmp_lt_f16_sdwa vcc, v0, v0 src0_sel:DWORD src1_sel:WORD_1
	v_cvt_f32_f16_e32 v0, v45
	v_cvt_f32_f16_sdwa v45, v46 dst_sel:DWORD dst_unused:UNUSED_PAD src0_sel:WORD_1
	v_cvt_f32_f16_e32 v9, v1
	v_cvt_f32_f16_sdwa v40, v1 dst_sel:DWORD dst_unused:UNUSED_PAD src0_sel:WORD_1
	v_cvt_f32_f16_sdwa v1, v36 dst_sel:DWORD dst_unused:UNUSED_PAD src0_sel:WORD_1
	v_cvt_f32_f16_e32 v46, v46
	v_cvt_f32_f16_e32 v36, v36
	;; [unrolled: 1-line block ×3, first 2 shown]
	v_cvt_f32_f16_sdwa v56, v39 dst_sel:DWORD dst_unused:UNUSED_PAD src0_sel:WORD_1
	v_cvt_f32_f16_e32 v39, v39
	v_cvt_f32_f16_sdwa v57, v44 dst_sel:DWORD dst_unused:UNUSED_PAD src0_sel:WORD_1
	v_cvt_f32_f16_e32 v44, v44
	buffer_store_dword v59, off, s[0:3], 0 offset:124
	buffer_store_dword v47, off, s[0:3], 0 offset:120
	;; [unrolled: 1-line block ×11, first 2 shown]
	v_cvt_f32_f16_sdwa v54, v37 dst_sel:DWORD dst_unused:UNUSED_PAD src0_sel:WORD_1
	v_cvt_f32_f16_e32 v37, v37
	buffer_load_dword v36, off, s[0:3], 0 offset:64
	s_nop 0
	buffer_store_dword v55, off, s[0:3], 0 offset:84
	buffer_store_dword v1, off, s[0:3], 0 offset:68
	v_cvt_f32_f16_sdwa v53, v35 dst_sel:DWORD dst_unused:UNUSED_PAD src0_sel:WORD_1
	buffer_load_dword v39, off, s[0:3], 0 offset:68
	v_cvt_f32_f16_e32 v35, v35
	buffer_store_dword v38, off, s[0:3], 0 offset:80
	buffer_store_dword v37, off, s[0:3], 0 offset:72
	v_cvt_f32_f16_e32 v52, v34
	v_cvt_f32_f16_sdwa v34, v34 dst_sel:DWORD dst_unused:UNUSED_PAD src0_sel:WORD_1
	buffer_load_dword v37, off, s[0:3], 0 offset:72
	s_nop 0
	buffer_store_dword v54, off, s[0:3], 0 offset:76
	buffer_store_dword v53, off, s[0:3], 0 offset:60
	v_cvt_f32_f16_e32 v51, v33
	v_cvt_f32_f16_sdwa v33, v33 dst_sel:DWORD dst_unused:UNUSED_PAD src0_sel:WORD_1
	buffer_load_dword v38, off, s[0:3], 0 offset:76
	s_nop 0
	buffer_store_dword v35, off, s[0:3], 0 offset:56
	buffer_store_dword v34, off, s[0:3], 0 offset:52
	v_cvt_f32_f16_sdwa v50, v32 dst_sel:DWORD dst_unused:UNUSED_PAD src0_sel:WORD_1
	buffer_load_dword v44, off, s[0:3], 0 offset:80
	v_cvt_f32_f16_e32 v49, v32
	buffer_store_dword v52, off, s[0:3], 0 offset:48
	buffer_store_dword v33, off, s[0:3], 0 offset:44
	v_cvt_f32_f16_e32 v48, v3
	v_cvt_f32_f16_sdwa v3, v3 dst_sel:DWORD dst_unused:UNUSED_PAD src0_sel:WORD_1
	buffer_load_dword v45, off, s[0:3], 0 offset:84
	v_cvt_f32_f16_e32 v41, v2
	v_cvt_f32_f16_sdwa v2, v2 dst_sel:DWORD dst_unused:UNUSED_PAD src0_sel:WORD_1
	buffer_store_dword v51, off, s[0:3], 0 offset:40
	buffer_store_dword v50, off, s[0:3], 0 offset:36
	buffer_load_dword v46, off, s[0:3], 0 offset:88
	s_nop 0
	buffer_store_dword v49, off, s[0:3], 0 offset:32
	buffer_store_dword v3, off, s[0:3], 0 offset:28
	buffer_store_dword v48, off, s[0:3], 0 offset:24
	buffer_load_dword v1, off, s[0:3], 0 offset:92
	s_nop 0
	buffer_store_dword v2, off, s[0:3], 0 offset:20
	;; [unrolled: 5-line block ×3, first 2 shown]
	buffer_store_dword v5, off, s[0:3], 0 offset:4
	buffer_store_dword v4, off, s[0:3], 0
	buffer_load_dword v47, off, s[0:3], 0 offset:100
	buffer_load_dword v54, off, s[0:3], 0 offset:104
	buffer_load_dword v55, off, s[0:3], 0 offset:108
	buffer_load_dword v56, off, s[0:3], 0 offset:112
	buffer_load_dword v57, off, s[0:3], 0 offset:116
	buffer_load_dword v58, off, s[0:3], 0 offset:120
	buffer_load_dword v59, off, s[0:3], 0 offset:124
	v_cndmask_b32_e32 v4, v4, v5, vcc
	v_cndmask_b32_e32 v60, v10, v11, vcc
	v_cmp_lt_f32_e32 vcc, v4, v9
	v_cndmask_b32_e32 v4, v4, v9, vcc
	v_cndmask_b32_e32 v5, v60, v12, vcc
	v_cmp_lt_f32_e32 vcc, v4, v40
	;; [unrolled: 3-line block ×14, first 2 shown]
	v_cndmask_b32_e32 v2, v2, v53, vcc
	v_cndmask_b32_e32 v3, v3, v25, vcc
	v_or_b32_e32 v32, 22, v10
	v_or_b32_e32 v33, 23, v10
	;; [unrolled: 1-line block ×4, first 2 shown]
	s_waitcnt vmcnt(36)
	v_cmp_lt_f32_e32 vcc, v2, v36
	v_cndmask_b32_e32 v2, v2, v36, vcc
	v_cndmask_b32_e32 v3, v3, v26, vcc
	s_waitcnt vmcnt(33)
	v_cmp_lt_f32_e32 vcc, v2, v39
	v_cndmask_b32_e32 v2, v2, v39, vcc
	v_cndmask_b32_e32 v3, v3, v27, vcc
	v_or_b32_e32 v36, 26, v10
	v_or_b32_e32 v39, 29, v10
	s_waitcnt vmcnt(30)
	v_cmp_lt_f32_e32 vcc, v2, v37
	v_cndmask_b32_e32 v2, v2, v37, vcc
	v_cndmask_b32_e32 v3, v3, v28, vcc
	v_or_b32_e32 v37, 27, v10
	s_waitcnt vmcnt(27)
	v_cmp_lt_f32_e32 vcc, v2, v38
	v_cndmask_b32_e32 v2, v2, v38, vcc
	v_cndmask_b32_e32 v3, v3, v29, vcc
	s_waitcnt vmcnt(24)
	v_cmp_lt_f32_e32 vcc, v2, v44
	v_cndmask_b32_e32 v2, v2, v44, vcc
	v_cndmask_b32_e32 v3, v3, v30, vcc
	v_or_b32_e32 v38, 28, v10
	v_or_b32_e32 v40, 30, v10
	s_waitcnt vmcnt(21)
	v_cmp_lt_f32_e32 vcc, v2, v45
	v_cndmask_b32_e32 v2, v2, v45, vcc
	v_cndmask_b32_e32 v3, v3, v31, vcc
	v_or_b32_e32 v41, 31, v10
	s_waitcnt vmcnt(18)
	v_cmp_lt_f32_e32 vcc, v2, v46
	v_cndmask_b32_e32 v2, v2, v46, vcc
	v_cndmask_b32_e32 v3, v3, v32, vcc
	s_waitcnt vmcnt(14)
	v_cmp_lt_f32_e32 vcc, v2, v1
	v_cndmask_b32_e32 v2, v2, v1, vcc
	v_cndmask_b32_e32 v3, v3, v33, vcc
	s_waitcnt vmcnt(10)
	v_cmp_lt_f32_e32 vcc, v2, v0
	v_cndmask_b32_e32 v2, v2, v0, vcc
	v_cndmask_b32_e32 v3, v3, v34, vcc
	s_waitcnt vmcnt(6)
	v_cmp_lt_f32_e32 vcc, v2, v47
	v_cndmask_b32_e32 v2, v2, v47, vcc
	v_cndmask_b32_e32 v3, v3, v35, vcc
	s_waitcnt vmcnt(5)
	v_cmp_lt_f32_e32 vcc, v2, v54
	v_cndmask_b32_e32 v2, v2, v54, vcc
	v_cndmask_b32_e32 v3, v3, v36, vcc
	s_waitcnt vmcnt(4)
	v_cmp_lt_f32_e32 vcc, v2, v55
	v_cndmask_b32_e32 v2, v2, v55, vcc
	v_cndmask_b32_e32 v3, v3, v37, vcc
	s_waitcnt vmcnt(3)
	v_cmp_lt_f32_e32 vcc, v2, v56
	v_cndmask_b32_e32 v2, v2, v56, vcc
	v_cndmask_b32_e32 v3, v3, v38, vcc
	s_waitcnt vmcnt(2)
	v_cmp_lt_f32_e32 vcc, v2, v57
	v_cndmask_b32_e32 v2, v2, v57, vcc
	v_cndmask_b32_e32 v3, v3, v39, vcc
	s_waitcnt vmcnt(1)
	v_cmp_lt_f32_e32 vcc, v2, v58
	v_cndmask_b32_e32 v2, v2, v58, vcc
	v_cndmask_b32_e32 v3, v3, v40, vcc
	s_waitcnt vmcnt(0)
	v_cmp_lt_f32_e32 vcc, v2, v59
	v_cndmask_b32_e32 v3, v3, v41, vcc
	v_cndmask_b32_e32 v2, v2, v59, vcc
	s_nop 0
	v_mov_b32_dpp v4, v3 quad_perm:[1,0,3,2] row_mask:0xf bank_mask:0xf
	v_mov_b32_dpp v5, v2 quad_perm:[1,0,3,2] row_mask:0xf bank_mask:0xf
	v_cmp_eq_f32_e64 s[6:7], v2, v5
	v_cmp_lt_i32_e64 s[8:9], v4, v3
	v_cmp_lt_f32_e32 vcc, v2, v5
	s_and_b64 s[6:7], s[6:7], s[8:9]
	s_or_b64 vcc, vcc, s[6:7]
	v_cndmask_b32_e32 v2, v2, v5, vcc
	v_cndmask_b32_e32 v3, v3, v4, vcc
	s_nop 0
	v_mov_b32_dpp v5, v2 quad_perm:[2,3,0,1] row_mask:0xf bank_mask:0xf
	v_mov_b32_dpp v4, v3 quad_perm:[2,3,0,1] row_mask:0xf bank_mask:0xf
	v_cmp_eq_f32_e64 s[6:7], v2, v5
	v_cmp_lt_i32_e64 s[8:9], v4, v3
	v_cmp_lt_f32_e32 vcc, v2, v5
	s_and_b64 s[6:7], s[6:7], s[8:9]
	s_or_b64 vcc, vcc, s[6:7]
	v_cndmask_b32_e32 v2, v2, v5, vcc
	v_cndmask_b32_e32 v3, v3, v4, vcc
	s_nop 0
	v_mov_b32_dpp v5, v2 row_half_mirror row_mask:0xf bank_mask:0xf
	v_mov_b32_dpp v4, v3 row_half_mirror row_mask:0xf bank_mask:0xf
	v_cmp_eq_f32_e64 s[6:7], v2, v5
	v_cmp_lt_i32_e64 s[8:9], v4, v3
	v_cmp_lt_f32_e32 vcc, v2, v5
	s_and_b64 s[6:7], s[6:7], s[8:9]
	s_or_b64 vcc, vcc, s[6:7]
	v_cndmask_b32_e32 v5, v2, v5, vcc
	v_cndmask_b32_e32 v2, v3, v4, vcc
	s_nop 0
	v_mov_b32_dpp v4, v5 row_mirror row_mask:0xf bank_mask:0xf
	v_mov_b32_dpp v3, v2 row_mirror row_mask:0xf bank_mask:0xf
	v_cmp_eq_f32_e64 s[6:7], v5, v4
	v_cmp_lt_i32_e64 s[8:9], v3, v2
	v_cmp_lt_f32_e32 vcc, v5, v4
	s_and_b64 s[6:7], s[6:7], s[8:9]
	s_or_b64 s[6:7], vcc, s[6:7]
	s_cmp_gt_i32 s12, 0
	v_cndmask_b32_e64 v9, v5, v4, s[6:7]
	s_cselect_b64 s[10:11], -1, 0
	s_cmp_lt_i32 s12, 1
	v_cmp_eq_u32_e32 vcc, 0, v7
	s_cbranch_scc1 .LBB197_17
; %bb.5:
	s_load_dwordx4 s[16:19], s[4:5], 0x20
	v_cndmask_b32_e64 v44, v2, v3, s[6:7]
	v_mul_lo_u32 v4, v6, s15
	v_mul_lo_u32 v2, v6, s24
	;; [unrolled: 1-line block ×3, first 2 shown]
	v_mov_b32_e32 v8, 0
	s_and_saveexec_b64 s[8:9], vcc
	s_cbranch_execz .LBB197_7
; %bb.6:
	v_sub_f32_e32 v1, v9, v9
	v_mul_f32_e32 v3, 0x3fb8aa3b, v1
	s_mov_b32 s4, 0x3fb8aa3b
	v_rndne_f32_e32 v5, v3
	v_sub_f32_e32 v8, v3, v5
	v_fma_f32 v3, v1, s4, -v3
	v_fmac_f32_e32 v3, 0x32a5705f, v1
	v_add_f32_e32 v3, v8, v3
	v_exp_f32_e32 v3, v3
	v_cvt_i32_f32_e32 v5, v5
	v_cmp_le_i32_e64 s[4:5], s13, v44
	v_cmp_gt_i32_e64 s[6:7], s14, v44
	s_and_b64 s[6:7], s[4:5], s[6:7]
	s_mov_b32 s4, 0xc2ce8ed0
	v_ldexp_f32 v3, v3, v5
	v_cmp_ngt_f32_e64 s[4:5], s4, v1
	v_cndmask_b32_e64 v3, 0, v3, s[4:5]
	s_mov_b32 s4, 0x42b17218
	v_mov_b32_e32 v5, 0x7f800000
	v_cmp_nlt_f32_e64 s[4:5], s4, v1
	v_cndmask_b32_e64 v8, v5, v3, s[4:5]
	v_ashrrev_i32_e32 v5, 31, v4
	v_lshlrev_b64 v[46:47], 2, v[4:5]
	v_mov_b32_e32 v1, s21
	v_add_co_u32_e64 v46, s[4:5], s20, v46
	v_addc_co_u32_e64 v47, s[4:5], v1, v47, s[4:5]
	v_subrev_u32_e32 v1, s13, v44
	v_mov_b32_e32 v3, 0x200
	s_and_b64 s[4:5], s[22:23], s[6:7]
	v_cndmask_b32_e64 v1, v3, v1, s[4:5]
	v_ashrrev_i32_e32 v3, 31, v2
	global_store_dword v[46:47], v8, off
	v_lshlrev_b64 v[46:47], 2, v[2:3]
	s_waitcnt lgkmcnt(0)
	v_mov_b32_e32 v3, s17
	v_add_co_u32_e64 v46, s[4:5], s16, v46
	v_addc_co_u32_e64 v47, s[4:5], v3, v47, s[4:5]
	global_store_dword v[46:47], v1, off
	v_ashrrev_i32_e32 v1, 31, v0
	v_lshlrev_b64 v[46:47], 2, v[0:1]
	v_mov_b32_e32 v1, s19
	v_add_co_u32_e64 v46, s[4:5], s18, v46
	v_addc_co_u32_e64 v47, s[4:5], v1, v47, s[4:5]
	global_store_dword v[46:47], v6, off
.LBB197_7:
	s_or_b64 exec, exec, s[8:9]
	v_ashrrev_i32_e32 v3, 31, v44
	v_lshrrev_b32_e32 v1, 27, v3
	v_add_u32_e32 v1, v44, v1
	v_ashrrev_i32_e32 v1, 5, v1
	v_lshrrev_b32_e32 v5, 28, v1
	v_add_u32_e32 v5, v1, v5
	v_and_b32_e32 v5, -16, v5
	v_sub_u32_e32 v5, v1, v5
	v_cmp_eq_u32_e64 s[4:5], v7, v5
	s_and_saveexec_b64 s[6:7], s[4:5]
	s_cbranch_execz .LBB197_9
; %bb.8:
	v_lshrrev_b32_e32 v3, 23, v3
	v_add_u32_e32 v3, v44, v3
	v_lshlrev_b32_e32 v1, 5, v1
	v_ashrrev_i32_e32 v3, 9, v3
	v_sub_u32_e32 v1, v44, v1
	v_lshl_add_u32 v1, v3, 5, v1
	v_mov_b32_e32 v3, 0
	v_lshl_add_u32 v1, v1, 2, v3
	v_mov_b32_e32 v3, 0xff800000
	buffer_store_dword v3, v1, s[0:3], 0 offen
.LBB197_9:
	s_or_b64 exec, exec, s[6:7]
	s_cmp_eq_u32 s12, 1
	s_cbranch_scc1 .LBB197_16
; %bb.10:
	s_add_i32 s27, s27, s26
	s_add_i32 s24, s12, -1
	v_add3_u32 v42, s27, v43, v42
	v_add_u32_e32 v0, 1, v0
	v_add_u32_e32 v2, 1, v2
	;; [unrolled: 1-line block ×3, first 2 shown]
	s_mov_b32 s25, 0x3fb8aa3b
	s_mov_b32 s27, 0xc2ce8ed0
	;; [unrolled: 1-line block ×3, first 2 shown]
	v_mov_b32_e32 v43, 0
	v_mov_b32_e32 v44, 0xff800000
	;; [unrolled: 1-line block ×4, first 2 shown]
	s_branch .LBB197_12
.LBB197_11:                             ;   in Loop: Header=BB197_12 Depth=1
	s_or_b64 exec, exec, s[6:7]
	s_add_i32 s24, s24, -1
	v_add_u32_e32 v42, s26, v42
	v_add_u32_e32 v0, 1, v0
	;; [unrolled: 1-line block ×3, first 2 shown]
	s_cmp_eq_u32 s24, 0
	v_add_u32_e32 v4, 1, v4
	s_cbranch_scc1 .LBB197_16
.LBB197_12:                             ; =>This Inner Loop Header: Depth=1
	buffer_load_dword v1, off, s[0:3], 0
	buffer_load_dword v3, off, s[0:3], 0 offset:4
	buffer_load_dword v5, off, s[0:3], 0 offset:8
	;; [unrolled: 1-line block ×15, first 2 shown]
	s_waitcnt vmcnt(14)
	v_cmp_gt_f32_e64 s[4:5], v3, v1
	v_cndmask_b32_e64 v1, v1, v3, s[4:5]
	v_cndmask_b32_e64 v60, v10, v11, s[4:5]
	s_waitcnt vmcnt(13)
	v_cmp_gt_f32_e64 s[4:5], v5, v1
	v_cndmask_b32_e64 v1, v1, v5, s[4:5]
	buffer_load_dword v5, off, s[0:3], 0 offset:64
	v_cndmask_b32_e64 v3, v60, v12, s[4:5]
	s_waitcnt vmcnt(13)
	v_cmp_gt_f32_e64 s[4:5], v47, v1
	v_cndmask_b32_e64 v1, v1, v47, s[4:5]
	v_cndmask_b32_e64 v3, v3, v13, s[4:5]
	s_waitcnt vmcnt(12)
	v_cmp_gt_f32_e64 s[4:5], v48, v1
	v_cndmask_b32_e64 v1, v1, v48, s[4:5]
	;; [unrolled: 4-line block ×14, first 2 shown]
	buffer_load_dword v5, off, s[0:3], 0 offset:68
	v_cndmask_b32_e64 v3, v3, v26, s[4:5]
	s_waitcnt vmcnt(0)
	v_cmp_gt_f32_e64 s[4:5], v5, v1
	v_cndmask_b32_e64 v1, v1, v5, s[4:5]
	buffer_load_dword v5, off, s[0:3], 0 offset:72
	v_cndmask_b32_e64 v3, v3, v27, s[4:5]
	s_waitcnt vmcnt(0)
	v_cmp_gt_f32_e64 s[4:5], v5, v1
	v_cndmask_b32_e64 v1, v1, v5, s[4:5]
	;; [unrolled: 5-line block ×15, first 2 shown]
	v_cndmask_b32_e64 v1, v1, v5, s[4:5]
	s_nop 0
	v_mov_b32_dpp v5, v3 quad_perm:[1,0,3,2] row_mask:0xf bank_mask:0xf
	v_mov_b32_dpp v47, v1 quad_perm:[1,0,3,2] row_mask:0xf bank_mask:0xf
	v_cmp_eq_f32_e64 s[6:7], v1, v47
	v_cmp_lt_i32_e64 s[8:9], v5, v3
	v_cmp_lt_f32_e64 s[4:5], v1, v47
	s_and_b64 s[6:7], s[6:7], s[8:9]
	s_or_b64 s[4:5], s[4:5], s[6:7]
	v_cndmask_b32_e64 v1, v1, v47, s[4:5]
	v_cndmask_b32_e64 v3, v3, v5, s[4:5]
	s_nop 0
	v_mov_b32_dpp v47, v1 quad_perm:[2,3,0,1] row_mask:0xf bank_mask:0xf
	v_mov_b32_dpp v5, v3 quad_perm:[2,3,0,1] row_mask:0xf bank_mask:0xf
	v_cmp_eq_f32_e64 s[6:7], v1, v47
	v_cmp_lt_i32_e64 s[8:9], v5, v3
	v_cmp_lt_f32_e64 s[4:5], v1, v47
	s_and_b64 s[6:7], s[6:7], s[8:9]
	s_or_b64 s[4:5], s[4:5], s[6:7]
	v_cndmask_b32_e64 v1, v1, v47, s[4:5]
	v_cndmask_b32_e64 v3, v3, v5, s[4:5]
	s_nop 0
	v_mov_b32_dpp v47, v1 row_half_mirror row_mask:0xf bank_mask:0xf
	v_mov_b32_dpp v5, v3 row_half_mirror row_mask:0xf bank_mask:0xf
	v_cmp_eq_f32_e64 s[6:7], v1, v47
	v_cmp_lt_i32_e64 s[8:9], v5, v3
	v_cmp_lt_f32_e64 s[4:5], v1, v47
	s_and_b64 s[6:7], s[6:7], s[8:9]
	s_or_b64 s[4:5], s[4:5], s[6:7]
	v_cndmask_b32_e64 v1, v1, v47, s[4:5]
	v_cndmask_b32_e64 v5, v3, v5, s[4:5]
	s_nop 0
	v_mov_b32_dpp v3, v1 row_mirror row_mask:0xf bank_mask:0xf
	v_mov_b32_dpp v47, v5 row_mirror row_mask:0xf bank_mask:0xf
	v_cmp_eq_f32_e64 s[6:7], v1, v3
	v_cmp_lt_i32_e64 s[8:9], v47, v5
	v_cmp_lt_f32_e64 s[4:5], v1, v3
	s_and_b64 s[6:7], s[6:7], s[8:9]
	s_or_b64 s[4:5], s[4:5], s[6:7]
	v_cndmask_b32_e64 v47, v5, v47, s[4:5]
	s_and_saveexec_b64 s[8:9], vcc
	s_cbranch_execz .LBB197_14
; %bb.13:                               ;   in Loop: Header=BB197_12 Depth=1
	v_cndmask_b32_e64 v1, v1, v3, s[4:5]
	v_sub_f32_e32 v1, v1, v9
	v_mul_f32_e32 v3, 0x3fb8aa3b, v1
	v_fma_f32 v5, v1, s25, -v3
	v_rndne_f32_e32 v48, v3
	v_fmac_f32_e32 v5, 0x32a5705f, v1
	v_sub_f32_e32 v3, v3, v48
	v_add_f32_e32 v3, v3, v5
	v_exp_f32_e32 v3, v3
	v_cvt_i32_f32_e32 v5, v48
	v_cmp_le_i32_e64 s[4:5], s13, v47
	v_cmp_gt_i32_e64 s[6:7], s14, v47
	s_and_b64 s[6:7], s[4:5], s[6:7]
	v_ldexp_f32 v3, v3, v5
	v_cmp_ngt_f32_e64 s[4:5], s27, v1
	v_ashrrev_i32_e32 v5, 31, v4
	v_cndmask_b32_e64 v3, 0, v3, s[4:5]
	v_cmp_nlt_f32_e64 s[4:5], s28, v1
	v_lshlrev_b64 v[48:49], 2, v[4:5]
	v_cndmask_b32_e64 v50, v45, v3, s[4:5]
	v_mov_b32_e32 v1, s21
	v_add_co_u32_e64 v48, s[4:5], s20, v48
	v_addc_co_u32_e64 v49, s[4:5], v1, v49, s[4:5]
	v_ashrrev_i32_e32 v3, 31, v2
	global_store_dword v[48:49], v50, off
	v_subrev_u32_e32 v1, s13, v47
	s_and_b64 s[4:5], s[22:23], s[6:7]
	v_lshlrev_b64 v[48:49], 2, v[2:3]
	v_cndmask_b32_e64 v1, v46, v1, s[4:5]
	s_waitcnt lgkmcnt(0)
	v_mov_b32_e32 v3, s17
	v_add_co_u32_e64 v48, s[4:5], s16, v48
	v_addc_co_u32_e64 v49, s[4:5], v3, v49, s[4:5]
	global_store_dword v[48:49], v1, off
	v_ashrrev_i32_e32 v1, 31, v0
	v_lshlrev_b64 v[48:49], 2, v[0:1]
	v_mov_b32_e32 v1, s19
	v_add_co_u32_e64 v48, s[4:5], s18, v48
	v_addc_co_u32_e64 v49, s[4:5], v1, v49, s[4:5]
	v_add_f32_e32 v8, v8, v50
	global_store_dword v[48:49], v42, off
.LBB197_14:                             ;   in Loop: Header=BB197_12 Depth=1
	s_or_b64 exec, exec, s[8:9]
	v_ashrrev_i32_e32 v3, 31, v47
	v_lshrrev_b32_e32 v1, 27, v3
	v_add_u32_e32 v1, v47, v1
	v_ashrrev_i32_e32 v1, 5, v1
	v_lshrrev_b32_e32 v5, 28, v1
	v_add_u32_e32 v5, v1, v5
	v_and_b32_e32 v5, -16, v5
	v_sub_u32_e32 v5, v1, v5
	v_cmp_eq_u32_e64 s[4:5], v7, v5
	s_and_saveexec_b64 s[6:7], s[4:5]
	s_cbranch_execz .LBB197_11
; %bb.15:                               ;   in Loop: Header=BB197_12 Depth=1
	v_lshrrev_b32_e32 v3, 23, v3
	v_add_u32_e32 v3, v47, v3
	v_lshlrev_b32_e32 v1, 5, v1
	v_ashrrev_i32_e32 v3, 9, v3
	v_sub_u32_e32 v1, v47, v1
	v_lshl_add_u32 v1, v3, 5, v1
	v_lshl_add_u32 v1, v1, 2, v43
	buffer_store_dword v44, v1, s[0:3], 0 offen
	s_branch .LBB197_11
.LBB197_16:
	buffer_load_dword v1, off, s[0:3], 0 offset:92
	buffer_load_dword v0, off, s[0:3], 0 offset:96
.LBB197_17:
	buffer_load_dword v3, off, s[0:3], 0
	buffer_load_dword v4, off, s[0:3], 0 offset:4
	buffer_load_dword v5, off, s[0:3], 0 offset:8
	;; [unrolled: 1-line block ×15, first 2 shown]
	s_mov_b32 s5, 0x3fb8aa3b
	s_mov_b32 s4, 0xc2ce8ed0
	;; [unrolled: 1-line block ×3, first 2 shown]
	v_mov_b32_e32 v2, 0x7f800000
	s_waitcnt vmcnt(17)
	v_sub_f32_e32 v1, v1, v9
	s_waitcnt vmcnt(16)
	v_sub_f32_e32 v0, v0, v9
	;; [unrolled: 2-line block ×4, first 2 shown]
	v_mul_f32_e32 v23, 0x3fb8aa3b, v3
	s_waitcnt vmcnt(13)
	v_sub_f32_e32 v5, v5, v9
	v_mul_f32_e32 v24, 0x3fb8aa3b, v4
	v_fma_f32 v29, v3, s5, -v23
	v_rndne_f32_e32 v30, v23
	s_waitcnt vmcnt(12)
	v_sub_f32_e32 v10, v10, v9
	v_mul_f32_e32 v25, 0x3fb8aa3b, v5
	v_fma_f32 v31, v4, s5, -v24
	v_rndne_f32_e32 v32, v24
	v_fmac_f32_e32 v29, 0x32a5705f, v3
	v_sub_f32_e32 v23, v23, v30
	s_waitcnt vmcnt(11)
	v_sub_f32_e32 v11, v11, v9
	v_mul_f32_e32 v26, 0x3fb8aa3b, v10
	v_fma_f32 v33, v5, s5, -v25
	v_rndne_f32_e32 v34, v25
	v_fmac_f32_e32 v31, 0x32a5705f, v4
	v_sub_f32_e32 v24, v24, v32
	v_add_f32_e32 v23, v23, v29
	v_mul_f32_e32 v27, 0x3fb8aa3b, v11
	v_fma_f32 v35, v10, s5, -v26
	v_rndne_f32_e32 v36, v26
	v_cvt_i32_f32_e32 v30, v30
	v_fmac_f32_e32 v33, 0x32a5705f, v5
	v_sub_f32_e32 v25, v25, v34
	v_add_f32_e32 v24, v24, v31
	v_exp_f32_e32 v23, v23
	v_fma_f32 v37, v11, s5, -v27
	v_rndne_f32_e32 v38, v27
	v_cvt_i32_f32_e32 v32, v32
	v_fmac_f32_e32 v35, 0x32a5705f, v10
	v_sub_f32_e32 v26, v26, v36
	v_add_f32_e32 v25, v25, v33
	v_exp_f32_e32 v24, v24
	v_cvt_i32_f32_e32 v34, v34
	v_fmac_f32_e32 v37, 0x32a5705f, v11
	v_sub_f32_e32 v27, v27, v38
	v_add_f32_e32 v26, v26, v35
	v_exp_f32_e32 v25, v25
	v_cvt_i32_f32_e32 v36, v36
	v_add_f32_e32 v27, v27, v37
	v_exp_f32_e32 v26, v26
	v_cvt_i32_f32_e32 v38, v38
	v_exp_f32_e32 v27, v27
	v_ldexp_f32 v23, v23, v30
	v_cmp_ngt_f32_e32 vcc, s4, v3
	v_ldexp_f32 v24, v24, v32
	v_cndmask_b32_e32 v23, 0, v23, vcc
	v_cmp_ngt_f32_e32 vcc, s4, v4
	v_ldexp_f32 v25, v25, v34
	v_cndmask_b32_e32 v24, 0, v24, vcc
	;; [unrolled: 3-line block ×4, first 2 shown]
	v_cmp_ngt_f32_e32 vcc, s4, v11
	v_cndmask_b32_e32 v27, 0, v27, vcc
	v_cmp_nlt_f32_e32 vcc, s6, v3
	s_waitcnt vmcnt(10)
	v_sub_f32_e32 v12, v12, v9
	v_cndmask_b32_e32 v3, v2, v23, vcc
	v_cmp_nlt_f32_e32 vcc, s6, v4
	v_mul_f32_e32 v28, 0x3fb8aa3b, v12
	v_cndmask_b32_e32 v4, v2, v24, vcc
	v_cmp_nlt_f32_e32 vcc, s6, v5
	v_fma_f32 v39, v12, s5, -v28
	v_cndmask_b32_e32 v5, v2, v25, vcc
	v_add_f32_e32 v3, v3, v4
	v_rndne_f32_e32 v4, v28
	v_fmac_f32_e32 v39, 0x32a5705f, v12
	v_add_f32_e32 v3, v3, v5
	v_sub_f32_e32 v5, v28, v4
	v_add_f32_e32 v5, v5, v39
	v_exp_f32_e32 v5, v5
	v_cvt_i32_f32_e32 v4, v4
	v_cmp_nlt_f32_e32 vcc, s6, v10
	v_cndmask_b32_e32 v10, v2, v26, vcc
	v_cmp_nlt_f32_e32 vcc, s6, v11
	v_add_f32_e32 v3, v3, v10
	v_cndmask_b32_e32 v10, v2, v27, vcc
	v_ldexp_f32 v4, v5, v4
	s_waitcnt vmcnt(9)
	v_sub_f32_e32 v5, v13, v9
	v_add_f32_e32 v3, v3, v10
	v_mul_f32_e32 v10, 0x3fb8aa3b, v5
	v_fma_f32 v11, v5, s5, -v10
	v_rndne_f32_e32 v13, v10
	v_fmac_f32_e32 v11, 0x32a5705f, v5
	v_sub_f32_e32 v10, v10, v13
	v_add_f32_e32 v10, v10, v11
	v_exp_f32_e32 v10, v10
	v_cvt_i32_f32_e32 v11, v13
	v_cmp_ngt_f32_e32 vcc, s4, v12
	v_cndmask_b32_e32 v4, 0, v4, vcc
	v_cmp_nlt_f32_e32 vcc, s6, v12
	v_cndmask_b32_e32 v4, v2, v4, vcc
	v_add_f32_e32 v3, v3, v4
	v_ldexp_f32 v4, v10, v11
	s_waitcnt vmcnt(8)
	v_sub_f32_e32 v10, v14, v9
	v_mul_f32_e32 v11, 0x3fb8aa3b, v10
	v_fma_f32 v12, v10, s5, -v11
	v_rndne_f32_e32 v13, v11
	v_fmac_f32_e32 v12, 0x32a5705f, v10
	v_sub_f32_e32 v11, v11, v13
	v_add_f32_e32 v11, v11, v12
	v_exp_f32_e32 v11, v11
	v_cvt_i32_f32_e32 v12, v13
	v_cmp_ngt_f32_e32 vcc, s4, v5
	v_cndmask_b32_e32 v4, 0, v4, vcc
	v_cmp_nlt_f32_e32 vcc, s6, v5
	v_cndmask_b32_e32 v4, v2, v4, vcc
	s_waitcnt vmcnt(7)
	v_sub_f32_e32 v5, v15, v9
	v_add_f32_e32 v3, v3, v4
	v_ldexp_f32 v4, v11, v12
	v_mul_f32_e32 v11, 0x3fb8aa3b, v5
	v_fma_f32 v12, v5, s5, -v11
	v_rndne_f32_e32 v13, v11
	v_fmac_f32_e32 v12, 0x32a5705f, v5
	v_sub_f32_e32 v11, v11, v13
	v_add_f32_e32 v11, v11, v12
	v_exp_f32_e32 v11, v11
	v_cvt_i32_f32_e32 v12, v13
	v_cmp_ngt_f32_e32 vcc, s4, v10
	v_cndmask_b32_e32 v4, 0, v4, vcc
	v_cmp_nlt_f32_e32 vcc, s6, v10
	v_cndmask_b32_e32 v4, v2, v4, vcc
	s_waitcnt vmcnt(6)
	v_sub_f32_e32 v10, v16, v9
	v_add_f32_e32 v3, v3, v4
	v_ldexp_f32 v4, v11, v12
	;; [unrolled: 16-line block ×4, first 2 shown]
	v_mul_f32_e32 v11, 0x3fb8aa3b, v10
	v_fma_f32 v12, v10, s5, -v11
	v_rndne_f32_e32 v14, v11
	buffer_load_dword v13, off, s[0:3], 0 offset:64
	v_fmac_f32_e32 v12, 0x32a5705f, v10
	v_sub_f32_e32 v11, v11, v14
	v_add_f32_e32 v11, v11, v12
	v_exp_f32_e32 v11, v11
	v_cvt_i32_f32_e32 v12, v14
	v_cmp_ngt_f32_e32 vcc, s4, v5
	v_cndmask_b32_e32 v4, 0, v4, vcc
	v_cmp_nlt_f32_e32 vcc, s6, v5
	v_cndmask_b32_e32 v4, v2, v4, vcc
	s_waitcnt vmcnt(4)
	v_sub_f32_e32 v5, v19, v9
	v_add_f32_e32 v3, v3, v4
	v_ldexp_f32 v4, v11, v12
	buffer_load_dword v12, off, s[0:3], 0 offset:68
	v_mul_f32_e32 v11, 0x3fb8aa3b, v5
	v_fma_f32 v14, v5, s5, -v11
	v_rndne_f32_e32 v15, v11
	v_fmac_f32_e32 v14, 0x32a5705f, v5
	v_sub_f32_e32 v11, v11, v15
	v_add_f32_e32 v11, v11, v14
	v_exp_f32_e32 v11, v11
	v_cvt_i32_f32_e32 v14, v15
	v_cmp_ngt_f32_e32 vcc, s4, v10
	v_cndmask_b32_e32 v4, 0, v4, vcc
	v_cmp_nlt_f32_e32 vcc, s6, v10
	v_cndmask_b32_e32 v4, v2, v4, vcc
	v_add_f32_e32 v3, v3, v4
	v_ldexp_f32 v4, v11, v14
	buffer_load_dword v11, off, s[0:3], 0 offset:72
	s_waitcnt vmcnt(5)
	v_sub_f32_e32 v10, v20, v9
	v_mul_f32_e32 v14, 0x3fb8aa3b, v10
	v_cmp_ngt_f32_e32 vcc, s4, v5
	v_fma_f32 v15, v10, s5, -v14
	v_rndne_f32_e32 v16, v14
	v_cndmask_b32_e32 v4, 0, v4, vcc
	v_fmac_f32_e32 v15, 0x32a5705f, v10
	v_sub_f32_e32 v14, v14, v16
	v_cmp_nlt_f32_e32 vcc, s6, v5
	buffer_load_dword v5, off, s[0:3], 0 offset:76
	v_add_f32_e32 v14, v14, v15
	v_exp_f32_e32 v14, v14
	v_cvt_i32_f32_e32 v15, v16
	v_cndmask_b32_e32 v4, v2, v4, vcc
	v_add_f32_e32 v3, v3, v4
	v_cmp_ngt_f32_e32 vcc, s4, v10
	v_ldexp_f32 v4, v14, v15
	s_waitcnt vmcnt(5)
	v_sub_f32_e32 v14, v21, v9
	v_cndmask_b32_e32 v4, 0, v4, vcc
	v_mul_f32_e32 v15, 0x3fb8aa3b, v14
	v_cmp_nlt_f32_e32 vcc, s6, v10
	buffer_load_dword v10, off, s[0:3], 0 offset:80
	v_fma_f32 v16, v14, s5, -v15
	v_rndne_f32_e32 v17, v15
	v_fmac_f32_e32 v16, 0x32a5705f, v14
	v_sub_f32_e32 v15, v15, v17
	v_add_f32_e32 v15, v15, v16
	v_exp_f32_e32 v15, v15
	v_cvt_i32_f32_e32 v16, v17
	v_cndmask_b32_e32 v4, v2, v4, vcc
	v_add_f32_e32 v3, v3, v4
	v_cmp_ngt_f32_e32 vcc, s4, v14
	v_ldexp_f32 v4, v15, v16
	v_cndmask_b32_e32 v4, 0, v4, vcc
	v_cmp_nlt_f32_e32 vcc, s6, v14
	buffer_load_dword v14, off, s[0:3], 0 offset:84
	s_waitcnt vmcnt(6)
	v_sub_f32_e32 v15, v22, v9
	v_mul_f32_e32 v16, 0x3fb8aa3b, v15
	v_fma_f32 v17, v15, s5, -v16
	v_rndne_f32_e32 v18, v16
	v_fmac_f32_e32 v17, 0x32a5705f, v15
	v_sub_f32_e32 v16, v16, v18
	v_add_f32_e32 v16, v16, v17
	v_exp_f32_e32 v16, v16
	v_cvt_i32_f32_e32 v17, v18
	v_cndmask_b32_e32 v4, v2, v4, vcc
	v_add_f32_e32 v3, v3, v4
	v_cmp_ngt_f32_e32 vcc, s4, v15
	v_ldexp_f32 v4, v16, v17
	buffer_load_dword v16, off, s[0:3], 0 offset:88
	buffer_load_dword v17, off, s[0:3], 0 offset:100
	v_cndmask_b32_e32 v4, 0, v4, vcc
	s_waitcnt vmcnt(7)
	v_sub_f32_e32 v13, v13, v9
	v_mul_f32_e32 v18, 0x3fb8aa3b, v13
	v_fma_f32 v19, v13, s5, -v18
	v_rndne_f32_e32 v20, v18
	v_fmac_f32_e32 v19, 0x32a5705f, v13
	v_sub_f32_e32 v18, v18, v20
	v_add_f32_e32 v18, v18, v19
	v_exp_f32_e32 v18, v18
	v_cvt_i32_f32_e32 v19, v20
	v_cmp_nlt_f32_e32 vcc, s6, v15
	v_cndmask_b32_e32 v4, v2, v4, vcc
	v_add_f32_e32 v3, v3, v4
	v_ldexp_f32 v4, v18, v19
	s_waitcnt vmcnt(6)
	v_sub_f32_e32 v12, v12, v9
	v_mul_f32_e32 v15, 0x3fb8aa3b, v12
	v_fma_f32 v18, v12, s5, -v15
	v_rndne_f32_e32 v19, v15
	v_fmac_f32_e32 v18, 0x32a5705f, v12
	v_sub_f32_e32 v15, v15, v19
	v_add_f32_e32 v15, v15, v18
	v_exp_f32_e32 v15, v15
	v_cvt_i32_f32_e32 v18, v19
	v_cmp_ngt_f32_e32 vcc, s4, v13
	v_cndmask_b32_e32 v4, 0, v4, vcc
	v_cmp_nlt_f32_e32 vcc, s6, v13
	v_cndmask_b32_e32 v4, v2, v4, vcc
	v_add_f32_e32 v3, v3, v4
	v_ldexp_f32 v4, v15, v18
	s_waitcnt vmcnt(5)
	v_sub_f32_e32 v11, v11, v9
	v_mul_f32_e32 v13, 0x3fb8aa3b, v11
	v_fma_f32 v15, v11, s5, -v13
	v_rndne_f32_e32 v18, v13
	v_fmac_f32_e32 v15, 0x32a5705f, v11
	v_sub_f32_e32 v13, v13, v18
	v_add_f32_e32 v13, v13, v15
	v_exp_f32_e32 v13, v13
	v_cvt_i32_f32_e32 v15, v18
	v_cmp_ngt_f32_e32 vcc, s4, v12
	v_cndmask_b32_e32 v4, 0, v4, vcc
	v_cmp_nlt_f32_e32 vcc, s6, v12
	s_waitcnt vmcnt(4)
	v_sub_f32_e32 v5, v5, v9
	v_cndmask_b32_e32 v4, v2, v4, vcc
	v_mul_f32_e32 v12, 0x3fb8aa3b, v5
	v_add_f32_e32 v3, v3, v4
	v_ldexp_f32 v4, v13, v15
	v_fma_f32 v13, v5, s5, -v12
	v_rndne_f32_e32 v15, v12
	v_fmac_f32_e32 v13, 0x32a5705f, v5
	v_sub_f32_e32 v12, v12, v15
	v_add_f32_e32 v12, v12, v13
	v_exp_f32_e32 v12, v12
	v_cvt_i32_f32_e32 v13, v15
	v_cmp_ngt_f32_e32 vcc, s4, v11
	v_cndmask_b32_e32 v4, 0, v4, vcc
	v_cmp_nlt_f32_e32 vcc, s6, v11
	s_waitcnt vmcnt(3)
	v_sub_f32_e32 v10, v10, v9
	v_cndmask_b32_e32 v4, v2, v4, vcc
	v_mul_f32_e32 v11, 0x3fb8aa3b, v10
	v_add_f32_e32 v3, v3, v4
	v_ldexp_f32 v4, v12, v13
	v_fma_f32 v12, v10, s5, -v11
	v_rndne_f32_e32 v13, v11
	v_fmac_f32_e32 v12, 0x32a5705f, v10
	v_sub_f32_e32 v11, v11, v13
	v_add_f32_e32 v11, v11, v12
	v_exp_f32_e32 v11, v11
	v_cvt_i32_f32_e32 v12, v13
	v_cmp_ngt_f32_e32 vcc, s4, v5
	v_cndmask_b32_e32 v4, 0, v4, vcc
	v_cmp_nlt_f32_e32 vcc, s6, v5
	v_cndmask_b32_e32 v4, v2, v4, vcc
	v_add_f32_e32 v3, v3, v4
	v_ldexp_f32 v4, v11, v12
	s_waitcnt vmcnt(2)
	v_sub_f32_e32 v5, v14, v9
	buffer_load_dword v11, off, s[0:3], 0 offset:104
	v_mul_f32_e32 v12, 0x3fb8aa3b, v5
	v_fma_f32 v13, v5, s5, -v12
	v_rndne_f32_e32 v14, v12
	v_fmac_f32_e32 v13, 0x32a5705f, v5
	v_sub_f32_e32 v12, v12, v14
	v_add_f32_e32 v12, v12, v13
	v_exp_f32_e32 v12, v12
	v_cvt_i32_f32_e32 v13, v14
	v_cmp_ngt_f32_e32 vcc, s4, v10
	v_cndmask_b32_e32 v4, 0, v4, vcc
	v_cmp_nlt_f32_e32 vcc, s6, v10
	buffer_load_dword v10, off, s[0:3], 0 offset:108
	v_cndmask_b32_e32 v4, v2, v4, vcc
	v_add_f32_e32 v3, v3, v4
	v_ldexp_f32 v4, v12, v13
	s_waitcnt vmcnt(3)
	v_sub_f32_e32 v12, v16, v9
	v_mul_f32_e32 v13, 0x3fb8aa3b, v12
	v_fma_f32 v14, v12, s5, -v13
	v_rndne_f32_e32 v15, v13
	v_fmac_f32_e32 v14, 0x32a5705f, v12
	v_sub_f32_e32 v13, v13, v15
	v_cmp_ngt_f32_e32 vcc, s4, v5
	v_add_f32_e32 v13, v13, v14
	v_cndmask_b32_e32 v4, 0, v4, vcc
	v_exp_f32_e32 v13, v13
	v_cvt_i32_f32_e32 v14, v15
	v_cmp_nlt_f32_e32 vcc, s6, v5
	buffer_load_dword v5, off, s[0:3], 0 offset:112
	v_cndmask_b32_e32 v4, v2, v4, vcc
	v_add_f32_e32 v3, v3, v4
	v_ldexp_f32 v4, v13, v14
	v_mul_f32_e32 v13, 0x3fb8aa3b, v1
	v_fma_f32 v14, v1, s5, -v13
	v_rndne_f32_e32 v15, v13
	v_fmac_f32_e32 v14, 0x32a5705f, v1
	v_sub_f32_e32 v13, v13, v15
	v_cmp_ngt_f32_e32 vcc, s4, v12
	v_add_f32_e32 v13, v13, v14
	v_cndmask_b32_e32 v4, 0, v4, vcc
	v_exp_f32_e32 v13, v13
	v_cvt_i32_f32_e32 v14, v15
	v_cmp_nlt_f32_e32 vcc, s6, v12
	buffer_load_dword v12, off, s[0:3], 0 offset:116
	v_cndmask_b32_e32 v4, v2, v4, vcc
	v_add_f32_e32 v3, v3, v4
	v_ldexp_f32 v4, v13, v14
	v_cmp_ngt_f32_e32 vcc, s4, v1
	v_cndmask_b32_e32 v4, 0, v4, vcc
	v_mul_f32_e32 v13, 0x3fb8aa3b, v0
	v_cmp_nlt_f32_e32 vcc, s6, v1
	v_fma_f32 v14, v0, s5, -v13
	v_rndne_f32_e32 v15, v13
	v_cndmask_b32_e32 v1, v2, v4, vcc
	v_fmac_f32_e32 v14, 0x32a5705f, v0
	v_sub_f32_e32 v13, v13, v15
	v_add_f32_e32 v1, v3, v1
	buffer_load_dword v3, off, s[0:3], 0 offset:120
	v_add_f32_e32 v13, v13, v14
	v_exp_f32_e32 v13, v13
	v_cvt_i32_f32_e32 v14, v15
	v_cmp_ngt_f32_e32 vcc, s4, v0
	v_ldexp_f32 v4, v13, v14
	v_cndmask_b32_e32 v4, 0, v4, vcc
	v_cmp_nlt_f32_e32 vcc, s6, v0
	v_cndmask_b32_e32 v0, v2, v4, vcc
	buffer_load_dword v4, off, s[0:3], 0 offset:124
	s_waitcnt vmcnt(6)
	v_sub_f32_e32 v13, v17, v9
	v_mul_f32_e32 v14, 0x3fb8aa3b, v13
	v_fma_f32 v15, v13, s5, -v14
	v_rndne_f32_e32 v16, v14
	v_fmac_f32_e32 v15, 0x32a5705f, v13
	v_sub_f32_e32 v14, v14, v16
	v_add_f32_e32 v14, v14, v15
	v_exp_f32_e32 v14, v14
	v_cvt_i32_f32_e32 v15, v16
	v_add_f32_e32 v0, v1, v0
	v_cmp_ngt_f32_e32 vcc, s4, v13
	s_waitcnt vmcnt(5)
	v_sub_f32_e32 v11, v11, v9
	v_ldexp_f32 v1, v14, v15
	v_mul_f32_e32 v14, 0x3fb8aa3b, v11
	v_fma_f32 v15, v11, s5, -v14
	v_rndne_f32_e32 v16, v14
	v_fmac_f32_e32 v15, 0x32a5705f, v11
	v_sub_f32_e32 v14, v14, v16
	v_add_f32_e32 v14, v14, v15
	v_exp_f32_e32 v14, v14
	v_cvt_i32_f32_e32 v15, v16
	v_cndmask_b32_e32 v1, 0, v1, vcc
	v_cmp_nlt_f32_e32 vcc, s6, v13
	s_waitcnt vmcnt(4)
	v_sub_f32_e32 v10, v10, v9
	v_cndmask_b32_e32 v1, v2, v1, vcc
	v_mul_f32_e32 v13, 0x3fb8aa3b, v10
	v_add_f32_e32 v0, v0, v1
	v_ldexp_f32 v1, v14, v15
	v_fma_f32 v14, v10, s5, -v13
	v_rndne_f32_e32 v15, v13
	v_fmac_f32_e32 v14, 0x32a5705f, v10
	v_sub_f32_e32 v13, v13, v15
	v_add_f32_e32 v13, v13, v14
	v_exp_f32_e32 v13, v13
	v_cvt_i32_f32_e32 v14, v15
	v_cmp_ngt_f32_e32 vcc, s4, v11
	v_cndmask_b32_e32 v1, 0, v1, vcc
	v_cmp_nlt_f32_e32 vcc, s6, v11
	v_cndmask_b32_e32 v1, v2, v1, vcc
	s_waitcnt vmcnt(3)
	v_sub_f32_e32 v5, v5, v9
	v_mul_f32_e32 v11, 0x3fb8aa3b, v5
	v_add_f32_e32 v0, v0, v1
	v_ldexp_f32 v1, v13, v14
	v_fma_f32 v13, v5, s5, -v11
	v_rndne_f32_e32 v14, v11
	v_fmac_f32_e32 v13, 0x32a5705f, v5
	v_sub_f32_e32 v11, v11, v14
	v_add_f32_e32 v11, v11, v13
	v_exp_f32_e32 v11, v11
	v_cvt_i32_f32_e32 v13, v14
	v_cmp_ngt_f32_e32 vcc, s4, v10
	v_cndmask_b32_e32 v1, 0, v1, vcc
	v_cmp_nlt_f32_e32 vcc, s6, v10
	v_cndmask_b32_e32 v1, v2, v1, vcc
	s_waitcnt vmcnt(2)
	v_sub_f32_e32 v10, v12, v9
	v_add_f32_e32 v0, v0, v1
	v_ldexp_f32 v1, v11, v13
	v_mul_f32_e32 v11, 0x3fb8aa3b, v10
	v_fma_f32 v12, v10, s5, -v11
	v_rndne_f32_e32 v13, v11
	v_fmac_f32_e32 v12, 0x32a5705f, v10
	v_sub_f32_e32 v11, v11, v13
	v_add_f32_e32 v11, v11, v12
	v_exp_f32_e32 v11, v11
	v_cvt_i32_f32_e32 v12, v13
	v_cmp_ngt_f32_e32 vcc, s4, v5
	v_cndmask_b32_e32 v1, 0, v1, vcc
	v_cmp_nlt_f32_e32 vcc, s6, v5
	s_waitcnt vmcnt(1)
	v_sub_f32_e32 v3, v3, v9
	v_cndmask_b32_e32 v1, v2, v1, vcc
	v_mul_f32_e32 v5, 0x3fb8aa3b, v3
	v_add_f32_e32 v0, v0, v1
	v_ldexp_f32 v1, v11, v12
	v_fma_f32 v11, v3, s5, -v5
	v_rndne_f32_e32 v12, v5
	v_fmac_f32_e32 v11, 0x32a5705f, v3
	v_sub_f32_e32 v5, v5, v12
	v_add_f32_e32 v5, v5, v11
	v_exp_f32_e32 v5, v5
	v_cvt_i32_f32_e32 v11, v12
	v_cmp_ngt_f32_e32 vcc, s4, v10
	v_cndmask_b32_e32 v1, 0, v1, vcc
	v_cmp_nlt_f32_e32 vcc, s6, v10
	v_cndmask_b32_e32 v1, v2, v1, vcc
	s_waitcnt vmcnt(0)
	v_sub_f32_e32 v4, v4, v9
	v_add_f32_e32 v0, v0, v1
	v_ldexp_f32 v1, v5, v11
	v_mul_f32_e32 v5, 0x3fb8aa3b, v4
	v_fma_f32 v9, v4, s5, -v5
	v_rndne_f32_e32 v10, v5
	v_fmac_f32_e32 v9, 0x32a5705f, v4
	v_sub_f32_e32 v5, v5, v10
	v_add_f32_e32 v5, v5, v9
	v_exp_f32_e32 v5, v5
	v_cvt_i32_f32_e32 v9, v10
	v_cmp_ngt_f32_e32 vcc, s4, v3
	v_cndmask_b32_e32 v1, 0, v1, vcc
	v_cmp_nlt_f32_e32 vcc, s6, v3
	v_cndmask_b32_e32 v1, v2, v1, vcc
	v_add_f32_e32 v0, v0, v1
	v_ldexp_f32 v1, v5, v9
	v_cmp_ngt_f32_e32 vcc, s4, v4
	v_cndmask_b32_e32 v1, 0, v1, vcc
	v_cmp_nlt_f32_e32 vcc, s6, v4
	v_cndmask_b32_e32 v1, v2, v1, vcc
	v_add_f32_e32 v0, v0, v1
	v_cmp_eq_u32_e32 vcc, 0, v7
	s_nop 0
	v_mov_b32_dpp v1, v0 quad_perm:[1,0,3,2] row_mask:0xf bank_mask:0xf
	v_add_f32_e32 v0, v0, v1
	s_nop 1
	v_mov_b32_dpp v1, v0 quad_perm:[2,3,0,1] row_mask:0xf bank_mask:0xf
	v_add_f32_e32 v0, v0, v1
	s_nop 1
	v_mov_b32_dpp v1, v0 row_half_mirror row_mask:0xf bank_mask:0xf
	v_add_f32_e32 v0, v0, v1
	s_nop 1
	v_mov_b32_dpp v1, v0 row_mirror row_mask:0xf bank_mask:0xf
	s_and_b64 exec, exec, vcc
	s_cbranch_execz .LBB197_30
; %bb.18:
	v_add_f32_e32 v0, v0, v1
	v_add_f32_e32 v0, v8, v0
	v_cmp_neq_f32_e32 vcc, 0, v0
	s_and_b64 exec, exec, vcc
	s_cbranch_execz .LBB197_30
; %bb.19:
	s_andn2_b64 vcc, exec, s[10:11]
	s_cbranch_vccnz .LBB197_30
; %bb.20:
	v_div_scale_f32 v1, s[4:5], v0, v0, 1.0
	v_rcp_f32_e32 v2, v1
	v_div_scale_f32 v3, vcc, 1.0, v0, 1.0
	s_cmp_gt_u32 s12, 3
	v_fma_f32 v4, -v1, v2, 1.0
	v_fmac_f32_e32 v2, v4, v2
	v_mul_f32_e32 v4, v3, v2
	v_fma_f32 v5, -v1, v4, v3
	v_fmac_f32_e32 v4, v5, v2
	v_fma_f32 v1, -v1, v4, v3
	v_div_fmas_f32 v1, v1, v2, v4
	v_mul_lo_u32 v2, v6, s15
	v_div_fixup_f32 v0, v1, v0, 1.0
	v_ashrrev_i32_e32 v3, 31, v2
	s_cbranch_scc0 .LBB197_24
; %bb.21:
	v_lshlrev_b64 v[4:5], 2, v[2:3]
	v_mov_b32_e32 v6, s21
	v_add_co_u32_e32 v4, vcc, s20, v4
	v_addc_co_u32_e32 v5, vcc, v5, v6, vcc
	s_and_b32 s8, s12, 0x7ffffffc
	v_add_co_u32_e32 v4, vcc, 8, v4
	v_mov_b32_e32 v1, v0
	v_addc_co_u32_e32 v5, vcc, 0, v5, vcc
	s_mov_b32 s4, s8
.LBB197_22:                             ; =>This Inner Loop Header: Depth=1
	global_load_dwordx4 v[6:9], v[4:5], off offset:-8
	s_add_i32 s4, s4, -4
	s_cmp_lg_u32 s4, 0
	s_waitcnt vmcnt(0)
	v_pk_mul_f32 v[6:7], v[0:1], v[6:7]
	v_pk_mul_f32 v[8:9], v[0:1], v[8:9]
	global_store_dwordx4 v[4:5], v[6:9], off offset:-8
	v_add_co_u32_e32 v4, vcc, 16, v4
	v_addc_co_u32_e32 v5, vcc, 0, v5, vcc
	s_cbranch_scc1 .LBB197_22
; %bb.23:
	s_cmp_lg_u32 s8, s12
	s_mov_b64 s[6:7], 0
	s_cselect_b64 s[4:5], -1, 0
	s_branch .LBB197_25
.LBB197_24:
	s_mov_b64 s[6:7], -1
	s_mov_b64 s[4:5], 0
                                        ; implicit-def: $sgpr8
.LBB197_25:
	s_and_b64 vcc, exec, s[6:7]
	s_cbranch_vccz .LBB197_27
; %bb.26:
	s_mov_b64 s[4:5], -1
	s_mov_b32 s8, 0
.LBB197_27:
	s_andn2_b64 vcc, exec, s[4:5]
	s_cbranch_vccnz .LBB197_30
; %bb.28:
	v_add_co_u32_e32 v2, vcc, s8, v2
	v_addc_co_u32_e32 v3, vcc, 0, v3, vcc
	v_lshlrev_b64 v[2:3], 2, v[2:3]
	v_mov_b32_e32 v1, s21
	v_add_co_u32_e32 v2, vcc, s20, v2
	s_sub_i32 s4, s12, s8
	v_addc_co_u32_e32 v3, vcc, v1, v3, vcc
.LBB197_29:                             ; =>This Inner Loop Header: Depth=1
	global_load_dword v1, v[2:3], off
	s_add_i32 s4, s4, -1
	s_cmp_lg_u32 s4, 0
	s_waitcnt vmcnt(0)
	v_mul_f32_e32 v1, v0, v1
	global_store_dword v[2:3], v1, off
	v_add_co_u32_e32 v2, vcc, 4, v2
	v_addc_co_u32_e32 v3, vcc, 0, v3, vcc
	s_cbranch_scc1 .LBB197_29
.LBB197_30:
	s_endpgm
	.section	.rodata,"a",@progbits
	.p2align	6, 0x0
	.amdhsa_kernel _ZN4vllm3moe17topkGatingSoftmaxIDF16_Li32ELi512ELi2ELi64ELb0ELi0ELNS0_23SharedExpertScoringFuncE0EEEvPKT_PKbPfiPiS9_iiiiii
		.amdhsa_group_segment_fixed_size 0
		.amdhsa_private_segment_fixed_size 144
		.amdhsa_kernarg_size 72
		.amdhsa_user_sgpr_count 8
		.amdhsa_user_sgpr_private_segment_buffer 1
		.amdhsa_user_sgpr_dispatch_ptr 0
		.amdhsa_user_sgpr_queue_ptr 0
		.amdhsa_user_sgpr_kernarg_segment_ptr 1
		.amdhsa_user_sgpr_dispatch_id 0
		.amdhsa_user_sgpr_flat_scratch_init 1
		.amdhsa_user_sgpr_kernarg_preload_length 0
		.amdhsa_user_sgpr_kernarg_preload_offset 0
		.amdhsa_user_sgpr_private_segment_size 0
		.amdhsa_uses_dynamic_stack 0
		.amdhsa_system_sgpr_private_segment_wavefront_offset 1
		.amdhsa_system_sgpr_workgroup_id_x 1
		.amdhsa_system_sgpr_workgroup_id_y 0
		.amdhsa_system_sgpr_workgroup_id_z 0
		.amdhsa_system_sgpr_workgroup_info 0
		.amdhsa_system_vgpr_workitem_id 1
		.amdhsa_next_free_vgpr 61
		.amdhsa_next_free_sgpr 29
		.amdhsa_accum_offset 64
		.amdhsa_reserve_vcc 1
		.amdhsa_reserve_flat_scratch 0
		.amdhsa_float_round_mode_32 0
		.amdhsa_float_round_mode_16_64 0
		.amdhsa_float_denorm_mode_32 3
		.amdhsa_float_denorm_mode_16_64 3
		.amdhsa_dx10_clamp 1
		.amdhsa_ieee_mode 1
		.amdhsa_fp16_overflow 0
		.amdhsa_tg_split 0
		.amdhsa_exception_fp_ieee_invalid_op 0
		.amdhsa_exception_fp_denorm_src 0
		.amdhsa_exception_fp_ieee_div_zero 0
		.amdhsa_exception_fp_ieee_overflow 0
		.amdhsa_exception_fp_ieee_underflow 0
		.amdhsa_exception_fp_ieee_inexact 0
		.amdhsa_exception_int_div_zero 0
	.end_amdhsa_kernel
	.section	.text._ZN4vllm3moe17topkGatingSoftmaxIDF16_Li32ELi512ELi2ELi64ELb0ELi0ELNS0_23SharedExpertScoringFuncE0EEEvPKT_PKbPfiPiS9_iiiiii,"axG",@progbits,_ZN4vllm3moe17topkGatingSoftmaxIDF16_Li32ELi512ELi2ELi64ELb0ELi0ELNS0_23SharedExpertScoringFuncE0EEEvPKT_PKbPfiPiS9_iiiiii,comdat
.Lfunc_end197:
	.size	_ZN4vllm3moe17topkGatingSoftmaxIDF16_Li32ELi512ELi2ELi64ELb0ELi0ELNS0_23SharedExpertScoringFuncE0EEEvPKT_PKbPfiPiS9_iiiiii, .Lfunc_end197-_ZN4vllm3moe17topkGatingSoftmaxIDF16_Li32ELi512ELi2ELi64ELb0ELi0ELNS0_23SharedExpertScoringFuncE0EEEvPKT_PKbPfiPiS9_iiiiii
                                        ; -- End function
	.section	.AMDGPU.csdata,"",@progbits
; Kernel info:
; codeLenInByte = 7272
; NumSgprs: 33
; NumVgprs: 61
; NumAgprs: 0
; TotalNumVgprs: 61
; ScratchSize: 144
; MemoryBound: 0
; FloatMode: 240
; IeeeMode: 1
; LDSByteSize: 0 bytes/workgroup (compile time only)
; SGPRBlocks: 4
; VGPRBlocks: 7
; NumSGPRsForWavesPerEU: 33
; NumVGPRsForWavesPerEU: 61
; AccumOffset: 64
; Occupancy: 8
; WaveLimiterHint : 0
; COMPUTE_PGM_RSRC2:SCRATCH_EN: 1
; COMPUTE_PGM_RSRC2:USER_SGPR: 8
; COMPUTE_PGM_RSRC2:TRAP_HANDLER: 0
; COMPUTE_PGM_RSRC2:TGID_X_EN: 1
; COMPUTE_PGM_RSRC2:TGID_Y_EN: 0
; COMPUTE_PGM_RSRC2:TGID_Z_EN: 0
; COMPUTE_PGM_RSRC2:TIDIG_COMP_CNT: 1
; COMPUTE_PGM_RSRC3_GFX90A:ACCUM_OFFSET: 15
; COMPUTE_PGM_RSRC3_GFX90A:TG_SPLIT: 0
	.section	.text._ZN4vllm3moe17topkGatingSoftmaxIDF16_Li32ELi512ELi2ELi64ELb1ELi1ELNS0_23SharedExpertScoringFuncE1EEEvPKT_PKbPfiPiS9_iiiiii,"axG",@progbits,_ZN4vllm3moe17topkGatingSoftmaxIDF16_Li32ELi512ELi2ELi64ELb1ELi1ELNS0_23SharedExpertScoringFuncE1EEEvPKT_PKbPfiPiS9_iiiiii,comdat
	.protected	_ZN4vllm3moe17topkGatingSoftmaxIDF16_Li32ELi512ELi2ELi64ELb1ELi1ELNS0_23SharedExpertScoringFuncE1EEEvPKT_PKbPfiPiS9_iiiiii ; -- Begin function _ZN4vllm3moe17topkGatingSoftmaxIDF16_Li32ELi512ELi2ELi64ELb1ELi1ELNS0_23SharedExpertScoringFuncE1EEEvPKT_PKbPfiPiS9_iiiiii
	.globl	_ZN4vllm3moe17topkGatingSoftmaxIDF16_Li32ELi512ELi2ELi64ELb1ELi1ELNS0_23SharedExpertScoringFuncE1EEEvPKT_PKbPfiPiS9_iiiiii
	.p2align	8
	.type	_ZN4vllm3moe17topkGatingSoftmaxIDF16_Li32ELi512ELi2ELi64ELb1ELi1ELNS0_23SharedExpertScoringFuncE1EEEvPKT_PKbPfiPiS9_iiiiii,@function
_ZN4vllm3moe17topkGatingSoftmaxIDF16_Li32ELi512ELi2ELi64ELb1ELi1ELNS0_23SharedExpertScoringFuncE1EEEvPKT_PKbPfiPiS9_iiiiii: ; @_ZN4vllm3moe17topkGatingSoftmaxIDF16_Li32ELi512ELi2ELi64ELb1ELi1ELNS0_23SharedExpertScoringFuncE1EEEvPKT_PKbPfiPiS9_iiiiii
; %bb.0:
	s_load_dword s28, s[4:5], 0x18
	s_add_u32 s0, s0, s9
	v_bfe_u32 v1, v0, 10, 10
	v_and_b32_e32 v0, 0x3ff, v0
	s_addc_u32 s1, s1, 0
	s_lshl_b32 s29, s8, 3
	v_lshlrev_b32_e32 v41, 2, v1
	v_lshrrev_b32_e32 v42, 4, v0
	v_add3_u32 v6, s29, v41, v42
	s_waitcnt lgkmcnt(0)
	v_cmp_gt_i32_e32 vcc, s28, v6
	s_and_saveexec_b64 s[6:7], vcc
	s_cbranch_execz .LBB198_29
; %bb.1:
	s_load_dwordx4 s[8:11], s[4:5], 0x0
	s_load_dwordx2 s[20:21], s[4:5], 0x10
	s_waitcnt lgkmcnt(0)
	s_cmp_eq_u64 s[10:11], 0
	s_cbranch_scc1 .LBB198_3
; %bb.2:
	v_ashrrev_i32_e32 v1, 31, v6
	v_mov_b32_e32 v3, s11
	v_add_co_u32_e32 v2, vcc, s10, v6
	v_addc_co_u32_e32 v3, vcc, v3, v1, vcc
	global_load_ubyte v1, v[2:3], off
	s_waitcnt vmcnt(0)
	v_and_b32_e32 v1, 1, v1
	v_cmp_eq_u32_e32 vcc, 1, v1
	s_xor_b64 s[6:7], vcc, -1
	s_orn2_b64 s[22:23], s[6:7], exec
	s_branch .LBB198_4
.LBB198_3:
	s_mov_b64 s[22:23], -1
.LBB198_4:
	s_load_dwordx2 s[26:27], s[4:5], 0x40
	s_load_dwordx4 s[12:15], s[4:5], 0x30
	v_mov_b32_e32 v1, s9
	v_and_b32_e32 v7, 15, v0
	v_lshlrev_b32_e32 v0, 6, v7
	s_waitcnt lgkmcnt(0)
	v_mul_lo_u32 v2, v6, s27
	v_ashrrev_i32_e32 v3, 31, v2
	v_lshlrev_b64 v[2:3], 1, v[2:3]
	v_add_co_u32_e32 v4, vcc, s8, v2
	v_addc_co_u32_e32 v5, vcc, v1, v3, vcc
	v_add_co_u32_e32 v8, vcc, v4, v0
	v_addc_co_u32_e32 v9, vcc, 0, v5, vcc
	global_load_dwordx4 v[0:3], v[8:9], off
	global_load_dwordx4 v[22:25], v[8:9], off offset:16
	global_load_dwordx4 v[30:33], v[8:9], off offset:32
	;; [unrolled: 1-line block ×3, first 2 shown]
	v_mov_b32_e32 v8, 0
	v_lshlrev_b32_e32 v9, 5, v7
	v_cmp_eq_u32_e64 s[6:7], 0, v7
	s_waitcnt vmcnt(3)
	v_cvt_f32_f16_e32 v11, v0
	v_cvt_f32_f16_sdwa v28, v0 dst_sel:DWORD dst_unused:UNUSED_PAD src0_sel:WORD_1
	v_cvt_f32_f16_e32 v12, v1
	v_cvt_f32_f16_sdwa v13, v1 dst_sel:DWORD dst_unused:UNUSED_PAD src0_sel:WORD_1
	;; [unrolled: 2-line block ×4, first 2 shown]
	s_waitcnt vmcnt(2)
	v_cvt_f32_f16_e32 v18, v22
	v_cvt_f32_f16_sdwa v19, v22 dst_sel:DWORD dst_unused:UNUSED_PAD src0_sel:WORD_1
	v_cvt_f32_f16_e32 v20, v23
	v_cvt_f32_f16_sdwa v21, v23 dst_sel:DWORD dst_unused:UNUSED_PAD src0_sel:WORD_1
	;; [unrolled: 2-line block ×4, first 2 shown]
	s_waitcnt vmcnt(1)
	v_cvt_f32_f16_e32 v26, v30
	v_cvt_f32_f16_sdwa v27, v30 dst_sel:DWORD dst_unused:UNUSED_PAD src0_sel:WORD_1
	v_cvt_f32_f16_e32 v3, v31
	v_cvt_f32_f16_sdwa v2, v31 dst_sel:DWORD dst_unused:UNUSED_PAD src0_sel:WORD_1
	;; [unrolled: 2-line block ×3, first 2 shown]
	v_cvt_f32_f16_sdwa v29, v33 dst_sel:DWORD dst_unused:UNUSED_PAD src0_sel:WORD_1
	v_cvt_f32_f16_e32 v30, v33
	s_waitcnt vmcnt(0)
	v_cvt_f32_f16_sdwa v31, v34 dst_sel:DWORD dst_unused:UNUSED_PAD src0_sel:WORD_1
	v_cvt_f32_f16_e32 v32, v34
	v_cvt_f32_f16_sdwa v33, v35 dst_sel:DWORD dst_unused:UNUSED_PAD src0_sel:WORD_1
	v_cvt_f32_f16_e32 v34, v35
	v_cvt_f32_f16_e32 v35, v37
	;; [unrolled: 1-line block ×3, first 2 shown]
	v_cvt_f32_f16_sdwa v36, v36 dst_sel:DWORD dst_unused:UNUSED_PAD src0_sel:WORD_1
	v_cvt_f32_f16_sdwa v37, v37 dst_sel:DWORD dst_unused:UNUSED_PAD src0_sel:WORD_1
	buffer_store_dword v35, off, s[0:3], 0 offset:120
	buffer_store_dword v38, off, s[0:3], 0 offset:112
	;; [unrolled: 1-line block ×15, first 2 shown]
	buffer_store_dword v11, off, s[0:3], 0
	buffer_store_dword v37, off, s[0:3], 0 offset:124
	buffer_store_dword v36, off, s[0:3], 0 offset:116
	;; [unrolled: 1-line block ×16, first 2 shown]
	s_and_saveexec_b64 s[8:9], s[6:7]
	s_cbranch_execz .LBB198_6
; %bb.5:
	global_load_ushort v4, v[4:5], off offset:1024
	s_mov_b32 s10, 0x3fb8aa3b
	s_mov_b32 s11, 0x32a5705f
	;; [unrolled: 1-line block ×4, first 2 shown]
	v_mov_b32_e32 v29, 0x7f800000
	v_mul_lo_u32 v5, v6, s15
	s_waitcnt vmcnt(0)
	v_cvt_f32_f16_e64 v10, -v4
	v_mul_f32_e32 v30, 0x3fb8aa3b, v10
	v_rndne_f32_e32 v31, v30
	v_fma_mix_f32 v32, -v4, s10, -v30 op_sel_hi:[1,0,0]
	v_sub_f32_e32 v30, v30, v31
	v_fma_mix_f32 v4, -v4, s11, v32 op_sel_hi:[1,0,0]
	v_add_f32_e32 v4, v30, v4
	v_cvt_i32_f32_e32 v31, v31
	v_exp_f32_e32 v30, v4
	v_cmp_ngt_f32_e32 vcc, s16, v10
	v_add_u32_e32 v4, s12, v5
	v_ashrrev_i32_e32 v5, 31, v4
	v_ldexp_f32 v30, v30, v31
	v_cndmask_b32_e32 v30, 0, v30, vcc
	v_cmp_nlt_f32_e32 vcc, s17, v10
	v_cndmask_b32_e32 v10, v29, v30, vcc
	v_add_f32_e32 v10, 1.0, v10
	v_div_scale_f32 v29, s[10:11], v10, v10, 1.0
	v_rcp_f32_e32 v30, v29
	v_div_scale_f32 v31, vcc, 1.0, v10, 1.0
	v_lshlrev_b64 v[4:5], 2, v[4:5]
	v_fma_f32 v33, -v29, v30, 1.0
	v_fmac_f32_e32 v30, v33, v30
	v_mul_f32_e32 v33, v31, v30
	v_fma_f32 v34, -v29, v33, v31
	v_fmac_f32_e32 v33, v34, v30
	v_fma_f32 v29, -v29, v33, v31
	v_mov_b32_e32 v32, s21
	v_div_fmas_f32 v29, v29, v30, v33
	v_add_co_u32_e32 v4, vcc, s20, v4
	v_div_fixup_f32 v10, v29, v10, 1.0
	v_addc_co_u32_e32 v5, vcc, v32, v5, vcc
	global_store_dword v[4:5], v10, off
.LBB198_6:
	s_or_b64 exec, exec, s[8:9]
	buffer_load_dword v5, off, s[0:3], 0 offset:84
	buffer_load_dword v32, off, s[0:3], 0 offset:88
	;; [unrolled: 1-line block ×11, first 2 shown]
	v_cmp_lt_f16_sdwa vcc, v0, v0 src0_sel:DWORD src1_sel:WORD_1
	v_or_b32_e32 v10, 1, v9
	v_cndmask_b32_e32 v4, v11, v28, vcc
	v_cndmask_b32_e32 v0, v9, v10, vcc
	v_cmp_lt_f32_e32 vcc, v4, v12
	v_or_b32_e32 v11, 2, v9
	v_cndmask_b32_e32 v4, v4, v12, vcc
	v_cndmask_b32_e32 v0, v0, v11, vcc
	v_cmp_lt_f32_e32 vcc, v4, v13
	;; [unrolled: 4-line block ×19, first 2 shown]
	v_or_b32_e32 v29, 20, v9
	v_cndmask_b32_e32 v1, v2, v1, vcc
	v_cndmask_b32_e32 v0, v0, v29, vcc
	s_waitcnt vmcnt(10)
	v_cmp_lt_f32_e32 vcc, v1, v5
	v_or_b32_e32 v30, 21, v9
	v_cndmask_b32_e32 v1, v1, v5, vcc
	v_cndmask_b32_e32 v0, v0, v30, vcc
	s_waitcnt vmcnt(9)
	v_cmp_lt_f32_e32 vcc, v1, v32
	;; [unrolled: 5-line block ×10, first 2 shown]
	v_or_b32_e32 v39, 30, v9
	v_cndmask_b32_e32 v1, v1, v40, vcc
	v_cndmask_b32_e32 v0, v0, v39, vcc
	v_or_b32_e32 v40, 31, v9
	s_waitcnt vmcnt(0)
	v_cmp_lt_f32_e32 vcc, v1, v43
	v_cndmask_b32_e32 v0, v0, v40, vcc
	v_cndmask_b32_e32 v1, v1, v43, vcc
	s_nop 0
	v_mov_b32_dpp v2, v0 quad_perm:[1,0,3,2] row_mask:0xf bank_mask:0xf
	v_mov_b32_dpp v3, v1 quad_perm:[1,0,3,2] row_mask:0xf bank_mask:0xf
	v_cmp_eq_f32_e64 s[8:9], v1, v3
	v_cmp_lt_i32_e64 s[10:11], v2, v0
	v_cmp_lt_f32_e32 vcc, v1, v3
	s_and_b64 s[8:9], s[8:9], s[10:11]
	s_or_b64 vcc, vcc, s[8:9]
	v_cndmask_b32_e32 v1, v1, v3, vcc
	v_cndmask_b32_e32 v0, v0, v2, vcc
	s_nop 0
	v_mov_b32_dpp v3, v1 quad_perm:[2,3,0,1] row_mask:0xf bank_mask:0xf
	v_mov_b32_dpp v2, v0 quad_perm:[2,3,0,1] row_mask:0xf bank_mask:0xf
	v_cmp_eq_f32_e64 s[8:9], v1, v3
	v_cmp_lt_i32_e64 s[10:11], v2, v0
	v_cmp_lt_f32_e32 vcc, v1, v3
	s_and_b64 s[8:9], s[8:9], s[10:11]
	s_or_b64 vcc, vcc, s[8:9]
	v_cndmask_b32_e32 v1, v1, v3, vcc
	v_cndmask_b32_e32 v2, v0, v2, vcc
	s_nop 0
	v_mov_b32_dpp v0, v1 row_half_mirror row_mask:0xf bank_mask:0xf
	v_mov_b32_dpp v3, v2 row_half_mirror row_mask:0xf bank_mask:0xf
	v_cmp_eq_f32_e64 s[8:9], v1, v0
	v_cmp_lt_i32_e64 s[10:11], v3, v2
	v_cmp_lt_f32_e32 vcc, v1, v0
	s_and_b64 s[8:9], s[8:9], s[10:11]
	s_or_b64 vcc, vcc, s[8:9]
	s_cmp_gt_i32 s12, 0
	v_cndmask_b32_e32 v0, v1, v0, vcc
	v_cndmask_b32_e32 v1, v2, v3, vcc
	s_cselect_b64 s[24:25], -1, 0
	v_mov_b32_dpp v3, v0 row_mirror row_mask:0xf bank_mask:0xf
	v_mov_b32_dpp v2, v1 row_mirror row_mask:0xf bank_mask:0xf
	s_and_b64 vcc, exec, s[24:25]
	s_cbranch_vccz .LBB198_18
; %bb.7:
	s_load_dwordx4 s[16:19], s[4:5], 0x20
	v_cmp_eq_f32_e64 s[8:9], v0, v3
	v_cmp_lt_i32_e64 s[10:11], v2, v1
	v_cmp_lt_f32_e32 vcc, v0, v3
	s_and_b64 s[8:9], s[8:9], s[10:11]
	s_or_b64 vcc, vcc, s[8:9]
	v_cndmask_b32_e32 v44, v1, v2, vcc
	v_cndmask_b32_e32 v43, v0, v3, vcc
	v_mul_lo_u32 v4, v6, s15
	v_mul_lo_u32 v2, v6, s26
	;; [unrolled: 1-line block ×3, first 2 shown]
	v_mov_b32_e32 v8, 0
	s_and_saveexec_b64 s[8:9], s[6:7]
	s_cbranch_execz .LBB198_9
; %bb.8:
	v_sub_f32_e32 v1, v43, v43
	v_mul_f32_e32 v3, 0x3fb8aa3b, v1
	s_mov_b32 s4, 0x3fb8aa3b
	v_rndne_f32_e32 v5, v3
	v_sub_f32_e32 v8, v3, v5
	v_fma_f32 v3, v1, s4, -v3
	v_fmac_f32_e32 v3, 0x32a5705f, v1
	v_add_f32_e32 v3, v8, v3
	v_exp_f32_e32 v3, v3
	v_cvt_i32_f32_e32 v5, v5
	v_cmp_le_i32_e32 vcc, s13, v44
	v_cmp_gt_i32_e64 s[4:5], s14, v44
	s_mov_b32 s10, 0xc2ce8ed0
	s_and_b64 s[4:5], vcc, s[4:5]
	v_ldexp_f32 v3, v3, v5
	v_cmp_ngt_f32_e32 vcc, s10, v1
	s_mov_b32 s10, 0x42b17218
	v_cndmask_b32_e32 v3, 0, v3, vcc
	v_mov_b32_e32 v5, 0x7f800000
	v_cmp_nlt_f32_e32 vcc, s10, v1
	v_cndmask_b32_e32 v8, v5, v3, vcc
	v_ashrrev_i32_e32 v5, 31, v4
	v_lshlrev_b64 v[46:47], 2, v[4:5]
	v_mov_b32_e32 v1, s21
	v_add_co_u32_e32 v46, vcc, s20, v46
	v_addc_co_u32_e32 v47, vcc, v1, v47, vcc
	v_subrev_u32_e32 v1, s13, v44
	v_mov_b32_e32 v3, 0x200
	s_and_b64 vcc, s[22:23], s[4:5]
	v_cndmask_b32_e32 v1, v3, v1, vcc
	v_ashrrev_i32_e32 v3, 31, v2
	global_store_dword v[46:47], v8, off
	v_lshlrev_b64 v[46:47], 2, v[2:3]
	s_waitcnt lgkmcnt(0)
	v_mov_b32_e32 v3, s17
	v_add_co_u32_e32 v46, vcc, s16, v46
	v_addc_co_u32_e32 v47, vcc, v3, v47, vcc
	global_store_dword v[46:47], v1, off
	v_ashrrev_i32_e32 v1, 31, v0
	v_lshlrev_b64 v[46:47], 2, v[0:1]
	v_mov_b32_e32 v1, s19
	v_add_co_u32_e32 v46, vcc, s18, v46
	v_addc_co_u32_e32 v47, vcc, v1, v47, vcc
	global_store_dword v[46:47], v6, off
.LBB198_9:
	s_or_b64 exec, exec, s[8:9]
	v_ashrrev_i32_e32 v3, 31, v44
	v_lshrrev_b32_e32 v1, 27, v3
	v_add_u32_e32 v1, v44, v1
	v_ashrrev_i32_e32 v1, 5, v1
	v_lshrrev_b32_e32 v5, 28, v1
	v_add_u32_e32 v5, v1, v5
	v_and_b32_e32 v5, -16, v5
	v_sub_u32_e32 v5, v1, v5
	v_cmp_eq_u32_e32 vcc, v7, v5
	s_and_saveexec_b64 s[4:5], vcc
	s_cbranch_execz .LBB198_11
; %bb.10:
	v_lshrrev_b32_e32 v3, 23, v3
	v_add_u32_e32 v3, v44, v3
	v_lshlrev_b32_e32 v1, 5, v1
	v_ashrrev_i32_e32 v3, 9, v3
	v_sub_u32_e32 v1, v44, v1
	v_lshl_add_u32 v1, v3, 5, v1
	v_mov_b32_e32 v3, 0
	v_lshl_add_u32 v1, v1, 2, v3
	v_mov_b32_e32 v3, 0xff800000
	buffer_store_dword v3, v1, s[0:3], 0 offen
.LBB198_11:
	s_or_b64 exec, exec, s[4:5]
	s_cmp_eq_u32 s12, 1
	s_cbranch_scc1 .LBB198_18
; %bb.12:
	s_add_i32 s29, s29, s28
	s_add_i32 s10, s12, -1
	v_add3_u32 v41, s29, v42, v41
	v_add_u32_e32 v0, 1, v0
	v_add_u32_e32 v2, 1, v2
	;; [unrolled: 1-line block ×3, first 2 shown]
	s_mov_b32 s11, 0x3fb8aa3b
	s_mov_b32 s26, 0xc2ce8ed0
	s_mov_b32 s27, 0x42b17218
	v_mov_b32_e32 v42, 0
	v_mov_b32_e32 v44, 0xff800000
	;; [unrolled: 1-line block ×4, first 2 shown]
	s_branch .LBB198_14
.LBB198_13:                             ;   in Loop: Header=BB198_14 Depth=1
	s_or_b64 exec, exec, s[4:5]
	s_add_i32 s10, s10, -1
	v_add_u32_e32 v41, s28, v41
	v_add_u32_e32 v0, 1, v0
	;; [unrolled: 1-line block ×3, first 2 shown]
	s_cmp_eq_u32 s10, 0
	v_add_u32_e32 v4, 1, v4
	s_cbranch_scc1 .LBB198_18
.LBB198_14:                             ; =>This Inner Loop Header: Depth=1
	buffer_load_dword v1, off, s[0:3], 0
	buffer_load_dword v3, off, s[0:3], 0 offset:4
	buffer_load_dword v5, off, s[0:3], 0 offset:8
	;; [unrolled: 1-line block ×15, first 2 shown]
	s_waitcnt vmcnt(14)
	v_cmp_gt_f32_e32 vcc, v3, v1
	v_cndmask_b32_e32 v1, v1, v3, vcc
	v_cndmask_b32_e32 v60, v9, v10, vcc
	s_waitcnt vmcnt(13)
	v_cmp_gt_f32_e32 vcc, v5, v1
	v_cndmask_b32_e32 v1, v1, v5, vcc
	buffer_load_dword v5, off, s[0:3], 0 offset:64
	v_cndmask_b32_e32 v3, v60, v11, vcc
	s_waitcnt vmcnt(13)
	v_cmp_gt_f32_e32 vcc, v47, v1
	v_cndmask_b32_e32 v1, v1, v47, vcc
	v_cndmask_b32_e32 v3, v3, v12, vcc
	s_waitcnt vmcnt(12)
	v_cmp_gt_f32_e32 vcc, v48, v1
	v_cndmask_b32_e32 v1, v1, v48, vcc
	;; [unrolled: 4-line block ×14, first 2 shown]
	buffer_load_dword v5, off, s[0:3], 0 offset:68
	v_cndmask_b32_e32 v3, v3, v25, vcc
	s_waitcnt vmcnt(0)
	v_cmp_gt_f32_e32 vcc, v5, v1
	v_cndmask_b32_e32 v1, v1, v5, vcc
	buffer_load_dword v5, off, s[0:3], 0 offset:72
	v_cndmask_b32_e32 v3, v3, v26, vcc
	s_waitcnt vmcnt(0)
	v_cmp_gt_f32_e32 vcc, v5, v1
	v_cndmask_b32_e32 v1, v1, v5, vcc
	buffer_load_dword v5, off, s[0:3], 0 offset:76
	v_cndmask_b32_e32 v3, v3, v27, vcc
	s_waitcnt vmcnt(0)
	v_cmp_gt_f32_e32 vcc, v5, v1
	v_cndmask_b32_e32 v1, v1, v5, vcc
	buffer_load_dword v5, off, s[0:3], 0 offset:80
	v_cndmask_b32_e32 v3, v3, v28, vcc
	s_waitcnt vmcnt(0)
	v_cmp_gt_f32_e32 vcc, v5, v1
	v_cndmask_b32_e32 v1, v1, v5, vcc
	buffer_load_dword v5, off, s[0:3], 0 offset:84
	v_cndmask_b32_e32 v3, v3, v29, vcc
	s_waitcnt vmcnt(0)
	v_cmp_gt_f32_e32 vcc, v5, v1
	v_cndmask_b32_e32 v1, v1, v5, vcc
	buffer_load_dword v5, off, s[0:3], 0 offset:88
	v_cndmask_b32_e32 v3, v3, v30, vcc
	s_waitcnt vmcnt(0)
	v_cmp_gt_f32_e32 vcc, v5, v1
	v_cndmask_b32_e32 v1, v1, v5, vcc
	buffer_load_dword v5, off, s[0:3], 0 offset:92
	v_cndmask_b32_e32 v3, v3, v31, vcc
	s_waitcnt vmcnt(0)
	v_cmp_gt_f32_e32 vcc, v5, v1
	v_cndmask_b32_e32 v1, v1, v5, vcc
	buffer_load_dword v5, off, s[0:3], 0 offset:96
	v_cndmask_b32_e32 v3, v3, v32, vcc
	s_waitcnt vmcnt(0)
	v_cmp_gt_f32_e32 vcc, v5, v1
	v_cndmask_b32_e32 v1, v1, v5, vcc
	buffer_load_dword v5, off, s[0:3], 0 offset:100
	v_cndmask_b32_e32 v3, v3, v33, vcc
	s_waitcnt vmcnt(0)
	v_cmp_gt_f32_e32 vcc, v5, v1
	v_cndmask_b32_e32 v1, v1, v5, vcc
	buffer_load_dword v5, off, s[0:3], 0 offset:104
	v_cndmask_b32_e32 v3, v3, v34, vcc
	s_waitcnt vmcnt(0)
	v_cmp_gt_f32_e32 vcc, v5, v1
	v_cndmask_b32_e32 v1, v1, v5, vcc
	buffer_load_dword v5, off, s[0:3], 0 offset:108
	v_cndmask_b32_e32 v3, v3, v35, vcc
	s_waitcnt vmcnt(0)
	v_cmp_gt_f32_e32 vcc, v5, v1
	v_cndmask_b32_e32 v1, v1, v5, vcc
	buffer_load_dword v5, off, s[0:3], 0 offset:112
	v_cndmask_b32_e32 v3, v3, v36, vcc
	s_waitcnt vmcnt(0)
	v_cmp_gt_f32_e32 vcc, v5, v1
	v_cndmask_b32_e32 v1, v1, v5, vcc
	buffer_load_dword v5, off, s[0:3], 0 offset:116
	v_cndmask_b32_e32 v3, v3, v37, vcc
	s_waitcnt vmcnt(0)
	v_cmp_gt_f32_e32 vcc, v5, v1
	v_cndmask_b32_e32 v1, v1, v5, vcc
	buffer_load_dword v5, off, s[0:3], 0 offset:120
	v_cndmask_b32_e32 v3, v3, v38, vcc
	s_waitcnt vmcnt(0)
	v_cmp_gt_f32_e32 vcc, v5, v1
	v_cndmask_b32_e32 v1, v1, v5, vcc
	buffer_load_dword v5, off, s[0:3], 0 offset:124
	v_cndmask_b32_e32 v3, v3, v39, vcc
	s_waitcnt vmcnt(0)
	v_cmp_gt_f32_e32 vcc, v5, v1
	v_cndmask_b32_e32 v3, v3, v40, vcc
	v_cndmask_b32_e32 v1, v1, v5, vcc
	s_nop 0
	v_mov_b32_dpp v5, v3 quad_perm:[1,0,3,2] row_mask:0xf bank_mask:0xf
	v_mov_b32_dpp v47, v1 quad_perm:[1,0,3,2] row_mask:0xf bank_mask:0xf
	v_cmp_eq_f32_e64 s[4:5], v1, v47
	v_cmp_lt_i32_e64 s[8:9], v5, v3
	v_cmp_lt_f32_e32 vcc, v1, v47
	s_and_b64 s[4:5], s[4:5], s[8:9]
	s_or_b64 vcc, vcc, s[4:5]
	v_cndmask_b32_e32 v1, v1, v47, vcc
	v_cndmask_b32_e32 v3, v3, v5, vcc
	s_nop 0
	v_mov_b32_dpp v47, v1 quad_perm:[2,3,0,1] row_mask:0xf bank_mask:0xf
	v_mov_b32_dpp v5, v3 quad_perm:[2,3,0,1] row_mask:0xf bank_mask:0xf
	v_cmp_eq_f32_e64 s[4:5], v1, v47
	v_cmp_lt_i32_e64 s[8:9], v5, v3
	v_cmp_lt_f32_e32 vcc, v1, v47
	s_and_b64 s[4:5], s[4:5], s[8:9]
	s_or_b64 vcc, vcc, s[4:5]
	v_cndmask_b32_e32 v1, v1, v47, vcc
	v_cndmask_b32_e32 v3, v3, v5, vcc
	s_nop 0
	v_mov_b32_dpp v47, v1 row_half_mirror row_mask:0xf bank_mask:0xf
	v_mov_b32_dpp v5, v3 row_half_mirror row_mask:0xf bank_mask:0xf
	v_cmp_eq_f32_e64 s[4:5], v1, v47
	v_cmp_lt_i32_e64 s[8:9], v5, v3
	v_cmp_lt_f32_e32 vcc, v1, v47
	s_and_b64 s[4:5], s[4:5], s[8:9]
	s_or_b64 vcc, vcc, s[4:5]
	v_cndmask_b32_e32 v1, v1, v47, vcc
	v_cndmask_b32_e32 v5, v3, v5, vcc
	s_nop 0
	v_mov_b32_dpp v3, v1 row_mirror row_mask:0xf bank_mask:0xf
	v_mov_b32_dpp v47, v5 row_mirror row_mask:0xf bank_mask:0xf
	v_cmp_eq_f32_e64 s[4:5], v1, v3
	v_cmp_lt_i32_e64 s[8:9], v47, v5
	v_cmp_lt_f32_e32 vcc, v1, v3
	s_and_b64 s[4:5], s[4:5], s[8:9]
	s_or_b64 vcc, vcc, s[4:5]
	v_cndmask_b32_e32 v47, v5, v47, vcc
	s_and_saveexec_b64 s[8:9], s[6:7]
	s_cbranch_execz .LBB198_16
; %bb.15:                               ;   in Loop: Header=BB198_14 Depth=1
	v_cndmask_b32_e32 v1, v1, v3, vcc
	v_sub_f32_e32 v1, v1, v43
	v_mul_f32_e32 v3, 0x3fb8aa3b, v1
	v_fma_f32 v5, v1, s11, -v3
	v_rndne_f32_e32 v48, v3
	v_fmac_f32_e32 v5, 0x32a5705f, v1
	v_sub_f32_e32 v3, v3, v48
	v_add_f32_e32 v3, v3, v5
	v_exp_f32_e32 v3, v3
	v_cvt_i32_f32_e32 v5, v48
	v_cmp_le_i32_e32 vcc, s13, v47
	v_cmp_gt_i32_e64 s[4:5], s14, v47
	s_and_b64 s[4:5], vcc, s[4:5]
	v_ldexp_f32 v3, v3, v5
	v_cmp_ngt_f32_e32 vcc, s26, v1
	v_ashrrev_i32_e32 v5, 31, v4
	v_cndmask_b32_e32 v3, 0, v3, vcc
	v_cmp_nlt_f32_e32 vcc, s27, v1
	v_lshlrev_b64 v[48:49], 2, v[4:5]
	v_cndmask_b32_e32 v50, v45, v3, vcc
	v_mov_b32_e32 v1, s21
	v_add_co_u32_e32 v48, vcc, s20, v48
	v_addc_co_u32_e32 v49, vcc, v1, v49, vcc
	v_ashrrev_i32_e32 v3, 31, v2
	global_store_dword v[48:49], v50, off
	v_subrev_u32_e32 v1, s13, v47
	s_and_b64 vcc, s[22:23], s[4:5]
	v_lshlrev_b64 v[48:49], 2, v[2:3]
	v_cndmask_b32_e32 v1, v46, v1, vcc
	s_waitcnt lgkmcnt(0)
	v_mov_b32_e32 v3, s17
	v_add_co_u32_e32 v48, vcc, s16, v48
	v_addc_co_u32_e32 v49, vcc, v3, v49, vcc
	global_store_dword v[48:49], v1, off
	v_ashrrev_i32_e32 v1, 31, v0
	v_lshlrev_b64 v[48:49], 2, v[0:1]
	v_mov_b32_e32 v1, s19
	v_add_co_u32_e32 v48, vcc, s18, v48
	v_addc_co_u32_e32 v49, vcc, v1, v49, vcc
	v_add_f32_e32 v8, v8, v50
	global_store_dword v[48:49], v41, off
.LBB198_16:                             ;   in Loop: Header=BB198_14 Depth=1
	s_or_b64 exec, exec, s[8:9]
	v_ashrrev_i32_e32 v3, 31, v47
	v_lshrrev_b32_e32 v1, 27, v3
	v_add_u32_e32 v1, v47, v1
	v_ashrrev_i32_e32 v1, 5, v1
	v_lshrrev_b32_e32 v5, 28, v1
	v_add_u32_e32 v5, v1, v5
	v_and_b32_e32 v5, -16, v5
	v_sub_u32_e32 v5, v1, v5
	v_cmp_eq_u32_e32 vcc, v7, v5
	s_and_saveexec_b64 s[4:5], vcc
	s_cbranch_execz .LBB198_13
; %bb.17:                               ;   in Loop: Header=BB198_14 Depth=1
	v_lshrrev_b32_e32 v3, 23, v3
	v_add_u32_e32 v3, v47, v3
	v_lshlrev_b32_e32 v1, 5, v1
	v_ashrrev_i32_e32 v3, 9, v3
	v_sub_u32_e32 v1, v47, v1
	v_lshl_add_u32 v1, v3, 5, v1
	v_lshl_add_u32 v1, v1, 2, v42
	buffer_store_dword v44, v1, s[0:3], 0 offen
	s_branch .LBB198_13
.LBB198_18:
	v_cmp_neq_f32_e32 vcc, 0, v8
	s_and_b64 s[4:5], s[6:7], vcc
	s_and_b64 exec, exec, s[4:5]
	s_cbranch_execz .LBB198_29
; %bb.19:
	s_andn2_b64 vcc, exec, s[24:25]
	s_cbranch_vccnz .LBB198_29
; %bb.20:
	v_div_scale_f32 v0, s[4:5], v8, v8, 1.0
	v_rcp_f32_e32 v1, v0
	v_div_scale_f32 v2, vcc, 1.0, v8, 1.0
	s_cmp_gt_u32 s12, 3
	v_fma_f32 v3, -v0, v1, 1.0
	v_fmac_f32_e32 v1, v3, v1
	v_mul_f32_e32 v3, v2, v1
	v_fma_f32 v4, -v0, v3, v2
	v_fmac_f32_e32 v3, v4, v1
	v_fma_f32 v0, -v0, v3, v2
	v_div_fmas_f32 v0, v0, v1, v3
	v_mul_lo_u32 v2, v6, s15
	v_div_fixup_f32 v0, v0, v8, 1.0
	v_ashrrev_i32_e32 v3, 31, v2
	s_cbranch_scc0 .LBB198_24
; %bb.21:
	v_lshlrev_b64 v[4:5], 2, v[2:3]
	v_mov_b32_e32 v6, s21
	v_add_co_u32_e32 v4, vcc, s20, v4
	v_addc_co_u32_e32 v5, vcc, v5, v6, vcc
	s_and_b32 s8, s12, 0x7ffffffc
	v_add_co_u32_e32 v4, vcc, 8, v4
	v_mov_b32_e32 v1, v0
	v_addc_co_u32_e32 v5, vcc, 0, v5, vcc
	s_mov_b32 s4, s8
.LBB198_22:                             ; =>This Inner Loop Header: Depth=1
	global_load_dwordx4 v[6:9], v[4:5], off offset:-8
	s_add_i32 s4, s4, -4
	s_cmp_lg_u32 s4, 0
	s_waitcnt vmcnt(0)
	v_pk_mul_f32 v[6:7], v[0:1], v[6:7]
	v_pk_mul_f32 v[8:9], v[0:1], v[8:9]
	global_store_dwordx4 v[4:5], v[6:9], off offset:-8
	v_add_co_u32_e32 v4, vcc, 16, v4
	v_addc_co_u32_e32 v5, vcc, 0, v5, vcc
	s_cbranch_scc1 .LBB198_22
; %bb.23:
	s_cmp_lg_u32 s8, s12
	s_cselect_b64 s[4:5], -1, 0
	s_branch .LBB198_26
.LBB198_24:
	s_mov_b64 s[4:5], 0
                                        ; implicit-def: $sgpr8
	s_cbranch_execz .LBB198_26
; %bb.25:
	s_mov_b64 s[4:5], -1
	s_mov_b32 s8, 0
.LBB198_26:
	s_andn2_b64 vcc, exec, s[4:5]
	s_cbranch_vccnz .LBB198_29
; %bb.27:
	v_add_co_u32_e32 v2, vcc, s8, v2
	v_addc_co_u32_e32 v3, vcc, 0, v3, vcc
	v_lshlrev_b64 v[2:3], 2, v[2:3]
	v_mov_b32_e32 v1, s21
	v_add_co_u32_e32 v2, vcc, s20, v2
	s_sub_i32 s4, s12, s8
	v_addc_co_u32_e32 v3, vcc, v1, v3, vcc
.LBB198_28:                             ; =>This Inner Loop Header: Depth=1
	global_load_dword v1, v[2:3], off
	s_add_i32 s4, s4, -1
	s_cmp_lg_u32 s4, 0
	s_waitcnt vmcnt(0)
	v_mul_f32_e32 v1, v0, v1
	global_store_dword v[2:3], v1, off
	v_add_co_u32_e32 v2, vcc, 4, v2
	v_addc_co_u32_e32 v3, vcc, 0, v3, vcc
	s_cbranch_scc1 .LBB198_28
.LBB198_29:
	s_endpgm
	.section	.rodata,"a",@progbits
	.p2align	6, 0x0
	.amdhsa_kernel _ZN4vllm3moe17topkGatingSoftmaxIDF16_Li32ELi512ELi2ELi64ELb1ELi1ELNS0_23SharedExpertScoringFuncE1EEEvPKT_PKbPfiPiS9_iiiiii
		.amdhsa_group_segment_fixed_size 0
		.amdhsa_private_segment_fixed_size 144
		.amdhsa_kernarg_size 72
		.amdhsa_user_sgpr_count 8
		.amdhsa_user_sgpr_private_segment_buffer 1
		.amdhsa_user_sgpr_dispatch_ptr 0
		.amdhsa_user_sgpr_queue_ptr 0
		.amdhsa_user_sgpr_kernarg_segment_ptr 1
		.amdhsa_user_sgpr_dispatch_id 0
		.amdhsa_user_sgpr_flat_scratch_init 1
		.amdhsa_user_sgpr_kernarg_preload_length 0
		.amdhsa_user_sgpr_kernarg_preload_offset 0
		.amdhsa_user_sgpr_private_segment_size 0
		.amdhsa_uses_dynamic_stack 0
		.amdhsa_system_sgpr_private_segment_wavefront_offset 1
		.amdhsa_system_sgpr_workgroup_id_x 1
		.amdhsa_system_sgpr_workgroup_id_y 0
		.amdhsa_system_sgpr_workgroup_id_z 0
		.amdhsa_system_sgpr_workgroup_info 0
		.amdhsa_system_vgpr_workitem_id 1
		.amdhsa_next_free_vgpr 61
		.amdhsa_next_free_sgpr 30
		.amdhsa_accum_offset 64
		.amdhsa_reserve_vcc 1
		.amdhsa_reserve_flat_scratch 0
		.amdhsa_float_round_mode_32 0
		.amdhsa_float_round_mode_16_64 0
		.amdhsa_float_denorm_mode_32 3
		.amdhsa_float_denorm_mode_16_64 3
		.amdhsa_dx10_clamp 1
		.amdhsa_ieee_mode 1
		.amdhsa_fp16_overflow 0
		.amdhsa_tg_split 0
		.amdhsa_exception_fp_ieee_invalid_op 0
		.amdhsa_exception_fp_denorm_src 0
		.amdhsa_exception_fp_ieee_div_zero 0
		.amdhsa_exception_fp_ieee_overflow 0
		.amdhsa_exception_fp_ieee_underflow 0
		.amdhsa_exception_fp_ieee_inexact 0
		.amdhsa_exception_int_div_zero 0
	.end_amdhsa_kernel
	.section	.text._ZN4vllm3moe17topkGatingSoftmaxIDF16_Li32ELi512ELi2ELi64ELb1ELi1ELNS0_23SharedExpertScoringFuncE1EEEvPKT_PKbPfiPiS9_iiiiii,"axG",@progbits,_ZN4vllm3moe17topkGatingSoftmaxIDF16_Li32ELi512ELi2ELi64ELb1ELi1ELNS0_23SharedExpertScoringFuncE1EEEvPKT_PKbPfiPiS9_iiiiii,comdat
.Lfunc_end198:
	.size	_ZN4vllm3moe17topkGatingSoftmaxIDF16_Li32ELi512ELi2ELi64ELb1ELi1ELNS0_23SharedExpertScoringFuncE1EEEvPKT_PKbPfiPiS9_iiiiii, .Lfunc_end198-_ZN4vllm3moe17topkGatingSoftmaxIDF16_Li32ELi512ELi2ELi64ELb1ELi1ELNS0_23SharedExpertScoringFuncE1EEEvPKT_PKbPfiPiS9_iiiiii
                                        ; -- End function
	.section	.AMDGPU.csdata,"",@progbits
; Kernel info:
; codeLenInByte = 3988
; NumSgprs: 34
; NumVgprs: 61
; NumAgprs: 0
; TotalNumVgprs: 61
; ScratchSize: 144
; MemoryBound: 0
; FloatMode: 240
; IeeeMode: 1
; LDSByteSize: 0 bytes/workgroup (compile time only)
; SGPRBlocks: 4
; VGPRBlocks: 7
; NumSGPRsForWavesPerEU: 34
; NumVGPRsForWavesPerEU: 61
; AccumOffset: 64
; Occupancy: 8
; WaveLimiterHint : 0
; COMPUTE_PGM_RSRC2:SCRATCH_EN: 1
; COMPUTE_PGM_RSRC2:USER_SGPR: 8
; COMPUTE_PGM_RSRC2:TRAP_HANDLER: 0
; COMPUTE_PGM_RSRC2:TGID_X_EN: 1
; COMPUTE_PGM_RSRC2:TGID_Y_EN: 0
; COMPUTE_PGM_RSRC2:TGID_Z_EN: 0
; COMPUTE_PGM_RSRC2:TIDIG_COMP_CNT: 1
; COMPUTE_PGM_RSRC3_GFX90A:ACCUM_OFFSET: 15
; COMPUTE_PGM_RSRC3_GFX90A:TG_SPLIT: 0
	.section	.text._ZN4vllm3moe17topkGatingSoftmaxIDF16_Li32ELi512ELi2ELi64ELb0ELi1ELNS0_23SharedExpertScoringFuncE1EEEvPKT_PKbPfiPiS9_iiiiii,"axG",@progbits,_ZN4vllm3moe17topkGatingSoftmaxIDF16_Li32ELi512ELi2ELi64ELb0ELi1ELNS0_23SharedExpertScoringFuncE1EEEvPKT_PKbPfiPiS9_iiiiii,comdat
	.protected	_ZN4vllm3moe17topkGatingSoftmaxIDF16_Li32ELi512ELi2ELi64ELb0ELi1ELNS0_23SharedExpertScoringFuncE1EEEvPKT_PKbPfiPiS9_iiiiii ; -- Begin function _ZN4vllm3moe17topkGatingSoftmaxIDF16_Li32ELi512ELi2ELi64ELb0ELi1ELNS0_23SharedExpertScoringFuncE1EEEvPKT_PKbPfiPiS9_iiiiii
	.globl	_ZN4vllm3moe17topkGatingSoftmaxIDF16_Li32ELi512ELi2ELi64ELb0ELi1ELNS0_23SharedExpertScoringFuncE1EEEvPKT_PKbPfiPiS9_iiiiii
	.p2align	8
	.type	_ZN4vllm3moe17topkGatingSoftmaxIDF16_Li32ELi512ELi2ELi64ELb0ELi1ELNS0_23SharedExpertScoringFuncE1EEEvPKT_PKbPfiPiS9_iiiiii,@function
_ZN4vllm3moe17topkGatingSoftmaxIDF16_Li32ELi512ELi2ELi64ELb0ELi1ELNS0_23SharedExpertScoringFuncE1EEEvPKT_PKbPfiPiS9_iiiiii: ; @_ZN4vllm3moe17topkGatingSoftmaxIDF16_Li32ELi512ELi2ELi64ELb0ELi1ELNS0_23SharedExpertScoringFuncE1EEEvPKT_PKbPfiPiS9_iiiiii
; %bb.0:
	s_load_dword s26, s[4:5], 0x18
	s_add_u32 s0, s0, s9
	v_bfe_u32 v1, v0, 10, 10
	v_and_b32_e32 v0, 0x3ff, v0
	s_addc_u32 s1, s1, 0
	s_lshl_b32 s27, s8, 3
	v_lshlrev_b32_e32 v42, 2, v1
	v_lshrrev_b32_e32 v43, 4, v0
	v_add3_u32 v6, s27, v42, v43
	s_waitcnt lgkmcnt(0)
	v_cmp_gt_i32_e32 vcc, s26, v6
	s_and_saveexec_b64 s[6:7], vcc
	s_cbranch_execz .LBB199_32
; %bb.1:
	s_load_dwordx4 s[8:11], s[4:5], 0x0
	s_load_dwordx2 s[20:21], s[4:5], 0x10
	s_waitcnt lgkmcnt(0)
	s_cmp_eq_u64 s[10:11], 0
	s_cbranch_scc1 .LBB199_3
; %bb.2:
	v_ashrrev_i32_e32 v1, 31, v6
	v_mov_b32_e32 v3, s11
	v_add_co_u32_e32 v2, vcc, s10, v6
	v_addc_co_u32_e32 v3, vcc, v3, v1, vcc
	global_load_ubyte v1, v[2:3], off
	s_waitcnt vmcnt(0)
	v_and_b32_e32 v1, 1, v1
	v_cmp_eq_u32_e32 vcc, 1, v1
	s_xor_b64 s[6:7], vcc, -1
	s_orn2_b64 s[22:23], s[6:7], exec
	s_branch .LBB199_4
.LBB199_3:
	s_mov_b64 s[22:23], -1
.LBB199_4:
	s_load_dwordx2 s[24:25], s[4:5], 0x40
	s_load_dwordx4 s[12:15], s[4:5], 0x30
	v_mov_b32_e32 v1, s9
	v_and_b32_e32 v9, 15, v0
	v_lshlrev_b32_e32 v0, 6, v9
	s_waitcnt lgkmcnt(0)
	v_mul_lo_u32 v2, v6, s25
	v_ashrrev_i32_e32 v3, 31, v2
	v_lshlrev_b64 v[2:3], 1, v[2:3]
	v_add_co_u32_e32 v4, vcc, s8, v2
	v_addc_co_u32_e32 v5, vcc, v1, v3, vcc
	v_add_co_u32_e32 v10, vcc, v4, v0
	v_addc_co_u32_e32 v11, vcc, 0, v5, vcc
	global_load_dwordx4 v[0:3], v[10:11], off
	global_load_dwordx4 v[24:27], v[10:11], off offset:16
	global_load_dwordx4 v[28:31], v[10:11], off offset:32
	;; [unrolled: 1-line block ×3, first 2 shown]
	v_mov_b32_e32 v7, 0
	v_lshlrev_b32_e32 v10, 5, v9
	v_cmp_eq_u32_e64 s[6:7], 0, v9
	s_waitcnt vmcnt(3)
	v_cvt_f32_f16_e32 v12, v0
	v_cvt_f32_f16_sdwa v15, v0 dst_sel:DWORD dst_unused:UNUSED_PAD src0_sel:WORD_1
	v_cvt_f32_f16_e32 v13, v1
	v_cvt_f32_f16_sdwa v14, v1 dst_sel:DWORD dst_unused:UNUSED_PAD src0_sel:WORD_1
	;; [unrolled: 2-line block ×4, first 2 shown]
	s_waitcnt vmcnt(2)
	v_cvt_f32_f16_e32 v19, v24
	v_cvt_f32_f16_sdwa v20, v24 dst_sel:DWORD dst_unused:UNUSED_PAD src0_sel:WORD_1
	v_cvt_f32_f16_e32 v21, v25
	v_cvt_f32_f16_sdwa v22, v25 dst_sel:DWORD dst_unused:UNUSED_PAD src0_sel:WORD_1
	;; [unrolled: 2-line block ×4, first 2 shown]
	s_waitcnt vmcnt(1)
	v_cvt_f32_f16_e32 v27, v28
	v_cvt_f32_f16_sdwa v28, v28 dst_sel:DWORD dst_unused:UNUSED_PAD src0_sel:WORD_1
	v_cvt_f32_f16_e32 v8, v29
	v_cvt_f32_f16_sdwa v3, v29 dst_sel:DWORD dst_unused:UNUSED_PAD src0_sel:WORD_1
	v_cvt_f32_f16_e32 v2, v30
	s_waitcnt vmcnt(0)
	v_cvt_f32_f16_e32 v37, v35
	v_cvt_f32_f16_e32 v38, v34
	v_cvt_f32_f16_sdwa v36, v33 dst_sel:DWORD dst_unused:UNUSED_PAD src0_sel:WORD_1
	v_cvt_f32_f16_e32 v33, v33
	v_cvt_f32_f16_sdwa v11, v30 dst_sel:DWORD dst_unused:UNUSED_PAD src0_sel:WORD_1
	v_cvt_f32_f16_sdwa v29, v31 dst_sel:DWORD dst_unused:UNUSED_PAD src0_sel:WORD_1
	v_cvt_f32_f16_e32 v30, v31
	v_cvt_f32_f16_sdwa v31, v32 dst_sel:DWORD dst_unused:UNUSED_PAD src0_sel:WORD_1
	v_cvt_f32_f16_e32 v32, v32
	v_cvt_f32_f16_sdwa v34, v34 dst_sel:DWORD dst_unused:UNUSED_PAD src0_sel:WORD_1
	v_cvt_f32_f16_sdwa v35, v35 dst_sel:DWORD dst_unused:UNUSED_PAD src0_sel:WORD_1
	buffer_store_dword v37, off, s[0:3], 0 offset:120
	buffer_store_dword v38, off, s[0:3], 0 offset:112
	;; [unrolled: 1-line block ×15, first 2 shown]
	buffer_store_dword v12, off, s[0:3], 0
	buffer_store_dword v35, off, s[0:3], 0 offset:124
	buffer_store_dword v34, off, s[0:3], 0 offset:116
	;; [unrolled: 1-line block ×16, first 2 shown]
	s_and_saveexec_b64 s[8:9], s[6:7]
	s_cbranch_execz .LBB199_6
; %bb.5:
	global_load_ushort v4, v[4:5], off offset:1024
	s_mov_b32 s10, 0x3fb8aa3b
	s_mov_b32 s11, 0x32a5705f
	;; [unrolled: 1-line block ×4, first 2 shown]
	v_mov_b32_e32 v29, 0x7f800000
	v_mul_lo_u32 v5, v6, s15
	s_waitcnt vmcnt(0)
	v_cvt_f32_f16_e64 v11, -v4
	v_mul_f32_e32 v30, 0x3fb8aa3b, v11
	v_rndne_f32_e32 v31, v30
	v_fma_mix_f32 v32, -v4, s10, -v30 op_sel_hi:[1,0,0]
	v_sub_f32_e32 v30, v30, v31
	v_fma_mix_f32 v4, -v4, s11, v32 op_sel_hi:[1,0,0]
	v_add_f32_e32 v4, v30, v4
	v_cvt_i32_f32_e32 v31, v31
	v_exp_f32_e32 v30, v4
	v_cmp_ngt_f32_e32 vcc, s16, v11
	v_add_u32_e32 v4, s12, v5
	v_ashrrev_i32_e32 v5, 31, v4
	v_ldexp_f32 v30, v30, v31
	v_cndmask_b32_e32 v30, 0, v30, vcc
	v_cmp_nlt_f32_e32 vcc, s17, v11
	v_cndmask_b32_e32 v11, v29, v30, vcc
	v_add_f32_e32 v11, 1.0, v11
	v_div_scale_f32 v29, s[10:11], v11, v11, 1.0
	v_rcp_f32_e32 v30, v29
	v_div_scale_f32 v31, vcc, 1.0, v11, 1.0
	v_lshlrev_b64 v[4:5], 2, v[4:5]
	v_fma_f32 v33, -v29, v30, 1.0
	v_fmac_f32_e32 v30, v33, v30
	v_mul_f32_e32 v33, v31, v30
	v_fma_f32 v34, -v29, v33, v31
	v_fmac_f32_e32 v33, v34, v30
	v_fma_f32 v29, -v29, v33, v31
	v_mov_b32_e32 v32, s21
	v_div_fmas_f32 v29, v29, v30, v33
	v_add_co_u32_e32 v4, vcc, s20, v4
	v_div_fixup_f32 v11, v29, v11, 1.0
	v_addc_co_u32_e32 v5, vcc, v32, v5, vcc
	global_store_dword v[4:5], v11, off
.LBB199_6:
	s_or_b64 exec, exec, s[8:9]
	v_cmp_lt_f16_sdwa vcc, v0, v0 src0_sel:DWORD src1_sel:WORD_1
	v_or_b32_e32 v11, 1, v10
	v_cndmask_b32_e32 v4, v12, v15, vcc
	v_cndmask_b32_e32 v0, v10, v11, vcc
	v_cmp_lt_f32_e32 vcc, v4, v13
	v_or_b32_e32 v12, 2, v10
	v_cndmask_b32_e32 v4, v4, v13, vcc
	buffer_load_dword v5, off, s[0:3], 0 offset:84
	buffer_load_dword v33, off, s[0:3], 0 offset:88
	v_cndmask_b32_e32 v0, v0, v12, vcc
	v_cmp_lt_f32_e32 vcc, v4, v14
	v_or_b32_e32 v13, 3, v10
	v_cndmask_b32_e32 v4, v4, v14, vcc
	v_cndmask_b32_e32 v0, v0, v13, vcc
	v_cmp_lt_f32_e32 vcc, v4, v1
	v_or_b32_e32 v14, 4, v10
	v_cndmask_b32_e32 v4, v4, v1, vcc
	buffer_load_dword v1, off, s[0:3], 0 offset:92
	v_cndmask_b32_e32 v0, v0, v14, vcc
	v_or_b32_e32 v15, 5, v10
	v_cmp_lt_f32_e32 vcc, v4, v16
	v_cndmask_b32_e32 v29, v0, v15, vcc
	buffer_load_dword v0, off, s[0:3], 0 offset:96
	buffer_load_dword v36, off, s[0:3], 0 offset:100
	;; [unrolled: 1-line block ×8, first 2 shown]
	v_cndmask_b32_e32 v4, v4, v16, vcc
	v_cmp_lt_f32_e32 vcc, v4, v17
	v_or_b32_e32 v16, 6, v10
	v_cndmask_b32_e32 v4, v4, v17, vcc
	v_cndmask_b32_e32 v29, v29, v16, vcc
	v_cmp_lt_f32_e32 vcc, v4, v18
	v_or_b32_e32 v17, 7, v10
	v_cndmask_b32_e32 v4, v4, v18, vcc
	;; [unrolled: 4-line block ×15, first 2 shown]
	v_cndmask_b32_e32 v4, v8, v30, vcc
	s_waitcnt vmcnt(10)
	v_cmp_lt_f32_e32 vcc, v2, v5
	v_or_b32_e32 v31, 21, v10
	v_cndmask_b32_e32 v2, v2, v5, vcc
	v_cndmask_b32_e32 v3, v4, v31, vcc
	s_waitcnt vmcnt(9)
	v_cmp_lt_f32_e32 vcc, v2, v33
	v_or_b32_e32 v32, 22, v10
	v_cndmask_b32_e32 v2, v2, v33, vcc
	;; [unrolled: 5-line block ×10, first 2 shown]
	v_cndmask_b32_e32 v3, v3, v40, vcc
	v_or_b32_e32 v41, 31, v10
	s_waitcnt vmcnt(0)
	v_cmp_lt_f32_e32 vcc, v2, v44
	v_cndmask_b32_e32 v3, v3, v41, vcc
	v_cndmask_b32_e32 v2, v2, v44, vcc
	s_nop 0
	v_mov_b32_dpp v4, v3 quad_perm:[1,0,3,2] row_mask:0xf bank_mask:0xf
	v_mov_b32_dpp v5, v2 quad_perm:[1,0,3,2] row_mask:0xf bank_mask:0xf
	v_cmp_eq_f32_e64 s[8:9], v2, v5
	v_cmp_lt_i32_e64 s[10:11], v4, v3
	v_cmp_lt_f32_e32 vcc, v2, v5
	s_and_b64 s[8:9], s[8:9], s[10:11]
	s_or_b64 vcc, vcc, s[8:9]
	v_cndmask_b32_e32 v2, v2, v5, vcc
	v_cndmask_b32_e32 v3, v3, v4, vcc
	s_nop 0
	v_mov_b32_dpp v5, v2 quad_perm:[2,3,0,1] row_mask:0xf bank_mask:0xf
	v_mov_b32_dpp v4, v3 quad_perm:[2,3,0,1] row_mask:0xf bank_mask:0xf
	v_cmp_eq_f32_e64 s[8:9], v2, v5
	v_cmp_lt_i32_e64 s[10:11], v4, v3
	v_cmp_lt_f32_e32 vcc, v2, v5
	s_and_b64 s[8:9], s[8:9], s[10:11]
	s_or_b64 vcc, vcc, s[8:9]
	v_cndmask_b32_e32 v2, v2, v5, vcc
	v_cndmask_b32_e32 v3, v3, v4, vcc
	s_nop 0
	v_mov_b32_dpp v5, v2 row_half_mirror row_mask:0xf bank_mask:0xf
	v_mov_b32_dpp v4, v3 row_half_mirror row_mask:0xf bank_mask:0xf
	v_cmp_eq_f32_e64 s[8:9], v2, v5
	v_cmp_lt_i32_e64 s[10:11], v4, v3
	v_cmp_lt_f32_e32 vcc, v2, v5
	s_and_b64 s[8:9], s[8:9], s[10:11]
	s_or_b64 vcc, vcc, s[8:9]
	v_cndmask_b32_e32 v5, v2, v5, vcc
	v_cndmask_b32_e32 v2, v3, v4, vcc
	s_nop 0
	v_mov_b32_dpp v4, v5 row_mirror row_mask:0xf bank_mask:0xf
	v_mov_b32_dpp v3, v2 row_mirror row_mask:0xf bank_mask:0xf
	v_cmp_eq_f32_e64 s[8:9], v5, v4
	v_cmp_lt_i32_e64 s[10:11], v3, v2
	v_cmp_lt_f32_e32 vcc, v5, v4
	s_and_b64 s[8:9], s[8:9], s[10:11]
	s_or_b64 s[8:9], vcc, s[8:9]
	s_cmp_gt_i32 s12, 0
	s_cselect_b64 s[10:11], -1, 0
	v_cndmask_b32_e64 v8, v5, v4, s[8:9]
	s_and_b64 vcc, exec, s[10:11]
	s_cbranch_vccz .LBB199_19
; %bb.7:
	s_load_dwordx4 s[16:19], s[4:5], 0x20
	v_cndmask_b32_e64 v44, v2, v3, s[8:9]
	v_mul_lo_u32 v4, v6, s15
	v_mul_lo_u32 v2, v6, s24
	;; [unrolled: 1-line block ×3, first 2 shown]
	v_mov_b32_e32 v7, 0
	s_and_saveexec_b64 s[8:9], s[6:7]
	s_cbranch_execz .LBB199_9
; %bb.8:
	v_sub_f32_e32 v1, v8, v8
	v_mul_f32_e32 v3, 0x3fb8aa3b, v1
	s_mov_b32 s4, 0x3fb8aa3b
	v_rndne_f32_e32 v5, v3
	v_sub_f32_e32 v7, v3, v5
	v_fma_f32 v3, v1, s4, -v3
	v_fmac_f32_e32 v3, 0x32a5705f, v1
	v_add_f32_e32 v3, v7, v3
	v_exp_f32_e32 v3, v3
	v_cvt_i32_f32_e32 v5, v5
	v_cmp_le_i32_e32 vcc, s13, v44
	v_cmp_gt_i32_e64 s[4:5], s14, v44
	s_mov_b32 s24, 0xc2ce8ed0
	s_and_b64 s[4:5], vcc, s[4:5]
	v_ldexp_f32 v3, v3, v5
	v_cmp_ngt_f32_e32 vcc, s24, v1
	s_mov_b32 s24, 0x42b17218
	v_cndmask_b32_e32 v3, 0, v3, vcc
	v_mov_b32_e32 v5, 0x7f800000
	v_cmp_nlt_f32_e32 vcc, s24, v1
	v_cndmask_b32_e32 v7, v5, v3, vcc
	v_ashrrev_i32_e32 v5, 31, v4
	v_lshlrev_b64 v[46:47], 2, v[4:5]
	v_mov_b32_e32 v1, s21
	v_add_co_u32_e32 v46, vcc, s20, v46
	v_addc_co_u32_e32 v47, vcc, v1, v47, vcc
	v_subrev_u32_e32 v1, s13, v44
	v_mov_b32_e32 v3, 0x200
	s_and_b64 vcc, s[22:23], s[4:5]
	v_cndmask_b32_e32 v1, v3, v1, vcc
	v_ashrrev_i32_e32 v3, 31, v2
	global_store_dword v[46:47], v7, off
	v_lshlrev_b64 v[46:47], 2, v[2:3]
	s_waitcnt lgkmcnt(0)
	v_mov_b32_e32 v3, s17
	v_add_co_u32_e32 v46, vcc, s16, v46
	v_addc_co_u32_e32 v47, vcc, v3, v47, vcc
	global_store_dword v[46:47], v1, off
	v_ashrrev_i32_e32 v1, 31, v0
	v_lshlrev_b64 v[46:47], 2, v[0:1]
	v_mov_b32_e32 v1, s19
	v_add_co_u32_e32 v46, vcc, s18, v46
	v_addc_co_u32_e32 v47, vcc, v1, v47, vcc
	global_store_dword v[46:47], v6, off
.LBB199_9:
	s_or_b64 exec, exec, s[8:9]
	v_ashrrev_i32_e32 v3, 31, v44
	v_lshrrev_b32_e32 v1, 27, v3
	v_add_u32_e32 v1, v44, v1
	v_ashrrev_i32_e32 v1, 5, v1
	v_lshrrev_b32_e32 v5, 28, v1
	v_add_u32_e32 v5, v1, v5
	v_and_b32_e32 v5, -16, v5
	v_sub_u32_e32 v5, v1, v5
	v_cmp_eq_u32_e32 vcc, v9, v5
	s_and_saveexec_b64 s[4:5], vcc
	s_cbranch_execz .LBB199_11
; %bb.10:
	v_lshrrev_b32_e32 v3, 23, v3
	v_add_u32_e32 v3, v44, v3
	v_lshlrev_b32_e32 v1, 5, v1
	v_ashrrev_i32_e32 v3, 9, v3
	v_sub_u32_e32 v1, v44, v1
	v_lshl_add_u32 v1, v3, 5, v1
	v_mov_b32_e32 v3, 0
	v_lshl_add_u32 v1, v1, 2, v3
	v_mov_b32_e32 v3, 0xff800000
	buffer_store_dword v3, v1, s[0:3], 0 offen
.LBB199_11:
	s_or_b64 exec, exec, s[4:5]
	s_cmp_eq_u32 s12, 1
	s_cbranch_scc1 .LBB199_18
; %bb.12:
	s_add_i32 s27, s27, s26
	s_add_i32 s24, s12, -1
	v_add3_u32 v42, s27, v43, v42
	v_add_u32_e32 v0, 1, v0
	v_add_u32_e32 v2, 1, v2
	;; [unrolled: 1-line block ×3, first 2 shown]
	s_mov_b32 s25, 0x3fb8aa3b
	s_mov_b32 s27, 0xc2ce8ed0
	;; [unrolled: 1-line block ×3, first 2 shown]
	v_mov_b32_e32 v43, 0
	v_mov_b32_e32 v44, 0xff800000
	;; [unrolled: 1-line block ×4, first 2 shown]
	s_branch .LBB199_14
.LBB199_13:                             ;   in Loop: Header=BB199_14 Depth=1
	s_or_b64 exec, exec, s[4:5]
	s_add_i32 s24, s24, -1
	v_add_u32_e32 v42, s26, v42
	v_add_u32_e32 v0, 1, v0
	;; [unrolled: 1-line block ×3, first 2 shown]
	s_cmp_eq_u32 s24, 0
	v_add_u32_e32 v4, 1, v4
	s_cbranch_scc1 .LBB199_18
.LBB199_14:                             ; =>This Inner Loop Header: Depth=1
	buffer_load_dword v1, off, s[0:3], 0
	buffer_load_dword v3, off, s[0:3], 0 offset:4
	buffer_load_dword v5, off, s[0:3], 0 offset:8
	;; [unrolled: 1-line block ×15, first 2 shown]
	s_waitcnt vmcnt(14)
	v_cmp_gt_f32_e32 vcc, v3, v1
	v_cndmask_b32_e32 v1, v1, v3, vcc
	v_cndmask_b32_e32 v60, v10, v11, vcc
	s_waitcnt vmcnt(13)
	v_cmp_gt_f32_e32 vcc, v5, v1
	v_cndmask_b32_e32 v1, v1, v5, vcc
	buffer_load_dword v5, off, s[0:3], 0 offset:64
	v_cndmask_b32_e32 v3, v60, v12, vcc
	s_waitcnt vmcnt(13)
	v_cmp_gt_f32_e32 vcc, v47, v1
	v_cndmask_b32_e32 v1, v1, v47, vcc
	v_cndmask_b32_e32 v3, v3, v13, vcc
	s_waitcnt vmcnt(12)
	v_cmp_gt_f32_e32 vcc, v48, v1
	v_cndmask_b32_e32 v1, v1, v48, vcc
	;; [unrolled: 4-line block ×14, first 2 shown]
	buffer_load_dword v5, off, s[0:3], 0 offset:68
	v_cndmask_b32_e32 v3, v3, v26, vcc
	s_waitcnt vmcnt(0)
	v_cmp_gt_f32_e32 vcc, v5, v1
	v_cndmask_b32_e32 v1, v1, v5, vcc
	buffer_load_dword v5, off, s[0:3], 0 offset:72
	v_cndmask_b32_e32 v3, v3, v27, vcc
	s_waitcnt vmcnt(0)
	v_cmp_gt_f32_e32 vcc, v5, v1
	v_cndmask_b32_e32 v1, v1, v5, vcc
	;; [unrolled: 5-line block ×15, first 2 shown]
	v_cndmask_b32_e32 v1, v1, v5, vcc
	s_nop 0
	v_mov_b32_dpp v5, v3 quad_perm:[1,0,3,2] row_mask:0xf bank_mask:0xf
	v_mov_b32_dpp v47, v1 quad_perm:[1,0,3,2] row_mask:0xf bank_mask:0xf
	v_cmp_eq_f32_e64 s[4:5], v1, v47
	v_cmp_lt_i32_e64 s[8:9], v5, v3
	v_cmp_lt_f32_e32 vcc, v1, v47
	s_and_b64 s[4:5], s[4:5], s[8:9]
	s_or_b64 vcc, vcc, s[4:5]
	v_cndmask_b32_e32 v1, v1, v47, vcc
	v_cndmask_b32_e32 v3, v3, v5, vcc
	s_nop 0
	v_mov_b32_dpp v47, v1 quad_perm:[2,3,0,1] row_mask:0xf bank_mask:0xf
	v_mov_b32_dpp v5, v3 quad_perm:[2,3,0,1] row_mask:0xf bank_mask:0xf
	v_cmp_eq_f32_e64 s[4:5], v1, v47
	v_cmp_lt_i32_e64 s[8:9], v5, v3
	v_cmp_lt_f32_e32 vcc, v1, v47
	s_and_b64 s[4:5], s[4:5], s[8:9]
	s_or_b64 vcc, vcc, s[4:5]
	v_cndmask_b32_e32 v1, v1, v47, vcc
	v_cndmask_b32_e32 v3, v3, v5, vcc
	s_nop 0
	v_mov_b32_dpp v47, v1 row_half_mirror row_mask:0xf bank_mask:0xf
	v_mov_b32_dpp v5, v3 row_half_mirror row_mask:0xf bank_mask:0xf
	v_cmp_eq_f32_e64 s[4:5], v1, v47
	v_cmp_lt_i32_e64 s[8:9], v5, v3
	v_cmp_lt_f32_e32 vcc, v1, v47
	s_and_b64 s[4:5], s[4:5], s[8:9]
	s_or_b64 vcc, vcc, s[4:5]
	v_cndmask_b32_e32 v1, v1, v47, vcc
	v_cndmask_b32_e32 v5, v3, v5, vcc
	s_nop 0
	v_mov_b32_dpp v3, v1 row_mirror row_mask:0xf bank_mask:0xf
	v_mov_b32_dpp v47, v5 row_mirror row_mask:0xf bank_mask:0xf
	v_cmp_eq_f32_e64 s[4:5], v1, v3
	v_cmp_lt_i32_e64 s[8:9], v47, v5
	v_cmp_lt_f32_e32 vcc, v1, v3
	s_and_b64 s[4:5], s[4:5], s[8:9]
	s_or_b64 vcc, vcc, s[4:5]
	v_cndmask_b32_e32 v47, v5, v47, vcc
	s_and_saveexec_b64 s[8:9], s[6:7]
	s_cbranch_execz .LBB199_16
; %bb.15:                               ;   in Loop: Header=BB199_14 Depth=1
	v_cndmask_b32_e32 v1, v1, v3, vcc
	v_sub_f32_e32 v1, v1, v8
	v_mul_f32_e32 v3, 0x3fb8aa3b, v1
	v_fma_f32 v5, v1, s25, -v3
	v_rndne_f32_e32 v48, v3
	v_fmac_f32_e32 v5, 0x32a5705f, v1
	v_sub_f32_e32 v3, v3, v48
	v_add_f32_e32 v3, v3, v5
	v_exp_f32_e32 v3, v3
	v_cvt_i32_f32_e32 v5, v48
	v_cmp_le_i32_e32 vcc, s13, v47
	v_cmp_gt_i32_e64 s[4:5], s14, v47
	s_and_b64 s[4:5], vcc, s[4:5]
	v_ldexp_f32 v3, v3, v5
	v_cmp_ngt_f32_e32 vcc, s27, v1
	v_ashrrev_i32_e32 v5, 31, v4
	v_cndmask_b32_e32 v3, 0, v3, vcc
	v_cmp_nlt_f32_e32 vcc, s28, v1
	v_lshlrev_b64 v[48:49], 2, v[4:5]
	v_cndmask_b32_e32 v50, v45, v3, vcc
	v_mov_b32_e32 v1, s21
	v_add_co_u32_e32 v48, vcc, s20, v48
	v_addc_co_u32_e32 v49, vcc, v1, v49, vcc
	v_ashrrev_i32_e32 v3, 31, v2
	global_store_dword v[48:49], v50, off
	v_subrev_u32_e32 v1, s13, v47
	s_and_b64 vcc, s[22:23], s[4:5]
	v_lshlrev_b64 v[48:49], 2, v[2:3]
	v_cndmask_b32_e32 v1, v46, v1, vcc
	s_waitcnt lgkmcnt(0)
	v_mov_b32_e32 v3, s17
	v_add_co_u32_e32 v48, vcc, s16, v48
	v_addc_co_u32_e32 v49, vcc, v3, v49, vcc
	global_store_dword v[48:49], v1, off
	v_ashrrev_i32_e32 v1, 31, v0
	v_lshlrev_b64 v[48:49], 2, v[0:1]
	v_mov_b32_e32 v1, s19
	v_add_co_u32_e32 v48, vcc, s18, v48
	v_addc_co_u32_e32 v49, vcc, v1, v49, vcc
	v_add_f32_e32 v7, v7, v50
	global_store_dword v[48:49], v42, off
.LBB199_16:                             ;   in Loop: Header=BB199_14 Depth=1
	s_or_b64 exec, exec, s[8:9]
	v_ashrrev_i32_e32 v3, 31, v47
	v_lshrrev_b32_e32 v1, 27, v3
	v_add_u32_e32 v1, v47, v1
	v_ashrrev_i32_e32 v1, 5, v1
	v_lshrrev_b32_e32 v5, 28, v1
	v_add_u32_e32 v5, v1, v5
	v_and_b32_e32 v5, -16, v5
	v_sub_u32_e32 v5, v1, v5
	v_cmp_eq_u32_e32 vcc, v9, v5
	s_and_saveexec_b64 s[4:5], vcc
	s_cbranch_execz .LBB199_13
; %bb.17:                               ;   in Loop: Header=BB199_14 Depth=1
	v_lshrrev_b32_e32 v3, 23, v3
	v_add_u32_e32 v3, v47, v3
	v_lshlrev_b32_e32 v1, 5, v1
	v_ashrrev_i32_e32 v3, 9, v3
	v_sub_u32_e32 v1, v47, v1
	v_lshl_add_u32 v1, v3, 5, v1
	v_lshl_add_u32 v1, v1, 2, v43
	buffer_store_dword v44, v1, s[0:3], 0 offen
	s_branch .LBB199_13
.LBB199_18:
	buffer_load_dword v1, off, s[0:3], 0 offset:92
	buffer_load_dword v0, off, s[0:3], 0 offset:96
.LBB199_19:
	buffer_load_dword v3, off, s[0:3], 0
	buffer_load_dword v4, off, s[0:3], 0 offset:4
	buffer_load_dword v5, off, s[0:3], 0 offset:8
	buffer_load_dword v9, off, s[0:3], 0 offset:12
	buffer_load_dword v10, off, s[0:3], 0 offset:16
	buffer_load_dword v11, off, s[0:3], 0 offset:20
	buffer_load_dword v12, off, s[0:3], 0 offset:24
	buffer_load_dword v13, off, s[0:3], 0 offset:28
	buffer_load_dword v14, off, s[0:3], 0 offset:32
	buffer_load_dword v15, off, s[0:3], 0 offset:36
	buffer_load_dword v16, off, s[0:3], 0 offset:40
	buffer_load_dword v17, off, s[0:3], 0 offset:44
	buffer_load_dword v18, off, s[0:3], 0 offset:48
	buffer_load_dword v19, off, s[0:3], 0 offset:52
	buffer_load_dword v20, off, s[0:3], 0 offset:56
	buffer_load_dword v21, off, s[0:3], 0 offset:60
	s_mov_b32 s5, 0x3fb8aa3b
	s_mov_b32 s4, 0xc2ce8ed0
	;; [unrolled: 1-line block ×3, first 2 shown]
	v_mov_b32_e32 v2, 0x7f800000
	s_waitcnt vmcnt(17)
	v_sub_f32_e32 v1, v1, v8
	s_waitcnt vmcnt(16)
	v_sub_f32_e32 v0, v0, v8
	;; [unrolled: 2-line block ×4, first 2 shown]
	v_mul_f32_e32 v22, 0x3fb8aa3b, v3
	s_waitcnt vmcnt(13)
	v_sub_f32_e32 v5, v5, v8
	v_mul_f32_e32 v23, 0x3fb8aa3b, v4
	v_fma_f32 v28, v3, s5, -v22
	v_rndne_f32_e32 v29, v22
	s_waitcnt vmcnt(12)
	v_sub_f32_e32 v9, v9, v8
	v_mul_f32_e32 v24, 0x3fb8aa3b, v5
	v_fma_f32 v30, v4, s5, -v23
	v_rndne_f32_e32 v31, v23
	v_fmac_f32_e32 v28, 0x32a5705f, v3
	v_sub_f32_e32 v22, v22, v29
	s_waitcnt vmcnt(11)
	v_sub_f32_e32 v10, v10, v8
	v_mul_f32_e32 v25, 0x3fb8aa3b, v9
	v_fma_f32 v32, v5, s5, -v24
	v_rndne_f32_e32 v33, v24
	v_fmac_f32_e32 v30, 0x32a5705f, v4
	v_sub_f32_e32 v23, v23, v31
	v_add_f32_e32 v22, v22, v28
	v_mul_f32_e32 v26, 0x3fb8aa3b, v10
	v_fma_f32 v34, v9, s5, -v25
	v_rndne_f32_e32 v35, v25
	v_cvt_i32_f32_e32 v29, v29
	v_fmac_f32_e32 v32, 0x32a5705f, v5
	v_sub_f32_e32 v24, v24, v33
	v_add_f32_e32 v23, v23, v30
	v_exp_f32_e32 v22, v22
	v_fma_f32 v36, v10, s5, -v26
	v_rndne_f32_e32 v37, v26
	v_cvt_i32_f32_e32 v31, v31
	v_fmac_f32_e32 v34, 0x32a5705f, v9
	v_sub_f32_e32 v25, v25, v35
	v_add_f32_e32 v24, v24, v32
	v_exp_f32_e32 v23, v23
	v_cvt_i32_f32_e32 v33, v33
	v_fmac_f32_e32 v36, 0x32a5705f, v10
	v_sub_f32_e32 v26, v26, v37
	v_add_f32_e32 v25, v25, v34
	v_exp_f32_e32 v24, v24
	v_cvt_i32_f32_e32 v35, v35
	v_add_f32_e32 v26, v26, v36
	v_exp_f32_e32 v25, v25
	v_cvt_i32_f32_e32 v37, v37
	v_exp_f32_e32 v26, v26
	v_ldexp_f32 v22, v22, v29
	v_cmp_ngt_f32_e32 vcc, s4, v3
	v_ldexp_f32 v23, v23, v31
	v_cndmask_b32_e32 v22, 0, v22, vcc
	v_cmp_ngt_f32_e32 vcc, s4, v4
	v_ldexp_f32 v24, v24, v33
	v_cndmask_b32_e32 v23, 0, v23, vcc
	;; [unrolled: 3-line block ×4, first 2 shown]
	v_cmp_ngt_f32_e32 vcc, s4, v10
	v_cndmask_b32_e32 v26, 0, v26, vcc
	v_cmp_nlt_f32_e32 vcc, s8, v3
	s_waitcnt vmcnt(10)
	v_sub_f32_e32 v11, v11, v8
	v_cndmask_b32_e32 v3, v2, v22, vcc
	v_cmp_nlt_f32_e32 vcc, s8, v4
	v_mul_f32_e32 v27, 0x3fb8aa3b, v11
	v_cndmask_b32_e32 v4, v2, v23, vcc
	v_cmp_nlt_f32_e32 vcc, s8, v5
	v_fma_f32 v38, v11, s5, -v27
	v_cndmask_b32_e32 v5, v2, v24, vcc
	v_add_f32_e32 v3, v3, v4
	v_rndne_f32_e32 v4, v27
	v_fmac_f32_e32 v38, 0x32a5705f, v11
	v_add_f32_e32 v3, v3, v5
	v_sub_f32_e32 v5, v27, v4
	v_add_f32_e32 v5, v5, v38
	v_exp_f32_e32 v5, v5
	v_cvt_i32_f32_e32 v4, v4
	v_cmp_nlt_f32_e32 vcc, s8, v9
	v_cndmask_b32_e32 v9, v2, v25, vcc
	v_cmp_nlt_f32_e32 vcc, s8, v10
	v_add_f32_e32 v3, v3, v9
	v_cndmask_b32_e32 v9, v2, v26, vcc
	v_ldexp_f32 v4, v5, v4
	s_waitcnt vmcnt(9)
	v_sub_f32_e32 v5, v12, v8
	v_add_f32_e32 v3, v3, v9
	v_mul_f32_e32 v9, 0x3fb8aa3b, v5
	v_fma_f32 v10, v5, s5, -v9
	v_rndne_f32_e32 v12, v9
	v_fmac_f32_e32 v10, 0x32a5705f, v5
	v_sub_f32_e32 v9, v9, v12
	v_add_f32_e32 v9, v9, v10
	v_exp_f32_e32 v9, v9
	v_cvt_i32_f32_e32 v10, v12
	v_cmp_ngt_f32_e32 vcc, s4, v11
	v_cndmask_b32_e32 v4, 0, v4, vcc
	v_cmp_nlt_f32_e32 vcc, s8, v11
	v_cndmask_b32_e32 v4, v2, v4, vcc
	v_add_f32_e32 v3, v3, v4
	v_ldexp_f32 v4, v9, v10
	s_waitcnt vmcnt(8)
	v_sub_f32_e32 v9, v13, v8
	v_mul_f32_e32 v10, 0x3fb8aa3b, v9
	v_fma_f32 v11, v9, s5, -v10
	v_rndne_f32_e32 v12, v10
	v_fmac_f32_e32 v11, 0x32a5705f, v9
	v_sub_f32_e32 v10, v10, v12
	v_add_f32_e32 v10, v10, v11
	v_exp_f32_e32 v10, v10
	v_cvt_i32_f32_e32 v11, v12
	v_cmp_ngt_f32_e32 vcc, s4, v5
	v_cndmask_b32_e32 v4, 0, v4, vcc
	v_cmp_nlt_f32_e32 vcc, s8, v5
	v_cndmask_b32_e32 v4, v2, v4, vcc
	s_waitcnt vmcnt(7)
	v_sub_f32_e32 v5, v14, v8
	v_add_f32_e32 v3, v3, v4
	v_ldexp_f32 v4, v10, v11
	v_mul_f32_e32 v10, 0x3fb8aa3b, v5
	v_fma_f32 v11, v5, s5, -v10
	v_rndne_f32_e32 v12, v10
	v_fmac_f32_e32 v11, 0x32a5705f, v5
	v_sub_f32_e32 v10, v10, v12
	v_add_f32_e32 v10, v10, v11
	v_exp_f32_e32 v10, v10
	v_cvt_i32_f32_e32 v11, v12
	v_cmp_ngt_f32_e32 vcc, s4, v9
	v_cndmask_b32_e32 v4, 0, v4, vcc
	v_cmp_nlt_f32_e32 vcc, s8, v9
	v_cndmask_b32_e32 v4, v2, v4, vcc
	s_waitcnt vmcnt(6)
	v_sub_f32_e32 v9, v15, v8
	v_add_f32_e32 v3, v3, v4
	v_ldexp_f32 v4, v10, v11
	v_mul_f32_e32 v10, 0x3fb8aa3b, v9
	v_fma_f32 v11, v9, s5, -v10
	v_rndne_f32_e32 v12, v10
	v_fmac_f32_e32 v11, 0x32a5705f, v9
	v_sub_f32_e32 v10, v10, v12
	v_add_f32_e32 v10, v10, v11
	v_exp_f32_e32 v10, v10
	v_cvt_i32_f32_e32 v11, v12
	v_cmp_ngt_f32_e32 vcc, s4, v5
	v_cndmask_b32_e32 v4, 0, v4, vcc
	v_cmp_nlt_f32_e32 vcc, s8, v5
	v_cndmask_b32_e32 v4, v2, v4, vcc
	s_waitcnt vmcnt(5)
	v_sub_f32_e32 v5, v16, v8
	v_add_f32_e32 v3, v3, v4
	v_ldexp_f32 v4, v10, v11
	v_mul_f32_e32 v10, 0x3fb8aa3b, v5
	v_fma_f32 v11, v5, s5, -v10
	v_rndne_f32_e32 v12, v10
	v_fmac_f32_e32 v11, 0x32a5705f, v5
	v_sub_f32_e32 v10, v10, v12
	v_add_f32_e32 v10, v10, v11
	v_exp_f32_e32 v10, v10
	v_cvt_i32_f32_e32 v11, v12
	v_cmp_ngt_f32_e32 vcc, s4, v9
	v_cndmask_b32_e32 v4, 0, v4, vcc
	v_cmp_nlt_f32_e32 vcc, s8, v9
	v_cndmask_b32_e32 v4, v2, v4, vcc
	s_waitcnt vmcnt(4)
	v_sub_f32_e32 v9, v17, v8
	v_add_f32_e32 v3, v3, v4
	v_ldexp_f32 v4, v10, v11
	v_mul_f32_e32 v10, 0x3fb8aa3b, v9
	v_fma_f32 v11, v9, s5, -v10
	v_rndne_f32_e32 v13, v10
	buffer_load_dword v12, off, s[0:3], 0 offset:64
	v_fmac_f32_e32 v11, 0x32a5705f, v9
	v_sub_f32_e32 v10, v10, v13
	v_add_f32_e32 v10, v10, v11
	v_exp_f32_e32 v10, v10
	v_cvt_i32_f32_e32 v11, v13
	v_cmp_ngt_f32_e32 vcc, s4, v5
	v_cndmask_b32_e32 v4, 0, v4, vcc
	v_cmp_nlt_f32_e32 vcc, s8, v5
	v_cndmask_b32_e32 v4, v2, v4, vcc
	s_waitcnt vmcnt(4)
	v_sub_f32_e32 v5, v18, v8
	v_add_f32_e32 v3, v3, v4
	v_ldexp_f32 v4, v10, v11
	buffer_load_dword v11, off, s[0:3], 0 offset:68
	v_mul_f32_e32 v10, 0x3fb8aa3b, v5
	v_fma_f32 v13, v5, s5, -v10
	v_rndne_f32_e32 v14, v10
	v_fmac_f32_e32 v13, 0x32a5705f, v5
	v_sub_f32_e32 v10, v10, v14
	v_add_f32_e32 v10, v10, v13
	v_exp_f32_e32 v10, v10
	v_cvt_i32_f32_e32 v13, v14
	v_cmp_ngt_f32_e32 vcc, s4, v9
	v_cndmask_b32_e32 v4, 0, v4, vcc
	v_cmp_nlt_f32_e32 vcc, s8, v9
	v_cndmask_b32_e32 v4, v2, v4, vcc
	v_add_f32_e32 v3, v3, v4
	v_ldexp_f32 v4, v10, v13
	buffer_load_dword v10, off, s[0:3], 0 offset:72
	s_waitcnt vmcnt(5)
	v_sub_f32_e32 v9, v19, v8
	v_mul_f32_e32 v13, 0x3fb8aa3b, v9
	v_cmp_ngt_f32_e32 vcc, s4, v5
	v_fma_f32 v14, v9, s5, -v13
	v_rndne_f32_e32 v15, v13
	v_cndmask_b32_e32 v4, 0, v4, vcc
	v_fmac_f32_e32 v14, 0x32a5705f, v9
	v_sub_f32_e32 v13, v13, v15
	v_cmp_nlt_f32_e32 vcc, s8, v5
	buffer_load_dword v5, off, s[0:3], 0 offset:76
	v_add_f32_e32 v13, v13, v14
	v_exp_f32_e32 v13, v13
	v_cvt_i32_f32_e32 v14, v15
	v_cndmask_b32_e32 v4, v2, v4, vcc
	v_add_f32_e32 v3, v3, v4
	v_cmp_ngt_f32_e32 vcc, s4, v9
	v_ldexp_f32 v4, v13, v14
	s_waitcnt vmcnt(5)
	v_sub_f32_e32 v13, v20, v8
	v_cndmask_b32_e32 v4, 0, v4, vcc
	v_mul_f32_e32 v14, 0x3fb8aa3b, v13
	v_cmp_nlt_f32_e32 vcc, s8, v9
	buffer_load_dword v9, off, s[0:3], 0 offset:80
	v_fma_f32 v15, v13, s5, -v14
	v_rndne_f32_e32 v16, v14
	v_fmac_f32_e32 v15, 0x32a5705f, v13
	v_sub_f32_e32 v14, v14, v16
	v_add_f32_e32 v14, v14, v15
	v_exp_f32_e32 v14, v14
	v_cvt_i32_f32_e32 v15, v16
	v_cndmask_b32_e32 v4, v2, v4, vcc
	v_add_f32_e32 v3, v3, v4
	v_cmp_ngt_f32_e32 vcc, s4, v13
	v_ldexp_f32 v4, v14, v15
	v_cndmask_b32_e32 v4, 0, v4, vcc
	v_cmp_nlt_f32_e32 vcc, s8, v13
	buffer_load_dword v13, off, s[0:3], 0 offset:84
	s_waitcnt vmcnt(6)
	v_sub_f32_e32 v14, v21, v8
	v_mul_f32_e32 v15, 0x3fb8aa3b, v14
	v_fma_f32 v16, v14, s5, -v15
	v_rndne_f32_e32 v17, v15
	v_fmac_f32_e32 v16, 0x32a5705f, v14
	v_sub_f32_e32 v15, v15, v17
	v_add_f32_e32 v15, v15, v16
	v_exp_f32_e32 v15, v15
	v_cvt_i32_f32_e32 v16, v17
	v_cndmask_b32_e32 v4, v2, v4, vcc
	v_add_f32_e32 v3, v3, v4
	v_cmp_ngt_f32_e32 vcc, s4, v14
	v_ldexp_f32 v4, v15, v16
	buffer_load_dword v15, off, s[0:3], 0 offset:88
	buffer_load_dword v16, off, s[0:3], 0 offset:100
	v_cndmask_b32_e32 v4, 0, v4, vcc
	s_waitcnt vmcnt(7)
	v_sub_f32_e32 v12, v12, v8
	v_mul_f32_e32 v17, 0x3fb8aa3b, v12
	v_fma_f32 v18, v12, s5, -v17
	v_rndne_f32_e32 v19, v17
	v_fmac_f32_e32 v18, 0x32a5705f, v12
	v_sub_f32_e32 v17, v17, v19
	v_add_f32_e32 v17, v17, v18
	v_exp_f32_e32 v17, v17
	v_cvt_i32_f32_e32 v18, v19
	v_cmp_nlt_f32_e32 vcc, s8, v14
	v_cndmask_b32_e32 v4, v2, v4, vcc
	v_add_f32_e32 v3, v3, v4
	v_ldexp_f32 v4, v17, v18
	s_waitcnt vmcnt(6)
	v_sub_f32_e32 v11, v11, v8
	v_mul_f32_e32 v14, 0x3fb8aa3b, v11
	v_fma_f32 v17, v11, s5, -v14
	v_rndne_f32_e32 v18, v14
	v_fmac_f32_e32 v17, 0x32a5705f, v11
	v_sub_f32_e32 v14, v14, v18
	v_add_f32_e32 v14, v14, v17
	v_exp_f32_e32 v14, v14
	v_cvt_i32_f32_e32 v17, v18
	v_cmp_ngt_f32_e32 vcc, s4, v12
	v_cndmask_b32_e32 v4, 0, v4, vcc
	v_cmp_nlt_f32_e32 vcc, s8, v12
	v_cndmask_b32_e32 v4, v2, v4, vcc
	v_add_f32_e32 v3, v3, v4
	v_ldexp_f32 v4, v14, v17
	s_waitcnt vmcnt(5)
	v_sub_f32_e32 v10, v10, v8
	v_mul_f32_e32 v12, 0x3fb8aa3b, v10
	v_fma_f32 v14, v10, s5, -v12
	v_rndne_f32_e32 v17, v12
	v_fmac_f32_e32 v14, 0x32a5705f, v10
	v_sub_f32_e32 v12, v12, v17
	v_add_f32_e32 v12, v12, v14
	v_exp_f32_e32 v12, v12
	v_cvt_i32_f32_e32 v14, v17
	v_cmp_ngt_f32_e32 vcc, s4, v11
	v_cndmask_b32_e32 v4, 0, v4, vcc
	v_cmp_nlt_f32_e32 vcc, s8, v11
	s_waitcnt vmcnt(4)
	v_sub_f32_e32 v5, v5, v8
	v_cndmask_b32_e32 v4, v2, v4, vcc
	v_mul_f32_e32 v11, 0x3fb8aa3b, v5
	v_add_f32_e32 v3, v3, v4
	v_ldexp_f32 v4, v12, v14
	v_fma_f32 v12, v5, s5, -v11
	v_rndne_f32_e32 v14, v11
	v_fmac_f32_e32 v12, 0x32a5705f, v5
	v_sub_f32_e32 v11, v11, v14
	v_add_f32_e32 v11, v11, v12
	v_exp_f32_e32 v11, v11
	v_cvt_i32_f32_e32 v12, v14
	v_cmp_ngt_f32_e32 vcc, s4, v10
	v_cndmask_b32_e32 v4, 0, v4, vcc
	v_cmp_nlt_f32_e32 vcc, s8, v10
	s_waitcnt vmcnt(3)
	v_sub_f32_e32 v9, v9, v8
	v_cndmask_b32_e32 v4, v2, v4, vcc
	v_mul_f32_e32 v10, 0x3fb8aa3b, v9
	v_add_f32_e32 v3, v3, v4
	v_ldexp_f32 v4, v11, v12
	v_fma_f32 v11, v9, s5, -v10
	v_rndne_f32_e32 v12, v10
	v_fmac_f32_e32 v11, 0x32a5705f, v9
	v_sub_f32_e32 v10, v10, v12
	v_add_f32_e32 v10, v10, v11
	v_exp_f32_e32 v10, v10
	v_cvt_i32_f32_e32 v11, v12
	v_cmp_ngt_f32_e32 vcc, s4, v5
	v_cndmask_b32_e32 v4, 0, v4, vcc
	v_cmp_nlt_f32_e32 vcc, s8, v5
	v_cndmask_b32_e32 v4, v2, v4, vcc
	v_add_f32_e32 v3, v3, v4
	v_ldexp_f32 v4, v10, v11
	s_waitcnt vmcnt(2)
	v_sub_f32_e32 v5, v13, v8
	buffer_load_dword v10, off, s[0:3], 0 offset:104
	v_mul_f32_e32 v11, 0x3fb8aa3b, v5
	v_fma_f32 v12, v5, s5, -v11
	v_rndne_f32_e32 v13, v11
	v_fmac_f32_e32 v12, 0x32a5705f, v5
	v_sub_f32_e32 v11, v11, v13
	v_add_f32_e32 v11, v11, v12
	v_exp_f32_e32 v11, v11
	v_cvt_i32_f32_e32 v12, v13
	v_cmp_ngt_f32_e32 vcc, s4, v9
	v_cndmask_b32_e32 v4, 0, v4, vcc
	v_cmp_nlt_f32_e32 vcc, s8, v9
	buffer_load_dword v9, off, s[0:3], 0 offset:108
	v_cndmask_b32_e32 v4, v2, v4, vcc
	v_add_f32_e32 v3, v3, v4
	v_ldexp_f32 v4, v11, v12
	s_waitcnt vmcnt(3)
	v_sub_f32_e32 v11, v15, v8
	v_mul_f32_e32 v12, 0x3fb8aa3b, v11
	v_fma_f32 v13, v11, s5, -v12
	v_rndne_f32_e32 v14, v12
	v_fmac_f32_e32 v13, 0x32a5705f, v11
	v_sub_f32_e32 v12, v12, v14
	v_cmp_ngt_f32_e32 vcc, s4, v5
	v_add_f32_e32 v12, v12, v13
	v_cndmask_b32_e32 v4, 0, v4, vcc
	v_exp_f32_e32 v12, v12
	v_cvt_i32_f32_e32 v13, v14
	v_cmp_nlt_f32_e32 vcc, s8, v5
	buffer_load_dword v5, off, s[0:3], 0 offset:112
	v_cndmask_b32_e32 v4, v2, v4, vcc
	v_add_f32_e32 v3, v3, v4
	v_ldexp_f32 v4, v12, v13
	v_mul_f32_e32 v12, 0x3fb8aa3b, v1
	v_fma_f32 v13, v1, s5, -v12
	v_rndne_f32_e32 v14, v12
	v_fmac_f32_e32 v13, 0x32a5705f, v1
	v_sub_f32_e32 v12, v12, v14
	v_cmp_ngt_f32_e32 vcc, s4, v11
	v_add_f32_e32 v12, v12, v13
	v_cndmask_b32_e32 v4, 0, v4, vcc
	v_exp_f32_e32 v12, v12
	v_cvt_i32_f32_e32 v13, v14
	v_cmp_nlt_f32_e32 vcc, s8, v11
	buffer_load_dword v11, off, s[0:3], 0 offset:116
	v_cndmask_b32_e32 v4, v2, v4, vcc
	v_add_f32_e32 v3, v3, v4
	v_ldexp_f32 v4, v12, v13
	v_cmp_ngt_f32_e32 vcc, s4, v1
	v_cndmask_b32_e32 v4, 0, v4, vcc
	v_mul_f32_e32 v12, 0x3fb8aa3b, v0
	v_cmp_nlt_f32_e32 vcc, s8, v1
	v_fma_f32 v13, v0, s5, -v12
	v_rndne_f32_e32 v14, v12
	v_cndmask_b32_e32 v1, v2, v4, vcc
	v_fmac_f32_e32 v13, 0x32a5705f, v0
	v_sub_f32_e32 v12, v12, v14
	v_add_f32_e32 v1, v3, v1
	buffer_load_dword v3, off, s[0:3], 0 offset:120
	v_add_f32_e32 v12, v12, v13
	v_exp_f32_e32 v12, v12
	v_cvt_i32_f32_e32 v13, v14
	v_cmp_ngt_f32_e32 vcc, s4, v0
	v_ldexp_f32 v4, v12, v13
	v_cndmask_b32_e32 v4, 0, v4, vcc
	v_cmp_nlt_f32_e32 vcc, s8, v0
	v_cndmask_b32_e32 v0, v2, v4, vcc
	buffer_load_dword v4, off, s[0:3], 0 offset:124
	s_waitcnt vmcnt(6)
	v_sub_f32_e32 v12, v16, v8
	v_mul_f32_e32 v13, 0x3fb8aa3b, v12
	v_fma_f32 v14, v12, s5, -v13
	v_rndne_f32_e32 v15, v13
	v_fmac_f32_e32 v14, 0x32a5705f, v12
	v_sub_f32_e32 v13, v13, v15
	v_add_f32_e32 v13, v13, v14
	v_exp_f32_e32 v13, v13
	v_cvt_i32_f32_e32 v14, v15
	v_add_f32_e32 v0, v1, v0
	v_cmp_ngt_f32_e32 vcc, s4, v12
	s_waitcnt vmcnt(5)
	v_sub_f32_e32 v10, v10, v8
	v_ldexp_f32 v1, v13, v14
	v_mul_f32_e32 v13, 0x3fb8aa3b, v10
	v_fma_f32 v14, v10, s5, -v13
	v_rndne_f32_e32 v15, v13
	v_fmac_f32_e32 v14, 0x32a5705f, v10
	v_sub_f32_e32 v13, v13, v15
	v_add_f32_e32 v13, v13, v14
	v_exp_f32_e32 v13, v13
	v_cvt_i32_f32_e32 v14, v15
	v_cndmask_b32_e32 v1, 0, v1, vcc
	v_cmp_nlt_f32_e32 vcc, s8, v12
	s_waitcnt vmcnt(4)
	v_sub_f32_e32 v9, v9, v8
	v_cndmask_b32_e32 v1, v2, v1, vcc
	v_mul_f32_e32 v12, 0x3fb8aa3b, v9
	v_add_f32_e32 v0, v0, v1
	v_ldexp_f32 v1, v13, v14
	v_fma_f32 v13, v9, s5, -v12
	v_rndne_f32_e32 v14, v12
	v_fmac_f32_e32 v13, 0x32a5705f, v9
	v_sub_f32_e32 v12, v12, v14
	v_add_f32_e32 v12, v12, v13
	v_exp_f32_e32 v12, v12
	v_cvt_i32_f32_e32 v13, v14
	v_cmp_ngt_f32_e32 vcc, s4, v10
	v_cndmask_b32_e32 v1, 0, v1, vcc
	v_cmp_nlt_f32_e32 vcc, s8, v10
	v_cndmask_b32_e32 v1, v2, v1, vcc
	s_waitcnt vmcnt(3)
	v_sub_f32_e32 v5, v5, v8
	v_mul_f32_e32 v10, 0x3fb8aa3b, v5
	v_add_f32_e32 v0, v0, v1
	v_ldexp_f32 v1, v12, v13
	v_fma_f32 v12, v5, s5, -v10
	v_rndne_f32_e32 v13, v10
	v_fmac_f32_e32 v12, 0x32a5705f, v5
	v_sub_f32_e32 v10, v10, v13
	v_add_f32_e32 v10, v10, v12
	v_exp_f32_e32 v10, v10
	v_cvt_i32_f32_e32 v12, v13
	v_cmp_ngt_f32_e32 vcc, s4, v9
	v_cndmask_b32_e32 v1, 0, v1, vcc
	v_cmp_nlt_f32_e32 vcc, s8, v9
	v_cndmask_b32_e32 v1, v2, v1, vcc
	s_waitcnt vmcnt(2)
	v_sub_f32_e32 v9, v11, v8
	v_add_f32_e32 v0, v0, v1
	v_ldexp_f32 v1, v10, v12
	v_mul_f32_e32 v10, 0x3fb8aa3b, v9
	v_fma_f32 v11, v9, s5, -v10
	v_rndne_f32_e32 v12, v10
	v_fmac_f32_e32 v11, 0x32a5705f, v9
	v_sub_f32_e32 v10, v10, v12
	v_add_f32_e32 v10, v10, v11
	v_exp_f32_e32 v10, v10
	v_cvt_i32_f32_e32 v11, v12
	v_cmp_ngt_f32_e32 vcc, s4, v5
	v_cndmask_b32_e32 v1, 0, v1, vcc
	v_cmp_nlt_f32_e32 vcc, s8, v5
	s_waitcnt vmcnt(1)
	v_sub_f32_e32 v3, v3, v8
	v_cndmask_b32_e32 v1, v2, v1, vcc
	v_mul_f32_e32 v5, 0x3fb8aa3b, v3
	v_add_f32_e32 v0, v0, v1
	v_ldexp_f32 v1, v10, v11
	v_fma_f32 v10, v3, s5, -v5
	v_rndne_f32_e32 v11, v5
	v_fmac_f32_e32 v10, 0x32a5705f, v3
	v_sub_f32_e32 v5, v5, v11
	v_add_f32_e32 v5, v5, v10
	v_exp_f32_e32 v5, v5
	v_cvt_i32_f32_e32 v10, v11
	v_cmp_ngt_f32_e32 vcc, s4, v9
	v_cndmask_b32_e32 v1, 0, v1, vcc
	v_cmp_nlt_f32_e32 vcc, s8, v9
	v_cndmask_b32_e32 v1, v2, v1, vcc
	s_waitcnt vmcnt(0)
	v_sub_f32_e32 v4, v4, v8
	v_add_f32_e32 v0, v0, v1
	v_ldexp_f32 v1, v5, v10
	v_mul_f32_e32 v5, 0x3fb8aa3b, v4
	v_fma_f32 v8, v4, s5, -v5
	v_rndne_f32_e32 v9, v5
	v_fmac_f32_e32 v8, 0x32a5705f, v4
	v_sub_f32_e32 v5, v5, v9
	v_add_f32_e32 v5, v5, v8
	v_exp_f32_e32 v5, v5
	v_cvt_i32_f32_e32 v8, v9
	v_cmp_ngt_f32_e32 vcc, s4, v3
	v_cndmask_b32_e32 v1, 0, v1, vcc
	v_cmp_nlt_f32_e32 vcc, s8, v3
	v_cndmask_b32_e32 v1, v2, v1, vcc
	v_add_f32_e32 v0, v0, v1
	v_ldexp_f32 v1, v5, v8
	v_cmp_ngt_f32_e32 vcc, s4, v4
	v_cndmask_b32_e32 v1, 0, v1, vcc
	v_cmp_nlt_f32_e32 vcc, s8, v4
	v_cndmask_b32_e32 v1, v2, v1, vcc
	v_add_f32_e32 v0, v0, v1
	s_nop 1
	v_mov_b32_dpp v1, v0 quad_perm:[1,0,3,2] row_mask:0xf bank_mask:0xf
	v_add_f32_e32 v0, v0, v1
	s_nop 1
	v_mov_b32_dpp v1, v0 quad_perm:[2,3,0,1] row_mask:0xf bank_mask:0xf
	v_add_f32_e32 v0, v0, v1
	s_nop 1
	v_mov_b32_dpp v1, v0 row_half_mirror row_mask:0xf bank_mask:0xf
	v_add_f32_e32 v0, v0, v1
	s_nop 1
	v_mov_b32_dpp v1, v0 row_mirror row_mask:0xf bank_mask:0xf
	s_and_b64 exec, exec, s[6:7]
	s_cbranch_execz .LBB199_32
; %bb.20:
	v_add_f32_e32 v0, v0, v1
	v_add_f32_e32 v0, v7, v0
	v_cmp_neq_f32_e32 vcc, 0, v0
	s_and_b64 exec, exec, vcc
	s_cbranch_execz .LBB199_32
; %bb.21:
	s_andn2_b64 vcc, exec, s[10:11]
	s_cbranch_vccnz .LBB199_32
; %bb.22:
	v_div_scale_f32 v1, s[4:5], v0, v0, 1.0
	v_rcp_f32_e32 v2, v1
	v_div_scale_f32 v3, vcc, 1.0, v0, 1.0
	s_cmp_gt_u32 s12, 3
	v_fma_f32 v4, -v1, v2, 1.0
	v_fmac_f32_e32 v2, v4, v2
	v_mul_f32_e32 v4, v3, v2
	v_fma_f32 v5, -v1, v4, v3
	v_fmac_f32_e32 v4, v5, v2
	v_fma_f32 v1, -v1, v4, v3
	v_div_fmas_f32 v1, v1, v2, v4
	v_mul_lo_u32 v2, v6, s15
	v_div_fixup_f32 v0, v1, v0, 1.0
	v_ashrrev_i32_e32 v3, 31, v2
	s_cbranch_scc0 .LBB199_26
; %bb.23:
	v_lshlrev_b64 v[4:5], 2, v[2:3]
	v_mov_b32_e32 v6, s21
	v_add_co_u32_e32 v4, vcc, s20, v4
	v_addc_co_u32_e32 v5, vcc, v5, v6, vcc
	s_and_b32 s8, s12, 0x7ffffffc
	v_add_co_u32_e32 v4, vcc, 8, v4
	v_mov_b32_e32 v1, v0
	v_addc_co_u32_e32 v5, vcc, 0, v5, vcc
	s_mov_b32 s4, s8
.LBB199_24:                             ; =>This Inner Loop Header: Depth=1
	global_load_dwordx4 v[6:9], v[4:5], off offset:-8
	s_add_i32 s4, s4, -4
	s_cmp_lg_u32 s4, 0
	s_waitcnt vmcnt(0)
	v_pk_mul_f32 v[6:7], v[0:1], v[6:7]
	v_pk_mul_f32 v[8:9], v[0:1], v[8:9]
	global_store_dwordx4 v[4:5], v[6:9], off offset:-8
	v_add_co_u32_e32 v4, vcc, 16, v4
	v_addc_co_u32_e32 v5, vcc, 0, v5, vcc
	s_cbranch_scc1 .LBB199_24
; %bb.25:
	s_cmp_lg_u32 s8, s12
	s_mov_b64 s[6:7], 0
	s_cselect_b64 s[4:5], -1, 0
	s_branch .LBB199_27
.LBB199_26:
	s_mov_b64 s[6:7], -1
	s_mov_b64 s[4:5], 0
                                        ; implicit-def: $sgpr8
.LBB199_27:
	s_and_b64 vcc, exec, s[6:7]
	s_cbranch_vccz .LBB199_29
; %bb.28:
	s_mov_b64 s[4:5], -1
	s_mov_b32 s8, 0
.LBB199_29:
	s_andn2_b64 vcc, exec, s[4:5]
	s_cbranch_vccnz .LBB199_32
; %bb.30:
	v_add_co_u32_e32 v2, vcc, s8, v2
	v_addc_co_u32_e32 v3, vcc, 0, v3, vcc
	v_lshlrev_b64 v[2:3], 2, v[2:3]
	v_mov_b32_e32 v1, s21
	v_add_co_u32_e32 v2, vcc, s20, v2
	s_sub_i32 s4, s12, s8
	v_addc_co_u32_e32 v3, vcc, v1, v3, vcc
.LBB199_31:                             ; =>This Inner Loop Header: Depth=1
	global_load_dword v1, v[2:3], off
	s_add_i32 s4, s4, -1
	s_cmp_lg_u32 s4, 0
	s_waitcnt vmcnt(0)
	v_mul_f32_e32 v1, v0, v1
	global_store_dword v[2:3], v1, off
	v_add_co_u32_e32 v2, vcc, 4, v2
	v_addc_co_u32_e32 v3, vcc, 0, v3, vcc
	s_cbranch_scc1 .LBB199_31
.LBB199_32:
	s_endpgm
	.section	.rodata,"a",@progbits
	.p2align	6, 0x0
	.amdhsa_kernel _ZN4vllm3moe17topkGatingSoftmaxIDF16_Li32ELi512ELi2ELi64ELb0ELi1ELNS0_23SharedExpertScoringFuncE1EEEvPKT_PKbPfiPiS9_iiiiii
		.amdhsa_group_segment_fixed_size 0
		.amdhsa_private_segment_fixed_size 144
		.amdhsa_kernarg_size 72
		.amdhsa_user_sgpr_count 8
		.amdhsa_user_sgpr_private_segment_buffer 1
		.amdhsa_user_sgpr_dispatch_ptr 0
		.amdhsa_user_sgpr_queue_ptr 0
		.amdhsa_user_sgpr_kernarg_segment_ptr 1
		.amdhsa_user_sgpr_dispatch_id 0
		.amdhsa_user_sgpr_flat_scratch_init 1
		.amdhsa_user_sgpr_kernarg_preload_length 0
		.amdhsa_user_sgpr_kernarg_preload_offset 0
		.amdhsa_user_sgpr_private_segment_size 0
		.amdhsa_uses_dynamic_stack 0
		.amdhsa_system_sgpr_private_segment_wavefront_offset 1
		.amdhsa_system_sgpr_workgroup_id_x 1
		.amdhsa_system_sgpr_workgroup_id_y 0
		.amdhsa_system_sgpr_workgroup_id_z 0
		.amdhsa_system_sgpr_workgroup_info 0
		.amdhsa_system_vgpr_workitem_id 1
		.amdhsa_next_free_vgpr 61
		.amdhsa_next_free_sgpr 29
		.amdhsa_accum_offset 64
		.amdhsa_reserve_vcc 1
		.amdhsa_reserve_flat_scratch 0
		.amdhsa_float_round_mode_32 0
		.amdhsa_float_round_mode_16_64 0
		.amdhsa_float_denorm_mode_32 3
		.amdhsa_float_denorm_mode_16_64 3
		.amdhsa_dx10_clamp 1
		.amdhsa_ieee_mode 1
		.amdhsa_fp16_overflow 0
		.amdhsa_tg_split 0
		.amdhsa_exception_fp_ieee_invalid_op 0
		.amdhsa_exception_fp_denorm_src 0
		.amdhsa_exception_fp_ieee_div_zero 0
		.amdhsa_exception_fp_ieee_overflow 0
		.amdhsa_exception_fp_ieee_underflow 0
		.amdhsa_exception_fp_ieee_inexact 0
		.amdhsa_exception_int_div_zero 0
	.end_amdhsa_kernel
	.section	.text._ZN4vllm3moe17topkGatingSoftmaxIDF16_Li32ELi512ELi2ELi64ELb0ELi1ELNS0_23SharedExpertScoringFuncE1EEEvPKT_PKbPfiPiS9_iiiiii,"axG",@progbits,_ZN4vllm3moe17topkGatingSoftmaxIDF16_Li32ELi512ELi2ELi64ELb0ELi1ELNS0_23SharedExpertScoringFuncE1EEEvPKT_PKbPfiPiS9_iiiiii,comdat
.Lfunc_end199:
	.size	_ZN4vllm3moe17topkGatingSoftmaxIDF16_Li32ELi512ELi2ELi64ELb0ELi1ELNS0_23SharedExpertScoringFuncE1EEEvPKT_PKbPfiPiS9_iiiiii, .Lfunc_end199-_ZN4vllm3moe17topkGatingSoftmaxIDF16_Li32ELi512ELi2ELi64ELb0ELi1ELNS0_23SharedExpertScoringFuncE1EEEvPKT_PKbPfiPiS9_iiiiii
                                        ; -- End function
	.section	.AMDGPU.csdata,"",@progbits
; Kernel info:
; codeLenInByte = 6928
; NumSgprs: 33
; NumVgprs: 61
; NumAgprs: 0
; TotalNumVgprs: 61
; ScratchSize: 144
; MemoryBound: 0
; FloatMode: 240
; IeeeMode: 1
; LDSByteSize: 0 bytes/workgroup (compile time only)
; SGPRBlocks: 4
; VGPRBlocks: 7
; NumSGPRsForWavesPerEU: 33
; NumVGPRsForWavesPerEU: 61
; AccumOffset: 64
; Occupancy: 8
; WaveLimiterHint : 0
; COMPUTE_PGM_RSRC2:SCRATCH_EN: 1
; COMPUTE_PGM_RSRC2:USER_SGPR: 8
; COMPUTE_PGM_RSRC2:TRAP_HANDLER: 0
; COMPUTE_PGM_RSRC2:TGID_X_EN: 1
; COMPUTE_PGM_RSRC2:TGID_Y_EN: 0
; COMPUTE_PGM_RSRC2:TGID_Z_EN: 0
; COMPUTE_PGM_RSRC2:TIDIG_COMP_CNT: 1
; COMPUTE_PGM_RSRC3_GFX90A:ACCUM_OFFSET: 15
; COMPUTE_PGM_RSRC3_GFX90A:TG_SPLIT: 0
	.section	.text._ZN4vllm3moe17topkGatingSoftmaxIDF16_Li32ELi512ELi2ELi64ELb1ELi2ELNS0_23SharedExpertScoringFuncE1EEEvPKT_PKbPfiPiS9_iiiiii,"axG",@progbits,_ZN4vllm3moe17topkGatingSoftmaxIDF16_Li32ELi512ELi2ELi64ELb1ELi2ELNS0_23SharedExpertScoringFuncE1EEEvPKT_PKbPfiPiS9_iiiiii,comdat
	.protected	_ZN4vllm3moe17topkGatingSoftmaxIDF16_Li32ELi512ELi2ELi64ELb1ELi2ELNS0_23SharedExpertScoringFuncE1EEEvPKT_PKbPfiPiS9_iiiiii ; -- Begin function _ZN4vllm3moe17topkGatingSoftmaxIDF16_Li32ELi512ELi2ELi64ELb1ELi2ELNS0_23SharedExpertScoringFuncE1EEEvPKT_PKbPfiPiS9_iiiiii
	.globl	_ZN4vllm3moe17topkGatingSoftmaxIDF16_Li32ELi512ELi2ELi64ELb1ELi2ELNS0_23SharedExpertScoringFuncE1EEEvPKT_PKbPfiPiS9_iiiiii
	.p2align	8
	.type	_ZN4vllm3moe17topkGatingSoftmaxIDF16_Li32ELi512ELi2ELi64ELb1ELi2ELNS0_23SharedExpertScoringFuncE1EEEvPKT_PKbPfiPiS9_iiiiii,@function
_ZN4vllm3moe17topkGatingSoftmaxIDF16_Li32ELi512ELi2ELi64ELb1ELi2ELNS0_23SharedExpertScoringFuncE1EEEvPKT_PKbPfiPiS9_iiiiii: ; @_ZN4vllm3moe17topkGatingSoftmaxIDF16_Li32ELi512ELi2ELi64ELb1ELi2ELNS0_23SharedExpertScoringFuncE1EEEvPKT_PKbPfiPiS9_iiiiii
; %bb.0:
	s_load_dword s28, s[4:5], 0x18
	s_add_u32 s0, s0, s9
	v_bfe_u32 v1, v0, 10, 10
	v_and_b32_e32 v0, 0x3ff, v0
	s_addc_u32 s1, s1, 0
	s_lshl_b32 s29, s8, 3
	v_lshlrev_b32_e32 v41, 2, v1
	v_lshrrev_b32_e32 v42, 4, v0
	v_add3_u32 v6, s29, v41, v42
	s_waitcnt lgkmcnt(0)
	v_cmp_gt_i32_e32 vcc, s28, v6
	s_and_saveexec_b64 s[6:7], vcc
	s_cbranch_execz .LBB200_29
; %bb.1:
	s_load_dwordx4 s[8:11], s[4:5], 0x0
	s_load_dwordx2 s[20:21], s[4:5], 0x10
	s_waitcnt lgkmcnt(0)
	s_cmp_eq_u64 s[10:11], 0
	s_cbranch_scc1 .LBB200_3
; %bb.2:
	v_ashrrev_i32_e32 v1, 31, v6
	v_mov_b32_e32 v3, s11
	v_add_co_u32_e32 v2, vcc, s10, v6
	v_addc_co_u32_e32 v3, vcc, v3, v1, vcc
	global_load_ubyte v1, v[2:3], off
	s_waitcnt vmcnt(0)
	v_and_b32_e32 v1, 1, v1
	v_cmp_eq_u32_e32 vcc, 1, v1
	s_xor_b64 s[6:7], vcc, -1
	s_orn2_b64 s[22:23], s[6:7], exec
	s_branch .LBB200_4
.LBB200_3:
	s_mov_b64 s[22:23], -1
.LBB200_4:
	s_load_dwordx2 s[26:27], s[4:5], 0x40
	s_load_dwordx4 s[12:15], s[4:5], 0x30
	v_mov_b32_e32 v1, s9
	v_and_b32_e32 v7, 15, v0
	v_lshlrev_b32_e32 v0, 6, v7
	s_waitcnt lgkmcnt(0)
	v_mul_lo_u32 v2, v6, s27
	v_ashrrev_i32_e32 v3, 31, v2
	v_lshlrev_b64 v[2:3], 1, v[2:3]
	v_add_co_u32_e32 v10, vcc, s8, v2
	v_addc_co_u32_e32 v27, vcc, v1, v3, vcc
	v_add_co_u32_e32 v4, vcc, v10, v0
	v_addc_co_u32_e32 v5, vcc, 0, v27, vcc
	global_load_dwordx4 v[0:3], v[4:5], off
	global_load_dwordx4 v[22:25], v[4:5], off offset:16
	global_load_dwordx4 v[28:31], v[4:5], off offset:32
	;; [unrolled: 1-line block ×3, first 2 shown]
	v_mov_b32_e32 v8, 0
	v_lshlrev_b32_e32 v9, 5, v7
	v_cmp_gt_u32_e32 vcc, 2, v7
	s_waitcnt vmcnt(3)
	v_cvt_f32_f16_e32 v11, v0
	v_cvt_f32_f16_sdwa v26, v0 dst_sel:DWORD dst_unused:UNUSED_PAD src0_sel:WORD_1
	v_cvt_f32_f16_e32 v12, v1
	v_cvt_f32_f16_sdwa v13, v1 dst_sel:DWORD dst_unused:UNUSED_PAD src0_sel:WORD_1
	;; [unrolled: 2-line block ×4, first 2 shown]
	s_waitcnt vmcnt(2)
	v_cvt_f32_f16_e32 v18, v22
	v_cvt_f32_f16_sdwa v19, v22 dst_sel:DWORD dst_unused:UNUSED_PAD src0_sel:WORD_1
	v_cvt_f32_f16_e32 v20, v23
	v_cvt_f32_f16_sdwa v21, v23 dst_sel:DWORD dst_unused:UNUSED_PAD src0_sel:WORD_1
	;; [unrolled: 2-line block ×4, first 2 shown]
	s_waitcnt vmcnt(1)
	v_cvt_f32_f16_e32 v5, v28
	v_cvt_f32_f16_sdwa v4, v28 dst_sel:DWORD dst_unused:UNUSED_PAD src0_sel:WORD_1
	v_cvt_f32_f16_e32 v3, v29
	v_cvt_f32_f16_sdwa v2, v29 dst_sel:DWORD dst_unused:UNUSED_PAD src0_sel:WORD_1
	v_cvt_f32_f16_e32 v1, v30
	s_waitcnt vmcnt(0)
	v_cvt_f32_f16_e32 v37, v35
	v_cvt_f32_f16_e32 v38, v34
	v_cvt_f32_f16_sdwa v36, v33 dst_sel:DWORD dst_unused:UNUSED_PAD src0_sel:WORD_1
	v_cvt_f32_f16_e32 v33, v33
	v_cvt_f32_f16_sdwa v28, v30 dst_sel:DWORD dst_unused:UNUSED_PAD src0_sel:WORD_1
	v_cvt_f32_f16_sdwa v29, v31 dst_sel:DWORD dst_unused:UNUSED_PAD src0_sel:WORD_1
	v_cvt_f32_f16_e32 v30, v31
	v_cvt_f32_f16_sdwa v31, v32 dst_sel:DWORD dst_unused:UNUSED_PAD src0_sel:WORD_1
	v_cvt_f32_f16_e32 v32, v32
	v_cvt_f32_f16_sdwa v34, v34 dst_sel:DWORD dst_unused:UNUSED_PAD src0_sel:WORD_1
	v_cvt_f32_f16_sdwa v35, v35 dst_sel:DWORD dst_unused:UNUSED_PAD src0_sel:WORD_1
	buffer_store_dword v37, off, s[0:3], 0 offset:120
	buffer_store_dword v38, off, s[0:3], 0 offset:112
	;; [unrolled: 1-line block ×15, first 2 shown]
	buffer_store_dword v11, off, s[0:3], 0
	buffer_store_dword v35, off, s[0:3], 0 offset:124
	buffer_store_dword v34, off, s[0:3], 0 offset:116
	;; [unrolled: 1-line block ×16, first 2 shown]
	s_and_saveexec_b64 s[6:7], vcc
	s_cbranch_execz .LBB200_6
; %bb.5:
	v_lshlrev_b32_e32 v28, 1, v7
	v_add_co_u32_e32 v28, vcc, v10, v28
	v_addc_co_u32_e32 v29, vcc, 0, v27, vcc
	global_load_ushort v10, v[28:29], off offset:1024
	s_mov_b32 s8, 0x3fb8aa3b
	s_mov_b32 s9, 0x32a5705f
	;; [unrolled: 1-line block ×4, first 2 shown]
	v_mov_b32_e32 v31, 0x7f800000
	v_mul_lo_u32 v27, v6, s15
	v_mov_b32_e32 v33, s21
	s_waitcnt vmcnt(0)
	v_cvt_f32_f16_e64 v30, -v10
	v_mul_f32_e32 v28, 0x3fb8aa3b, v30
	v_fma_mix_f32 v29, -v10, s8, -v28 op_sel_hi:[1,0,0]
	v_rndne_f32_e32 v32, v28
	v_fma_mix_f32 v10, -v10, s9, v29 op_sel_hi:[1,0,0]
	v_sub_f32_e32 v28, v28, v32
	v_add_f32_e32 v10, v28, v10
	v_cvt_i32_f32_e32 v32, v32
	v_exp_f32_e32 v10, v10
	v_cmp_ngt_f32_e32 vcc, s10, v30
	v_add3_u32 v28, v27, s12, v7
	v_ashrrev_i32_e32 v29, 31, v28
	v_ldexp_f32 v10, v10, v32
	v_cndmask_b32_e32 v10, 0, v10, vcc
	v_cmp_nlt_f32_e32 vcc, s11, v30
	v_cndmask_b32_e32 v10, v31, v10, vcc
	v_add_f32_e32 v10, 1.0, v10
	v_div_scale_f32 v27, s[8:9], v10, v10, 1.0
	v_rcp_f32_e32 v30, v27
	v_div_scale_f32 v31, vcc, 1.0, v10, 1.0
	v_lshlrev_b64 v[28:29], 2, v[28:29]
	v_fma_f32 v32, -v27, v30, 1.0
	v_fmac_f32_e32 v30, v32, v30
	v_mul_f32_e32 v32, v31, v30
	v_fma_f32 v34, -v27, v32, v31
	v_fmac_f32_e32 v32, v34, v30
	v_fma_f32 v27, -v27, v32, v31
	v_div_fmas_f32 v27, v27, v30, v32
	v_add_co_u32_e32 v28, vcc, s20, v28
	v_div_fixup_f32 v10, v27, v10, 1.0
	v_addc_co_u32_e32 v29, vcc, v33, v29, vcc
	global_store_dword v[28:29], v10, off
.LBB200_6:
	s_or_b64 exec, exec, s[6:7]
	buffer_load_dword v31, off, s[0:3], 0 offset:84
	buffer_load_dword v32, off, s[0:3], 0 offset:88
	;; [unrolled: 1-line block ×11, first 2 shown]
	v_cmp_lt_f16_sdwa vcc, v0, v0 src0_sel:DWORD src1_sel:WORD_1
	v_or_b32_e32 v10, 1, v9
	v_cndmask_b32_e32 v26, v11, v26, vcc
	v_cndmask_b32_e32 v0, v9, v10, vcc
	v_cmp_lt_f32_e32 vcc, v26, v12
	v_or_b32_e32 v11, 2, v9
	v_cndmask_b32_e32 v26, v26, v12, vcc
	v_cndmask_b32_e32 v0, v0, v11, vcc
	v_cmp_lt_f32_e32 vcc, v26, v13
	;; [unrolled: 4-line block ×19, first 2 shown]
	v_or_b32_e32 v29, 20, v9
	v_cndmask_b32_e32 v1, v2, v1, vcc
	v_cndmask_b32_e32 v0, v0, v29, vcc
	s_waitcnt vmcnt(10)
	v_cmp_lt_f32_e32 vcc, v1, v31
	v_or_b32_e32 v30, 21, v9
	v_cndmask_b32_e32 v1, v1, v31, vcc
	v_cndmask_b32_e32 v0, v0, v30, vcc
	s_waitcnt vmcnt(9)
	v_cmp_lt_f32_e32 vcc, v1, v32
	;; [unrolled: 5-line block ×10, first 2 shown]
	v_or_b32_e32 v39, 30, v9
	v_cndmask_b32_e32 v1, v1, v40, vcc
	v_cndmask_b32_e32 v0, v0, v39, vcc
	v_or_b32_e32 v40, 31, v9
	s_waitcnt vmcnt(0)
	v_cmp_lt_f32_e32 vcc, v1, v43
	v_cndmask_b32_e32 v0, v0, v40, vcc
	v_cndmask_b32_e32 v1, v1, v43, vcc
	s_nop 0
	v_mov_b32_dpp v2, v0 quad_perm:[1,0,3,2] row_mask:0xf bank_mask:0xf
	v_mov_b32_dpp v3, v1 quad_perm:[1,0,3,2] row_mask:0xf bank_mask:0xf
	v_cmp_eq_f32_e64 s[6:7], v1, v3
	v_cmp_lt_i32_e64 s[8:9], v2, v0
	v_cmp_lt_f32_e32 vcc, v1, v3
	s_and_b64 s[6:7], s[6:7], s[8:9]
	s_or_b64 vcc, vcc, s[6:7]
	v_cndmask_b32_e32 v1, v1, v3, vcc
	v_cndmask_b32_e32 v0, v0, v2, vcc
	s_nop 0
	v_mov_b32_dpp v3, v1 quad_perm:[2,3,0,1] row_mask:0xf bank_mask:0xf
	v_mov_b32_dpp v2, v0 quad_perm:[2,3,0,1] row_mask:0xf bank_mask:0xf
	v_cmp_eq_f32_e64 s[6:7], v1, v3
	v_cmp_lt_i32_e64 s[8:9], v2, v0
	v_cmp_lt_f32_e32 vcc, v1, v3
	s_and_b64 s[6:7], s[6:7], s[8:9]
	s_or_b64 vcc, vcc, s[6:7]
	v_cndmask_b32_e32 v1, v1, v3, vcc
	v_cndmask_b32_e32 v2, v0, v2, vcc
	s_nop 0
	v_mov_b32_dpp v0, v1 row_half_mirror row_mask:0xf bank_mask:0xf
	v_mov_b32_dpp v3, v2 row_half_mirror row_mask:0xf bank_mask:0xf
	v_cmp_eq_f32_e64 s[6:7], v1, v0
	v_cmp_lt_i32_e64 s[8:9], v3, v2
	v_cmp_lt_f32_e32 vcc, v1, v0
	s_and_b64 s[6:7], s[6:7], s[8:9]
	s_or_b64 vcc, vcc, s[6:7]
	v_cndmask_b32_e32 v0, v1, v0, vcc
	v_cndmask_b32_e32 v1, v2, v3, vcc
	s_cmp_gt_i32 s12, 0
	v_mov_b32_dpp v3, v0 row_mirror row_mask:0xf bank_mask:0xf
	v_mov_b32_dpp v2, v1 row_mirror row_mask:0xf bank_mask:0xf
	s_cselect_b64 s[24:25], -1, 0
	s_cmp_lt_i32 s12, 1
	v_cmp_eq_u32_e32 vcc, 0, v7
	s_cbranch_scc1 .LBB200_18
; %bb.7:
	s_load_dwordx4 s[16:19], s[4:5], 0x20
	v_cmp_eq_f32_e64 s[8:9], v0, v3
	v_cmp_lt_i32_e64 s[10:11], v2, v1
	v_cmp_lt_f32_e64 s[6:7], v0, v3
	s_and_b64 s[8:9], s[8:9], s[10:11]
	s_or_b64 s[6:7], s[6:7], s[8:9]
	v_cndmask_b32_e64 v44, v1, v2, s[6:7]
	v_cndmask_b32_e64 v43, v0, v3, s[6:7]
	v_mul_lo_u32 v4, v6, s15
	v_mul_lo_u32 v2, v6, s26
	;; [unrolled: 1-line block ×3, first 2 shown]
	v_mov_b32_e32 v8, 0
	s_and_saveexec_b64 s[8:9], vcc
	s_cbranch_execz .LBB200_9
; %bb.8:
	v_sub_f32_e32 v1, v43, v43
	v_mul_f32_e32 v3, 0x3fb8aa3b, v1
	s_mov_b32 s4, 0x3fb8aa3b
	v_rndne_f32_e32 v5, v3
	v_sub_f32_e32 v8, v3, v5
	v_fma_f32 v3, v1, s4, -v3
	v_fmac_f32_e32 v3, 0x32a5705f, v1
	v_add_f32_e32 v3, v8, v3
	v_exp_f32_e32 v3, v3
	v_cvt_i32_f32_e32 v5, v5
	v_cmp_le_i32_e64 s[4:5], s13, v44
	v_cmp_gt_i32_e64 s[6:7], s14, v44
	s_and_b64 s[6:7], s[4:5], s[6:7]
	s_mov_b32 s4, 0xc2ce8ed0
	v_ldexp_f32 v3, v3, v5
	v_cmp_ngt_f32_e64 s[4:5], s4, v1
	v_cndmask_b32_e64 v3, 0, v3, s[4:5]
	s_mov_b32 s4, 0x42b17218
	v_mov_b32_e32 v5, 0x7f800000
	v_cmp_nlt_f32_e64 s[4:5], s4, v1
	v_cndmask_b32_e64 v8, v5, v3, s[4:5]
	v_ashrrev_i32_e32 v5, 31, v4
	v_lshlrev_b64 v[46:47], 2, v[4:5]
	v_mov_b32_e32 v1, s21
	v_add_co_u32_e64 v46, s[4:5], s20, v46
	v_addc_co_u32_e64 v47, s[4:5], v1, v47, s[4:5]
	v_subrev_u32_e32 v1, s13, v44
	v_mov_b32_e32 v3, 0x200
	s_and_b64 s[4:5], s[22:23], s[6:7]
	v_cndmask_b32_e64 v1, v3, v1, s[4:5]
	v_ashrrev_i32_e32 v3, 31, v2
	global_store_dword v[46:47], v8, off
	v_lshlrev_b64 v[46:47], 2, v[2:3]
	s_waitcnt lgkmcnt(0)
	v_mov_b32_e32 v3, s17
	v_add_co_u32_e64 v46, s[4:5], s16, v46
	v_addc_co_u32_e64 v47, s[4:5], v3, v47, s[4:5]
	global_store_dword v[46:47], v1, off
	v_ashrrev_i32_e32 v1, 31, v0
	v_lshlrev_b64 v[46:47], 2, v[0:1]
	v_mov_b32_e32 v1, s19
	v_add_co_u32_e64 v46, s[4:5], s18, v46
	v_addc_co_u32_e64 v47, s[4:5], v1, v47, s[4:5]
	global_store_dword v[46:47], v6, off
.LBB200_9:
	s_or_b64 exec, exec, s[8:9]
	v_ashrrev_i32_e32 v3, 31, v44
	v_lshrrev_b32_e32 v1, 27, v3
	v_add_u32_e32 v1, v44, v1
	v_ashrrev_i32_e32 v1, 5, v1
	v_lshrrev_b32_e32 v5, 28, v1
	v_add_u32_e32 v5, v1, v5
	v_and_b32_e32 v5, -16, v5
	v_sub_u32_e32 v5, v1, v5
	v_cmp_eq_u32_e64 s[4:5], v7, v5
	s_and_saveexec_b64 s[6:7], s[4:5]
	s_cbranch_execz .LBB200_11
; %bb.10:
	v_lshrrev_b32_e32 v3, 23, v3
	v_add_u32_e32 v3, v44, v3
	v_lshlrev_b32_e32 v1, 5, v1
	v_ashrrev_i32_e32 v3, 9, v3
	v_sub_u32_e32 v1, v44, v1
	v_lshl_add_u32 v1, v3, 5, v1
	v_mov_b32_e32 v3, 0
	v_lshl_add_u32 v1, v1, 2, v3
	v_mov_b32_e32 v3, 0xff800000
	buffer_store_dword v3, v1, s[0:3], 0 offen
.LBB200_11:
	s_or_b64 exec, exec, s[6:7]
	s_cmp_eq_u32 s12, 1
	s_cbranch_scc1 .LBB200_18
; %bb.12:
	s_add_i32 s29, s29, s28
	s_add_i32 s10, s12, -1
	v_add3_u32 v41, s29, v42, v41
	v_add_u32_e32 v0, 1, v0
	v_add_u32_e32 v2, 1, v2
	;; [unrolled: 1-line block ×3, first 2 shown]
	s_mov_b32 s11, 0x3fb8aa3b
	s_mov_b32 s26, 0xc2ce8ed0
	;; [unrolled: 1-line block ×3, first 2 shown]
	v_mov_b32_e32 v42, 0
	v_mov_b32_e32 v44, 0xff800000
	;; [unrolled: 1-line block ×4, first 2 shown]
	s_branch .LBB200_14
.LBB200_13:                             ;   in Loop: Header=BB200_14 Depth=1
	s_or_b64 exec, exec, s[6:7]
	s_add_i32 s10, s10, -1
	v_add_u32_e32 v41, s28, v41
	v_add_u32_e32 v0, 1, v0
	v_add_u32_e32 v2, 1, v2
	s_cmp_eq_u32 s10, 0
	v_add_u32_e32 v4, 1, v4
	s_cbranch_scc1 .LBB200_18
.LBB200_14:                             ; =>This Inner Loop Header: Depth=1
	buffer_load_dword v1, off, s[0:3], 0
	buffer_load_dword v3, off, s[0:3], 0 offset:4
	buffer_load_dword v5, off, s[0:3], 0 offset:8
	;; [unrolled: 1-line block ×15, first 2 shown]
	s_waitcnt vmcnt(14)
	v_cmp_gt_f32_e64 s[4:5], v3, v1
	v_cndmask_b32_e64 v1, v1, v3, s[4:5]
	v_cndmask_b32_e64 v60, v9, v10, s[4:5]
	s_waitcnt vmcnt(13)
	v_cmp_gt_f32_e64 s[4:5], v5, v1
	v_cndmask_b32_e64 v1, v1, v5, s[4:5]
	buffer_load_dword v5, off, s[0:3], 0 offset:64
	v_cndmask_b32_e64 v3, v60, v11, s[4:5]
	s_waitcnt vmcnt(13)
	v_cmp_gt_f32_e64 s[4:5], v47, v1
	v_cndmask_b32_e64 v1, v1, v47, s[4:5]
	v_cndmask_b32_e64 v3, v3, v12, s[4:5]
	s_waitcnt vmcnt(12)
	v_cmp_gt_f32_e64 s[4:5], v48, v1
	v_cndmask_b32_e64 v1, v1, v48, s[4:5]
	;; [unrolled: 4-line block ×14, first 2 shown]
	buffer_load_dword v5, off, s[0:3], 0 offset:68
	v_cndmask_b32_e64 v3, v3, v25, s[4:5]
	s_waitcnt vmcnt(0)
	v_cmp_gt_f32_e64 s[4:5], v5, v1
	v_cndmask_b32_e64 v1, v1, v5, s[4:5]
	buffer_load_dword v5, off, s[0:3], 0 offset:72
	v_cndmask_b32_e64 v3, v3, v26, s[4:5]
	s_waitcnt vmcnt(0)
	v_cmp_gt_f32_e64 s[4:5], v5, v1
	v_cndmask_b32_e64 v1, v1, v5, s[4:5]
	buffer_load_dword v5, off, s[0:3], 0 offset:76
	v_cndmask_b32_e64 v3, v3, v27, s[4:5]
	s_waitcnt vmcnt(0)
	v_cmp_gt_f32_e64 s[4:5], v5, v1
	v_cndmask_b32_e64 v1, v1, v5, s[4:5]
	buffer_load_dword v5, off, s[0:3], 0 offset:80
	v_cndmask_b32_e64 v3, v3, v28, s[4:5]
	s_waitcnt vmcnt(0)
	v_cmp_gt_f32_e64 s[4:5], v5, v1
	v_cndmask_b32_e64 v1, v1, v5, s[4:5]
	buffer_load_dword v5, off, s[0:3], 0 offset:84
	v_cndmask_b32_e64 v3, v3, v29, s[4:5]
	s_waitcnt vmcnt(0)
	v_cmp_gt_f32_e64 s[4:5], v5, v1
	v_cndmask_b32_e64 v1, v1, v5, s[4:5]
	buffer_load_dword v5, off, s[0:3], 0 offset:88
	v_cndmask_b32_e64 v3, v3, v30, s[4:5]
	s_waitcnt vmcnt(0)
	v_cmp_gt_f32_e64 s[4:5], v5, v1
	v_cndmask_b32_e64 v1, v1, v5, s[4:5]
	buffer_load_dword v5, off, s[0:3], 0 offset:92
	v_cndmask_b32_e64 v3, v3, v31, s[4:5]
	s_waitcnt vmcnt(0)
	v_cmp_gt_f32_e64 s[4:5], v5, v1
	v_cndmask_b32_e64 v1, v1, v5, s[4:5]
	buffer_load_dword v5, off, s[0:3], 0 offset:96
	v_cndmask_b32_e64 v3, v3, v32, s[4:5]
	s_waitcnt vmcnt(0)
	v_cmp_gt_f32_e64 s[4:5], v5, v1
	v_cndmask_b32_e64 v1, v1, v5, s[4:5]
	buffer_load_dword v5, off, s[0:3], 0 offset:100
	v_cndmask_b32_e64 v3, v3, v33, s[4:5]
	s_waitcnt vmcnt(0)
	v_cmp_gt_f32_e64 s[4:5], v5, v1
	v_cndmask_b32_e64 v1, v1, v5, s[4:5]
	buffer_load_dword v5, off, s[0:3], 0 offset:104
	v_cndmask_b32_e64 v3, v3, v34, s[4:5]
	s_waitcnt vmcnt(0)
	v_cmp_gt_f32_e64 s[4:5], v5, v1
	v_cndmask_b32_e64 v1, v1, v5, s[4:5]
	buffer_load_dword v5, off, s[0:3], 0 offset:108
	v_cndmask_b32_e64 v3, v3, v35, s[4:5]
	s_waitcnt vmcnt(0)
	v_cmp_gt_f32_e64 s[4:5], v5, v1
	v_cndmask_b32_e64 v1, v1, v5, s[4:5]
	buffer_load_dword v5, off, s[0:3], 0 offset:112
	v_cndmask_b32_e64 v3, v3, v36, s[4:5]
	s_waitcnt vmcnt(0)
	v_cmp_gt_f32_e64 s[4:5], v5, v1
	v_cndmask_b32_e64 v1, v1, v5, s[4:5]
	buffer_load_dword v5, off, s[0:3], 0 offset:116
	v_cndmask_b32_e64 v3, v3, v37, s[4:5]
	s_waitcnt vmcnt(0)
	v_cmp_gt_f32_e64 s[4:5], v5, v1
	v_cndmask_b32_e64 v1, v1, v5, s[4:5]
	buffer_load_dword v5, off, s[0:3], 0 offset:120
	v_cndmask_b32_e64 v3, v3, v38, s[4:5]
	s_waitcnt vmcnt(0)
	v_cmp_gt_f32_e64 s[4:5], v5, v1
	v_cndmask_b32_e64 v1, v1, v5, s[4:5]
	buffer_load_dword v5, off, s[0:3], 0 offset:124
	v_cndmask_b32_e64 v3, v3, v39, s[4:5]
	s_waitcnt vmcnt(0)
	v_cmp_gt_f32_e64 s[4:5], v5, v1
	v_cndmask_b32_e64 v3, v3, v40, s[4:5]
	v_cndmask_b32_e64 v1, v1, v5, s[4:5]
	s_nop 0
	v_mov_b32_dpp v5, v3 quad_perm:[1,0,3,2] row_mask:0xf bank_mask:0xf
	v_mov_b32_dpp v47, v1 quad_perm:[1,0,3,2] row_mask:0xf bank_mask:0xf
	v_cmp_eq_f32_e64 s[6:7], v1, v47
	v_cmp_lt_i32_e64 s[8:9], v5, v3
	v_cmp_lt_f32_e64 s[4:5], v1, v47
	s_and_b64 s[6:7], s[6:7], s[8:9]
	s_or_b64 s[4:5], s[4:5], s[6:7]
	v_cndmask_b32_e64 v1, v1, v47, s[4:5]
	v_cndmask_b32_e64 v3, v3, v5, s[4:5]
	s_nop 0
	v_mov_b32_dpp v47, v1 quad_perm:[2,3,0,1] row_mask:0xf bank_mask:0xf
	v_mov_b32_dpp v5, v3 quad_perm:[2,3,0,1] row_mask:0xf bank_mask:0xf
	v_cmp_eq_f32_e64 s[6:7], v1, v47
	v_cmp_lt_i32_e64 s[8:9], v5, v3
	v_cmp_lt_f32_e64 s[4:5], v1, v47
	s_and_b64 s[6:7], s[6:7], s[8:9]
	s_or_b64 s[4:5], s[4:5], s[6:7]
	v_cndmask_b32_e64 v1, v1, v47, s[4:5]
	v_cndmask_b32_e64 v3, v3, v5, s[4:5]
	s_nop 0
	v_mov_b32_dpp v47, v1 row_half_mirror row_mask:0xf bank_mask:0xf
	v_mov_b32_dpp v5, v3 row_half_mirror row_mask:0xf bank_mask:0xf
	v_cmp_eq_f32_e64 s[6:7], v1, v47
	v_cmp_lt_i32_e64 s[8:9], v5, v3
	v_cmp_lt_f32_e64 s[4:5], v1, v47
	s_and_b64 s[6:7], s[6:7], s[8:9]
	s_or_b64 s[4:5], s[4:5], s[6:7]
	v_cndmask_b32_e64 v1, v1, v47, s[4:5]
	v_cndmask_b32_e64 v5, v3, v5, s[4:5]
	s_nop 0
	v_mov_b32_dpp v3, v1 row_mirror row_mask:0xf bank_mask:0xf
	v_mov_b32_dpp v47, v5 row_mirror row_mask:0xf bank_mask:0xf
	v_cmp_eq_f32_e64 s[6:7], v1, v3
	v_cmp_lt_i32_e64 s[8:9], v47, v5
	v_cmp_lt_f32_e64 s[4:5], v1, v3
	s_and_b64 s[6:7], s[6:7], s[8:9]
	s_or_b64 s[4:5], s[4:5], s[6:7]
	v_cndmask_b32_e64 v47, v5, v47, s[4:5]
	s_and_saveexec_b64 s[8:9], vcc
	s_cbranch_execz .LBB200_16
; %bb.15:                               ;   in Loop: Header=BB200_14 Depth=1
	v_cndmask_b32_e64 v1, v1, v3, s[4:5]
	v_sub_f32_e32 v1, v1, v43
	v_mul_f32_e32 v3, 0x3fb8aa3b, v1
	v_fma_f32 v5, v1, s11, -v3
	v_rndne_f32_e32 v48, v3
	v_fmac_f32_e32 v5, 0x32a5705f, v1
	v_sub_f32_e32 v3, v3, v48
	v_add_f32_e32 v3, v3, v5
	v_exp_f32_e32 v3, v3
	v_cvt_i32_f32_e32 v5, v48
	v_cmp_le_i32_e64 s[4:5], s13, v47
	v_cmp_gt_i32_e64 s[6:7], s14, v47
	s_and_b64 s[6:7], s[4:5], s[6:7]
	v_ldexp_f32 v3, v3, v5
	v_cmp_ngt_f32_e64 s[4:5], s26, v1
	v_ashrrev_i32_e32 v5, 31, v4
	v_cndmask_b32_e64 v3, 0, v3, s[4:5]
	v_cmp_nlt_f32_e64 s[4:5], s27, v1
	v_lshlrev_b64 v[48:49], 2, v[4:5]
	v_cndmask_b32_e64 v50, v45, v3, s[4:5]
	v_mov_b32_e32 v1, s21
	v_add_co_u32_e64 v48, s[4:5], s20, v48
	v_addc_co_u32_e64 v49, s[4:5], v1, v49, s[4:5]
	v_ashrrev_i32_e32 v3, 31, v2
	global_store_dword v[48:49], v50, off
	v_subrev_u32_e32 v1, s13, v47
	s_and_b64 s[4:5], s[22:23], s[6:7]
	v_lshlrev_b64 v[48:49], 2, v[2:3]
	v_cndmask_b32_e64 v1, v46, v1, s[4:5]
	s_waitcnt lgkmcnt(0)
	v_mov_b32_e32 v3, s17
	v_add_co_u32_e64 v48, s[4:5], s16, v48
	v_addc_co_u32_e64 v49, s[4:5], v3, v49, s[4:5]
	global_store_dword v[48:49], v1, off
	v_ashrrev_i32_e32 v1, 31, v0
	v_lshlrev_b64 v[48:49], 2, v[0:1]
	v_mov_b32_e32 v1, s19
	v_add_co_u32_e64 v48, s[4:5], s18, v48
	v_addc_co_u32_e64 v49, s[4:5], v1, v49, s[4:5]
	v_add_f32_e32 v8, v8, v50
	global_store_dword v[48:49], v41, off
.LBB200_16:                             ;   in Loop: Header=BB200_14 Depth=1
	s_or_b64 exec, exec, s[8:9]
	v_ashrrev_i32_e32 v3, 31, v47
	v_lshrrev_b32_e32 v1, 27, v3
	v_add_u32_e32 v1, v47, v1
	v_ashrrev_i32_e32 v1, 5, v1
	v_lshrrev_b32_e32 v5, 28, v1
	v_add_u32_e32 v5, v1, v5
	v_and_b32_e32 v5, -16, v5
	v_sub_u32_e32 v5, v1, v5
	v_cmp_eq_u32_e64 s[4:5], v7, v5
	s_and_saveexec_b64 s[6:7], s[4:5]
	s_cbranch_execz .LBB200_13
; %bb.17:                               ;   in Loop: Header=BB200_14 Depth=1
	v_lshrrev_b32_e32 v3, 23, v3
	v_add_u32_e32 v3, v47, v3
	v_lshlrev_b32_e32 v1, 5, v1
	v_ashrrev_i32_e32 v3, 9, v3
	v_sub_u32_e32 v1, v47, v1
	v_lshl_add_u32 v1, v3, 5, v1
	v_lshl_add_u32 v1, v1, 2, v42
	buffer_store_dword v44, v1, s[0:3], 0 offen
	s_branch .LBB200_13
.LBB200_18:
	v_cmp_eq_u32_e32 vcc, 0, v7
	v_cmp_neq_f32_e64 s[4:5], 0, v8
	s_and_b64 s[4:5], vcc, s[4:5]
	s_and_b64 exec, exec, s[4:5]
	s_cbranch_execz .LBB200_29
; %bb.19:
	s_andn2_b64 vcc, exec, s[24:25]
	s_cbranch_vccnz .LBB200_29
; %bb.20:
	v_div_scale_f32 v0, s[4:5], v8, v8, 1.0
	v_rcp_f32_e32 v1, v0
	v_div_scale_f32 v2, vcc, 1.0, v8, 1.0
	s_cmp_gt_u32 s12, 3
	v_fma_f32 v3, -v0, v1, 1.0
	v_fmac_f32_e32 v1, v3, v1
	v_mul_f32_e32 v3, v2, v1
	v_fma_f32 v4, -v0, v3, v2
	v_fmac_f32_e32 v3, v4, v1
	v_fma_f32 v0, -v0, v3, v2
	v_div_fmas_f32 v0, v0, v1, v3
	v_mul_lo_u32 v2, v6, s15
	v_div_fixup_f32 v0, v0, v8, 1.0
	v_ashrrev_i32_e32 v3, 31, v2
	s_cbranch_scc0 .LBB200_24
; %bb.21:
	v_lshlrev_b64 v[4:5], 2, v[2:3]
	v_mov_b32_e32 v6, s21
	v_add_co_u32_e32 v4, vcc, s20, v4
	v_addc_co_u32_e32 v5, vcc, v5, v6, vcc
	s_and_b32 s8, s12, 0x7ffffffc
	v_add_co_u32_e32 v4, vcc, 8, v4
	v_mov_b32_e32 v1, v0
	v_addc_co_u32_e32 v5, vcc, 0, v5, vcc
	s_mov_b32 s4, s8
.LBB200_22:                             ; =>This Inner Loop Header: Depth=1
	global_load_dwordx4 v[6:9], v[4:5], off offset:-8
	s_add_i32 s4, s4, -4
	s_cmp_lg_u32 s4, 0
	s_waitcnt vmcnt(0)
	v_pk_mul_f32 v[6:7], v[0:1], v[6:7]
	v_pk_mul_f32 v[8:9], v[0:1], v[8:9]
	global_store_dwordx4 v[4:5], v[6:9], off offset:-8
	v_add_co_u32_e32 v4, vcc, 16, v4
	v_addc_co_u32_e32 v5, vcc, 0, v5, vcc
	s_cbranch_scc1 .LBB200_22
; %bb.23:
	s_cmp_lg_u32 s8, s12
	s_cselect_b64 s[4:5], -1, 0
	s_branch .LBB200_26
.LBB200_24:
	s_mov_b64 s[4:5], 0
                                        ; implicit-def: $sgpr8
	s_cbranch_execz .LBB200_26
; %bb.25:
	s_mov_b64 s[4:5], -1
	s_mov_b32 s8, 0
.LBB200_26:
	s_andn2_b64 vcc, exec, s[4:5]
	s_cbranch_vccnz .LBB200_29
; %bb.27:
	v_add_co_u32_e32 v2, vcc, s8, v2
	v_addc_co_u32_e32 v3, vcc, 0, v3, vcc
	v_lshlrev_b64 v[2:3], 2, v[2:3]
	v_mov_b32_e32 v1, s21
	v_add_co_u32_e32 v2, vcc, s20, v2
	s_sub_i32 s4, s12, s8
	v_addc_co_u32_e32 v3, vcc, v1, v3, vcc
.LBB200_28:                             ; =>This Inner Loop Header: Depth=1
	global_load_dword v1, v[2:3], off
	s_add_i32 s4, s4, -1
	s_cmp_lg_u32 s4, 0
	s_waitcnt vmcnt(0)
	v_mul_f32_e32 v1, v0, v1
	global_store_dword v[2:3], v1, off
	v_add_co_u32_e32 v2, vcc, 4, v2
	v_addc_co_u32_e32 v3, vcc, 0, v3, vcc
	s_cbranch_scc1 .LBB200_28
.LBB200_29:
	s_endpgm
	.section	.rodata,"a",@progbits
	.p2align	6, 0x0
	.amdhsa_kernel _ZN4vllm3moe17topkGatingSoftmaxIDF16_Li32ELi512ELi2ELi64ELb1ELi2ELNS0_23SharedExpertScoringFuncE1EEEvPKT_PKbPfiPiS9_iiiiii
		.amdhsa_group_segment_fixed_size 0
		.amdhsa_private_segment_fixed_size 144
		.amdhsa_kernarg_size 72
		.amdhsa_user_sgpr_count 8
		.amdhsa_user_sgpr_private_segment_buffer 1
		.amdhsa_user_sgpr_dispatch_ptr 0
		.amdhsa_user_sgpr_queue_ptr 0
		.amdhsa_user_sgpr_kernarg_segment_ptr 1
		.amdhsa_user_sgpr_dispatch_id 0
		.amdhsa_user_sgpr_flat_scratch_init 1
		.amdhsa_user_sgpr_kernarg_preload_length 0
		.amdhsa_user_sgpr_kernarg_preload_offset 0
		.amdhsa_user_sgpr_private_segment_size 0
		.amdhsa_uses_dynamic_stack 0
		.amdhsa_system_sgpr_private_segment_wavefront_offset 1
		.amdhsa_system_sgpr_workgroup_id_x 1
		.amdhsa_system_sgpr_workgroup_id_y 0
		.amdhsa_system_sgpr_workgroup_id_z 0
		.amdhsa_system_sgpr_workgroup_info 0
		.amdhsa_system_vgpr_workitem_id 1
		.amdhsa_next_free_vgpr 61
		.amdhsa_next_free_sgpr 30
		.amdhsa_accum_offset 64
		.amdhsa_reserve_vcc 1
		.amdhsa_reserve_flat_scratch 0
		.amdhsa_float_round_mode_32 0
		.amdhsa_float_round_mode_16_64 0
		.amdhsa_float_denorm_mode_32 3
		.amdhsa_float_denorm_mode_16_64 3
		.amdhsa_dx10_clamp 1
		.amdhsa_ieee_mode 1
		.amdhsa_fp16_overflow 0
		.amdhsa_tg_split 0
		.amdhsa_exception_fp_ieee_invalid_op 0
		.amdhsa_exception_fp_denorm_src 0
		.amdhsa_exception_fp_ieee_div_zero 0
		.amdhsa_exception_fp_ieee_overflow 0
		.amdhsa_exception_fp_ieee_underflow 0
		.amdhsa_exception_fp_ieee_inexact 0
		.amdhsa_exception_int_div_zero 0
	.end_amdhsa_kernel
	.section	.text._ZN4vllm3moe17topkGatingSoftmaxIDF16_Li32ELi512ELi2ELi64ELb1ELi2ELNS0_23SharedExpertScoringFuncE1EEEvPKT_PKbPfiPiS9_iiiiii,"axG",@progbits,_ZN4vllm3moe17topkGatingSoftmaxIDF16_Li32ELi512ELi2ELi64ELb1ELi2ELNS0_23SharedExpertScoringFuncE1EEEvPKT_PKbPfiPiS9_iiiiii,comdat
.Lfunc_end200:
	.size	_ZN4vllm3moe17topkGatingSoftmaxIDF16_Li32ELi512ELi2ELi64ELb1ELi2ELNS0_23SharedExpertScoringFuncE1EEEvPKT_PKbPfiPiS9_iiiiii, .Lfunc_end200-_ZN4vllm3moe17topkGatingSoftmaxIDF16_Li32ELi512ELi2ELi64ELb1ELi2ELNS0_23SharedExpertScoringFuncE1EEEvPKT_PKbPfiPiS9_iiiiii
                                        ; -- End function
	.section	.AMDGPU.csdata,"",@progbits
; Kernel info:
; codeLenInByte = 4548
; NumSgprs: 34
; NumVgprs: 61
; NumAgprs: 0
; TotalNumVgprs: 61
; ScratchSize: 144
; MemoryBound: 0
; FloatMode: 240
; IeeeMode: 1
; LDSByteSize: 0 bytes/workgroup (compile time only)
; SGPRBlocks: 4
; VGPRBlocks: 7
; NumSGPRsForWavesPerEU: 34
; NumVGPRsForWavesPerEU: 61
; AccumOffset: 64
; Occupancy: 8
; WaveLimiterHint : 0
; COMPUTE_PGM_RSRC2:SCRATCH_EN: 1
; COMPUTE_PGM_RSRC2:USER_SGPR: 8
; COMPUTE_PGM_RSRC2:TRAP_HANDLER: 0
; COMPUTE_PGM_RSRC2:TGID_X_EN: 1
; COMPUTE_PGM_RSRC2:TGID_Y_EN: 0
; COMPUTE_PGM_RSRC2:TGID_Z_EN: 0
; COMPUTE_PGM_RSRC2:TIDIG_COMP_CNT: 1
; COMPUTE_PGM_RSRC3_GFX90A:ACCUM_OFFSET: 15
; COMPUTE_PGM_RSRC3_GFX90A:TG_SPLIT: 0
	.section	.text._ZN4vllm3moe17topkGatingSoftmaxIDF16_Li32ELi512ELi2ELi64ELb0ELi2ELNS0_23SharedExpertScoringFuncE1EEEvPKT_PKbPfiPiS9_iiiiii,"axG",@progbits,_ZN4vllm3moe17topkGatingSoftmaxIDF16_Li32ELi512ELi2ELi64ELb0ELi2ELNS0_23SharedExpertScoringFuncE1EEEvPKT_PKbPfiPiS9_iiiiii,comdat
	.protected	_ZN4vllm3moe17topkGatingSoftmaxIDF16_Li32ELi512ELi2ELi64ELb0ELi2ELNS0_23SharedExpertScoringFuncE1EEEvPKT_PKbPfiPiS9_iiiiii ; -- Begin function _ZN4vllm3moe17topkGatingSoftmaxIDF16_Li32ELi512ELi2ELi64ELb0ELi2ELNS0_23SharedExpertScoringFuncE1EEEvPKT_PKbPfiPiS9_iiiiii
	.globl	_ZN4vllm3moe17topkGatingSoftmaxIDF16_Li32ELi512ELi2ELi64ELb0ELi2ELNS0_23SharedExpertScoringFuncE1EEEvPKT_PKbPfiPiS9_iiiiii
	.p2align	8
	.type	_ZN4vllm3moe17topkGatingSoftmaxIDF16_Li32ELi512ELi2ELi64ELb0ELi2ELNS0_23SharedExpertScoringFuncE1EEEvPKT_PKbPfiPiS9_iiiiii,@function
_ZN4vllm3moe17topkGatingSoftmaxIDF16_Li32ELi512ELi2ELi64ELb0ELi2ELNS0_23SharedExpertScoringFuncE1EEEvPKT_PKbPfiPiS9_iiiiii: ; @_ZN4vllm3moe17topkGatingSoftmaxIDF16_Li32ELi512ELi2ELi64ELb0ELi2ELNS0_23SharedExpertScoringFuncE1EEEvPKT_PKbPfiPiS9_iiiiii
; %bb.0:
	s_load_dword s26, s[4:5], 0x18
	s_add_u32 s0, s0, s9
	v_bfe_u32 v1, v0, 10, 10
	v_and_b32_e32 v0, 0x3ff, v0
	s_addc_u32 s1, s1, 0
	s_lshl_b32 s27, s8, 3
	v_lshlrev_b32_e32 v42, 2, v1
	v_lshrrev_b32_e32 v43, 4, v0
	v_add3_u32 v6, s27, v42, v43
	s_waitcnt lgkmcnt(0)
	v_cmp_gt_i32_e32 vcc, s26, v6
	s_and_saveexec_b64 s[6:7], vcc
	s_cbranch_execz .LBB201_32
; %bb.1:
	s_load_dwordx4 s[8:11], s[4:5], 0x0
	s_load_dwordx2 s[20:21], s[4:5], 0x10
	s_waitcnt lgkmcnt(0)
	s_cmp_eq_u64 s[10:11], 0
	s_cbranch_scc1 .LBB201_3
; %bb.2:
	v_ashrrev_i32_e32 v1, 31, v6
	v_mov_b32_e32 v3, s11
	v_add_co_u32_e32 v2, vcc, s10, v6
	v_addc_co_u32_e32 v3, vcc, v3, v1, vcc
	global_load_ubyte v1, v[2:3], off
	s_waitcnt vmcnt(0)
	v_and_b32_e32 v1, 1, v1
	v_cmp_eq_u32_e32 vcc, 1, v1
	s_xor_b64 s[6:7], vcc, -1
	s_orn2_b64 s[22:23], s[6:7], exec
	s_branch .LBB201_4
.LBB201_3:
	s_mov_b64 s[22:23], -1
.LBB201_4:
	s_load_dwordx2 s[24:25], s[4:5], 0x40
	s_load_dwordx4 s[12:15], s[4:5], 0x30
	v_mov_b32_e32 v1, s9
	v_and_b32_e32 v7, 15, v0
	v_lshlrev_b32_e32 v0, 6, v7
	s_waitcnt lgkmcnt(0)
	v_mul_lo_u32 v2, v6, s25
	v_ashrrev_i32_e32 v3, 31, v2
	v_lshlrev_b64 v[2:3], 1, v[2:3]
	v_add_co_u32_e32 v11, vcc, s8, v2
	v_addc_co_u32_e32 v27, vcc, v1, v3, vcc
	v_add_co_u32_e32 v4, vcc, v11, v0
	v_addc_co_u32_e32 v5, vcc, 0, v27, vcc
	global_load_dwordx4 v[0:3], v[4:5], off
	global_load_dwordx4 v[28:31], v[4:5], off offset:16
	global_load_dwordx4 v[32:35], v[4:5], off offset:32
	;; [unrolled: 1-line block ×3, first 2 shown]
	v_mov_b32_e32 v8, 0
	v_lshlrev_b32_e32 v10, 5, v7
	v_cmp_gt_u32_e32 vcc, 2, v7
	s_waitcnt vmcnt(3)
	v_cvt_f32_f16_e32 v12, v0
	v_cvt_f32_f16_sdwa v15, v0 dst_sel:DWORD dst_unused:UNUSED_PAD src0_sel:WORD_1
	v_cvt_f32_f16_e32 v13, v1
	v_cvt_f32_f16_sdwa v14, v1 dst_sel:DWORD dst_unused:UNUSED_PAD src0_sel:WORD_1
	;; [unrolled: 2-line block ×4, first 2 shown]
	s_waitcnt vmcnt(2)
	v_cvt_f32_f16_e32 v19, v28
	v_cvt_f32_f16_sdwa v20, v28 dst_sel:DWORD dst_unused:UNUSED_PAD src0_sel:WORD_1
	v_cvt_f32_f16_e32 v21, v29
	v_cvt_f32_f16_sdwa v22, v29 dst_sel:DWORD dst_unused:UNUSED_PAD src0_sel:WORD_1
	;; [unrolled: 2-line block ×4, first 2 shown]
	s_waitcnt vmcnt(1)
	v_cvt_f32_f16_e32 v9, v32
	v_cvt_f32_f16_sdwa v5, v32 dst_sel:DWORD dst_unused:UNUSED_PAD src0_sel:WORD_1
	v_cvt_f32_f16_e32 v4, v33
	v_cvt_f32_f16_sdwa v3, v33 dst_sel:DWORD dst_unused:UNUSED_PAD src0_sel:WORD_1
	;; [unrolled: 2-line block ×3, first 2 shown]
	v_cvt_f32_f16_e32 v30, v35
	s_waitcnt vmcnt(0)
	v_cvt_f32_f16_e32 v35, v39
	v_cvt_f32_f16_sdwa v31, v36 dst_sel:DWORD dst_unused:UNUSED_PAD src0_sel:WORD_1
	v_cvt_f32_f16_e32 v32, v36
	v_cvt_f32_f16_e32 v36, v38
	v_cvt_f32_f16_sdwa v28, v34 dst_sel:DWORD dst_unused:UNUSED_PAD src0_sel:WORD_1
	v_cvt_f32_f16_e32 v34, v37
	v_cvt_f32_f16_sdwa v33, v37 dst_sel:DWORD dst_unused:UNUSED_PAD src0_sel:WORD_1
	v_cvt_f32_f16_sdwa v37, v38 dst_sel:DWORD dst_unused:UNUSED_PAD src0_sel:WORD_1
	;; [unrolled: 1-line block ×3, first 2 shown]
	buffer_store_dword v35, off, s[0:3], 0 offset:120
	buffer_store_dword v36, off, s[0:3], 0 offset:112
	;; [unrolled: 1-line block ×15, first 2 shown]
	buffer_store_dword v12, off, s[0:3], 0
	buffer_store_dword v38, off, s[0:3], 0 offset:124
	buffer_store_dword v37, off, s[0:3], 0 offset:116
	;; [unrolled: 1-line block ×16, first 2 shown]
	s_and_saveexec_b64 s[6:7], vcc
	s_cbranch_execz .LBB201_6
; %bb.5:
	v_lshlrev_b32_e32 v28, 1, v7
	v_add_co_u32_e32 v28, vcc, v11, v28
	v_addc_co_u32_e32 v29, vcc, 0, v27, vcc
	global_load_ushort v11, v[28:29], off offset:1024
	s_mov_b32 s8, 0x3fb8aa3b
	s_mov_b32 s9, 0x32a5705f
	;; [unrolled: 1-line block ×4, first 2 shown]
	v_mov_b32_e32 v31, 0x7f800000
	v_mul_lo_u32 v27, v6, s15
	v_mov_b32_e32 v33, s21
	s_waitcnt vmcnt(0)
	v_cvt_f32_f16_e64 v30, -v11
	v_mul_f32_e32 v28, 0x3fb8aa3b, v30
	v_fma_mix_f32 v29, -v11, s8, -v28 op_sel_hi:[1,0,0]
	v_rndne_f32_e32 v32, v28
	v_fma_mix_f32 v11, -v11, s9, v29 op_sel_hi:[1,0,0]
	v_sub_f32_e32 v28, v28, v32
	v_add_f32_e32 v11, v28, v11
	v_cvt_i32_f32_e32 v32, v32
	v_exp_f32_e32 v11, v11
	v_cmp_ngt_f32_e32 vcc, s10, v30
	v_add3_u32 v28, v27, s12, v7
	v_ashrrev_i32_e32 v29, 31, v28
	v_ldexp_f32 v11, v11, v32
	v_cndmask_b32_e32 v11, 0, v11, vcc
	v_cmp_nlt_f32_e32 vcc, s11, v30
	v_cndmask_b32_e32 v11, v31, v11, vcc
	v_add_f32_e32 v11, 1.0, v11
	v_div_scale_f32 v27, s[8:9], v11, v11, 1.0
	v_rcp_f32_e32 v30, v27
	v_div_scale_f32 v31, vcc, 1.0, v11, 1.0
	v_lshlrev_b64 v[28:29], 2, v[28:29]
	v_fma_f32 v32, -v27, v30, 1.0
	v_fmac_f32_e32 v30, v32, v30
	v_mul_f32_e32 v32, v31, v30
	v_fma_f32 v34, -v27, v32, v31
	v_fmac_f32_e32 v32, v34, v30
	v_fma_f32 v27, -v27, v32, v31
	v_div_fmas_f32 v27, v27, v30, v32
	v_add_co_u32_e32 v28, vcc, s20, v28
	v_div_fixup_f32 v11, v27, v11, 1.0
	v_addc_co_u32_e32 v29, vcc, v33, v29, vcc
	global_store_dword v[28:29], v11, off
.LBB201_6:
	s_or_b64 exec, exec, s[6:7]
	v_cmp_lt_f16_sdwa vcc, v0, v0 src0_sel:DWORD src1_sel:WORD_1
	v_or_b32_e32 v11, 1, v10
	v_cndmask_b32_e32 v15, v12, v15, vcc
	v_cndmask_b32_e32 v0, v10, v11, vcc
	v_cmp_lt_f32_e32 vcc, v15, v13
	v_or_b32_e32 v12, 2, v10
	v_cndmask_b32_e32 v15, v15, v13, vcc
	buffer_load_dword v32, off, s[0:3], 0 offset:84
	buffer_load_dword v33, off, s[0:3], 0 offset:88
	v_cndmask_b32_e32 v0, v0, v12, vcc
	v_cmp_lt_f32_e32 vcc, v15, v14
	v_or_b32_e32 v13, 3, v10
	v_cndmask_b32_e32 v15, v15, v14, vcc
	v_cndmask_b32_e32 v0, v0, v13, vcc
	v_cmp_lt_f32_e32 vcc, v15, v1
	v_or_b32_e32 v14, 4, v10
	v_cndmask_b32_e32 v27, v15, v1, vcc
	buffer_load_dword v1, off, s[0:3], 0 offset:92
	v_cndmask_b32_e32 v0, v0, v14, vcc
	v_or_b32_e32 v15, 5, v10
	v_cmp_lt_f32_e32 vcc, v27, v16
	v_cndmask_b32_e32 v28, v0, v15, vcc
	buffer_load_dword v0, off, s[0:3], 0 offset:96
	buffer_load_dword v36, off, s[0:3], 0 offset:100
	;; [unrolled: 1-line block ×8, first 2 shown]
	v_cndmask_b32_e32 v27, v27, v16, vcc
	v_cmp_lt_f32_e32 vcc, v27, v17
	v_or_b32_e32 v16, 6, v10
	v_cndmask_b32_e32 v27, v27, v17, vcc
	v_cndmask_b32_e32 v28, v28, v16, vcc
	v_cmp_lt_f32_e32 vcc, v27, v18
	v_or_b32_e32 v17, 7, v10
	v_cndmask_b32_e32 v27, v27, v18, vcc
	;; [unrolled: 4-line block ×15, first 2 shown]
	v_cndmask_b32_e32 v4, v5, v30, vcc
	s_waitcnt vmcnt(10)
	v_cmp_lt_f32_e32 vcc, v2, v32
	v_or_b32_e32 v31, 21, v10
	v_cndmask_b32_e32 v2, v2, v32, vcc
	v_cndmask_b32_e32 v3, v4, v31, vcc
	s_waitcnt vmcnt(9)
	v_cmp_lt_f32_e32 vcc, v2, v33
	v_or_b32_e32 v32, 22, v10
	v_cndmask_b32_e32 v2, v2, v33, vcc
	;; [unrolled: 5-line block ×10, first 2 shown]
	v_cndmask_b32_e32 v3, v3, v40, vcc
	v_or_b32_e32 v41, 31, v10
	s_waitcnt vmcnt(0)
	v_cmp_lt_f32_e32 vcc, v2, v44
	v_cndmask_b32_e32 v3, v3, v41, vcc
	v_cndmask_b32_e32 v2, v2, v44, vcc
	s_nop 0
	v_mov_b32_dpp v4, v3 quad_perm:[1,0,3,2] row_mask:0xf bank_mask:0xf
	v_mov_b32_dpp v5, v2 quad_perm:[1,0,3,2] row_mask:0xf bank_mask:0xf
	v_cmp_eq_f32_e64 s[6:7], v2, v5
	v_cmp_lt_i32_e64 s[8:9], v4, v3
	v_cmp_lt_f32_e32 vcc, v2, v5
	s_and_b64 s[6:7], s[6:7], s[8:9]
	s_or_b64 vcc, vcc, s[6:7]
	v_cndmask_b32_e32 v2, v2, v5, vcc
	v_cndmask_b32_e32 v3, v3, v4, vcc
	s_nop 0
	v_mov_b32_dpp v5, v2 quad_perm:[2,3,0,1] row_mask:0xf bank_mask:0xf
	v_mov_b32_dpp v4, v3 quad_perm:[2,3,0,1] row_mask:0xf bank_mask:0xf
	v_cmp_eq_f32_e64 s[6:7], v2, v5
	v_cmp_lt_i32_e64 s[8:9], v4, v3
	v_cmp_lt_f32_e32 vcc, v2, v5
	s_and_b64 s[6:7], s[6:7], s[8:9]
	s_or_b64 vcc, vcc, s[6:7]
	v_cndmask_b32_e32 v2, v2, v5, vcc
	v_cndmask_b32_e32 v3, v3, v4, vcc
	s_nop 0
	v_mov_b32_dpp v5, v2 row_half_mirror row_mask:0xf bank_mask:0xf
	v_mov_b32_dpp v4, v3 row_half_mirror row_mask:0xf bank_mask:0xf
	v_cmp_eq_f32_e64 s[6:7], v2, v5
	v_cmp_lt_i32_e64 s[8:9], v4, v3
	v_cmp_lt_f32_e32 vcc, v2, v5
	s_and_b64 s[6:7], s[6:7], s[8:9]
	s_or_b64 vcc, vcc, s[6:7]
	v_cndmask_b32_e32 v5, v2, v5, vcc
	v_cndmask_b32_e32 v2, v3, v4, vcc
	s_nop 0
	v_mov_b32_dpp v4, v5 row_mirror row_mask:0xf bank_mask:0xf
	v_mov_b32_dpp v3, v2 row_mirror row_mask:0xf bank_mask:0xf
	v_cmp_eq_f32_e64 s[6:7], v5, v4
	v_cmp_lt_i32_e64 s[8:9], v3, v2
	v_cmp_lt_f32_e32 vcc, v5, v4
	s_and_b64 s[6:7], s[6:7], s[8:9]
	s_or_b64 s[6:7], vcc, s[6:7]
	s_cmp_gt_i32 s12, 0
	v_cndmask_b32_e64 v9, v5, v4, s[6:7]
	s_cselect_b64 s[10:11], -1, 0
	s_cmp_lt_i32 s12, 1
	v_cmp_eq_u32_e32 vcc, 0, v7
	s_cbranch_scc1 .LBB201_19
; %bb.7:
	s_load_dwordx4 s[16:19], s[4:5], 0x20
	v_cndmask_b32_e64 v44, v2, v3, s[6:7]
	v_mul_lo_u32 v4, v6, s15
	v_mul_lo_u32 v2, v6, s24
	;; [unrolled: 1-line block ×3, first 2 shown]
	v_mov_b32_e32 v8, 0
	s_and_saveexec_b64 s[8:9], vcc
	s_cbranch_execz .LBB201_9
; %bb.8:
	v_sub_f32_e32 v1, v9, v9
	v_mul_f32_e32 v3, 0x3fb8aa3b, v1
	s_mov_b32 s4, 0x3fb8aa3b
	v_rndne_f32_e32 v5, v3
	v_sub_f32_e32 v8, v3, v5
	v_fma_f32 v3, v1, s4, -v3
	v_fmac_f32_e32 v3, 0x32a5705f, v1
	v_add_f32_e32 v3, v8, v3
	v_exp_f32_e32 v3, v3
	v_cvt_i32_f32_e32 v5, v5
	v_cmp_le_i32_e64 s[4:5], s13, v44
	v_cmp_gt_i32_e64 s[6:7], s14, v44
	s_and_b64 s[6:7], s[4:5], s[6:7]
	s_mov_b32 s4, 0xc2ce8ed0
	v_ldexp_f32 v3, v3, v5
	v_cmp_ngt_f32_e64 s[4:5], s4, v1
	v_cndmask_b32_e64 v3, 0, v3, s[4:5]
	s_mov_b32 s4, 0x42b17218
	v_mov_b32_e32 v5, 0x7f800000
	v_cmp_nlt_f32_e64 s[4:5], s4, v1
	v_cndmask_b32_e64 v8, v5, v3, s[4:5]
	v_ashrrev_i32_e32 v5, 31, v4
	v_lshlrev_b64 v[46:47], 2, v[4:5]
	v_mov_b32_e32 v1, s21
	v_add_co_u32_e64 v46, s[4:5], s20, v46
	v_addc_co_u32_e64 v47, s[4:5], v1, v47, s[4:5]
	v_subrev_u32_e32 v1, s13, v44
	v_mov_b32_e32 v3, 0x200
	s_and_b64 s[4:5], s[22:23], s[6:7]
	v_cndmask_b32_e64 v1, v3, v1, s[4:5]
	v_ashrrev_i32_e32 v3, 31, v2
	global_store_dword v[46:47], v8, off
	v_lshlrev_b64 v[46:47], 2, v[2:3]
	s_waitcnt lgkmcnt(0)
	v_mov_b32_e32 v3, s17
	v_add_co_u32_e64 v46, s[4:5], s16, v46
	v_addc_co_u32_e64 v47, s[4:5], v3, v47, s[4:5]
	global_store_dword v[46:47], v1, off
	v_ashrrev_i32_e32 v1, 31, v0
	v_lshlrev_b64 v[46:47], 2, v[0:1]
	v_mov_b32_e32 v1, s19
	v_add_co_u32_e64 v46, s[4:5], s18, v46
	v_addc_co_u32_e64 v47, s[4:5], v1, v47, s[4:5]
	global_store_dword v[46:47], v6, off
.LBB201_9:
	s_or_b64 exec, exec, s[8:9]
	v_ashrrev_i32_e32 v3, 31, v44
	v_lshrrev_b32_e32 v1, 27, v3
	v_add_u32_e32 v1, v44, v1
	v_ashrrev_i32_e32 v1, 5, v1
	v_lshrrev_b32_e32 v5, 28, v1
	v_add_u32_e32 v5, v1, v5
	v_and_b32_e32 v5, -16, v5
	v_sub_u32_e32 v5, v1, v5
	v_cmp_eq_u32_e64 s[4:5], v7, v5
	s_and_saveexec_b64 s[6:7], s[4:5]
	s_cbranch_execz .LBB201_11
; %bb.10:
	v_lshrrev_b32_e32 v3, 23, v3
	v_add_u32_e32 v3, v44, v3
	v_lshlrev_b32_e32 v1, 5, v1
	v_ashrrev_i32_e32 v3, 9, v3
	v_sub_u32_e32 v1, v44, v1
	v_lshl_add_u32 v1, v3, 5, v1
	v_mov_b32_e32 v3, 0
	v_lshl_add_u32 v1, v1, 2, v3
	v_mov_b32_e32 v3, 0xff800000
	buffer_store_dword v3, v1, s[0:3], 0 offen
.LBB201_11:
	s_or_b64 exec, exec, s[6:7]
	s_cmp_eq_u32 s12, 1
	s_cbranch_scc1 .LBB201_18
; %bb.12:
	s_add_i32 s27, s27, s26
	s_add_i32 s24, s12, -1
	v_add3_u32 v42, s27, v43, v42
	v_add_u32_e32 v0, 1, v0
	v_add_u32_e32 v2, 1, v2
	;; [unrolled: 1-line block ×3, first 2 shown]
	s_mov_b32 s25, 0x3fb8aa3b
	s_mov_b32 s27, 0xc2ce8ed0
	;; [unrolled: 1-line block ×3, first 2 shown]
	v_mov_b32_e32 v43, 0
	v_mov_b32_e32 v44, 0xff800000
	;; [unrolled: 1-line block ×4, first 2 shown]
	s_branch .LBB201_14
.LBB201_13:                             ;   in Loop: Header=BB201_14 Depth=1
	s_or_b64 exec, exec, s[6:7]
	s_add_i32 s24, s24, -1
	v_add_u32_e32 v42, s26, v42
	v_add_u32_e32 v0, 1, v0
	;; [unrolled: 1-line block ×3, first 2 shown]
	s_cmp_eq_u32 s24, 0
	v_add_u32_e32 v4, 1, v4
	s_cbranch_scc1 .LBB201_18
.LBB201_14:                             ; =>This Inner Loop Header: Depth=1
	buffer_load_dword v1, off, s[0:3], 0
	buffer_load_dword v3, off, s[0:3], 0 offset:4
	buffer_load_dword v5, off, s[0:3], 0 offset:8
	;; [unrolled: 1-line block ×15, first 2 shown]
	s_waitcnt vmcnt(14)
	v_cmp_gt_f32_e64 s[4:5], v3, v1
	v_cndmask_b32_e64 v1, v1, v3, s[4:5]
	v_cndmask_b32_e64 v60, v10, v11, s[4:5]
	s_waitcnt vmcnt(13)
	v_cmp_gt_f32_e64 s[4:5], v5, v1
	v_cndmask_b32_e64 v1, v1, v5, s[4:5]
	buffer_load_dword v5, off, s[0:3], 0 offset:64
	v_cndmask_b32_e64 v3, v60, v12, s[4:5]
	s_waitcnt vmcnt(13)
	v_cmp_gt_f32_e64 s[4:5], v47, v1
	v_cndmask_b32_e64 v1, v1, v47, s[4:5]
	v_cndmask_b32_e64 v3, v3, v13, s[4:5]
	s_waitcnt vmcnt(12)
	v_cmp_gt_f32_e64 s[4:5], v48, v1
	v_cndmask_b32_e64 v1, v1, v48, s[4:5]
	v_cndmask_b32_e64 v3, v3, v14, s[4:5]
	s_waitcnt vmcnt(11)
	v_cmp_gt_f32_e64 s[4:5], v49, v1
	v_cndmask_b32_e64 v1, v1, v49, s[4:5]
	v_cndmask_b32_e64 v3, v3, v15, s[4:5]
	s_waitcnt vmcnt(10)
	v_cmp_gt_f32_e64 s[4:5], v50, v1
	v_cndmask_b32_e64 v1, v1, v50, s[4:5]
	v_cndmask_b32_e64 v3, v3, v16, s[4:5]
	s_waitcnt vmcnt(9)
	v_cmp_gt_f32_e64 s[4:5], v51, v1
	v_cndmask_b32_e64 v1, v1, v51, s[4:5]
	v_cndmask_b32_e64 v3, v3, v17, s[4:5]
	s_waitcnt vmcnt(8)
	v_cmp_gt_f32_e64 s[4:5], v52, v1
	v_cndmask_b32_e64 v1, v1, v52, s[4:5]
	v_cndmask_b32_e64 v3, v3, v18, s[4:5]
	s_waitcnt vmcnt(7)
	v_cmp_gt_f32_e64 s[4:5], v53, v1
	v_cndmask_b32_e64 v1, v1, v53, s[4:5]
	v_cndmask_b32_e64 v3, v3, v19, s[4:5]
	s_waitcnt vmcnt(6)
	v_cmp_gt_f32_e64 s[4:5], v54, v1
	v_cndmask_b32_e64 v1, v1, v54, s[4:5]
	v_cndmask_b32_e64 v3, v3, v20, s[4:5]
	s_waitcnt vmcnt(5)
	v_cmp_gt_f32_e64 s[4:5], v55, v1
	v_cndmask_b32_e64 v1, v1, v55, s[4:5]
	v_cndmask_b32_e64 v3, v3, v21, s[4:5]
	s_waitcnt vmcnt(4)
	v_cmp_gt_f32_e64 s[4:5], v56, v1
	v_cndmask_b32_e64 v1, v1, v56, s[4:5]
	v_cndmask_b32_e64 v3, v3, v22, s[4:5]
	s_waitcnt vmcnt(3)
	v_cmp_gt_f32_e64 s[4:5], v57, v1
	v_cndmask_b32_e64 v1, v1, v57, s[4:5]
	v_cndmask_b32_e64 v3, v3, v23, s[4:5]
	s_waitcnt vmcnt(2)
	v_cmp_gt_f32_e64 s[4:5], v58, v1
	v_cndmask_b32_e64 v1, v1, v58, s[4:5]
	v_cndmask_b32_e64 v3, v3, v24, s[4:5]
	s_waitcnt vmcnt(1)
	v_cmp_gt_f32_e64 s[4:5], v59, v1
	v_cndmask_b32_e64 v1, v1, v59, s[4:5]
	v_cndmask_b32_e64 v3, v3, v25, s[4:5]
	s_waitcnt vmcnt(0)
	v_cmp_gt_f32_e64 s[4:5], v5, v1
	v_cndmask_b32_e64 v1, v1, v5, s[4:5]
	buffer_load_dword v5, off, s[0:3], 0 offset:68
	v_cndmask_b32_e64 v3, v3, v26, s[4:5]
	s_waitcnt vmcnt(0)
	v_cmp_gt_f32_e64 s[4:5], v5, v1
	v_cndmask_b32_e64 v1, v1, v5, s[4:5]
	buffer_load_dword v5, off, s[0:3], 0 offset:72
	v_cndmask_b32_e64 v3, v3, v27, s[4:5]
	s_waitcnt vmcnt(0)
	v_cmp_gt_f32_e64 s[4:5], v5, v1
	v_cndmask_b32_e64 v1, v1, v5, s[4:5]
	;; [unrolled: 5-line block ×15, first 2 shown]
	v_cndmask_b32_e64 v1, v1, v5, s[4:5]
	s_nop 0
	v_mov_b32_dpp v5, v3 quad_perm:[1,0,3,2] row_mask:0xf bank_mask:0xf
	v_mov_b32_dpp v47, v1 quad_perm:[1,0,3,2] row_mask:0xf bank_mask:0xf
	v_cmp_eq_f32_e64 s[6:7], v1, v47
	v_cmp_lt_i32_e64 s[8:9], v5, v3
	v_cmp_lt_f32_e64 s[4:5], v1, v47
	s_and_b64 s[6:7], s[6:7], s[8:9]
	s_or_b64 s[4:5], s[4:5], s[6:7]
	v_cndmask_b32_e64 v1, v1, v47, s[4:5]
	v_cndmask_b32_e64 v3, v3, v5, s[4:5]
	s_nop 0
	v_mov_b32_dpp v47, v1 quad_perm:[2,3,0,1] row_mask:0xf bank_mask:0xf
	v_mov_b32_dpp v5, v3 quad_perm:[2,3,0,1] row_mask:0xf bank_mask:0xf
	v_cmp_eq_f32_e64 s[6:7], v1, v47
	v_cmp_lt_i32_e64 s[8:9], v5, v3
	v_cmp_lt_f32_e64 s[4:5], v1, v47
	s_and_b64 s[6:7], s[6:7], s[8:9]
	s_or_b64 s[4:5], s[4:5], s[6:7]
	v_cndmask_b32_e64 v1, v1, v47, s[4:5]
	v_cndmask_b32_e64 v3, v3, v5, s[4:5]
	s_nop 0
	v_mov_b32_dpp v47, v1 row_half_mirror row_mask:0xf bank_mask:0xf
	v_mov_b32_dpp v5, v3 row_half_mirror row_mask:0xf bank_mask:0xf
	v_cmp_eq_f32_e64 s[6:7], v1, v47
	v_cmp_lt_i32_e64 s[8:9], v5, v3
	v_cmp_lt_f32_e64 s[4:5], v1, v47
	s_and_b64 s[6:7], s[6:7], s[8:9]
	s_or_b64 s[4:5], s[4:5], s[6:7]
	v_cndmask_b32_e64 v1, v1, v47, s[4:5]
	v_cndmask_b32_e64 v5, v3, v5, s[4:5]
	s_nop 0
	v_mov_b32_dpp v3, v1 row_mirror row_mask:0xf bank_mask:0xf
	v_mov_b32_dpp v47, v5 row_mirror row_mask:0xf bank_mask:0xf
	v_cmp_eq_f32_e64 s[6:7], v1, v3
	v_cmp_lt_i32_e64 s[8:9], v47, v5
	v_cmp_lt_f32_e64 s[4:5], v1, v3
	s_and_b64 s[6:7], s[6:7], s[8:9]
	s_or_b64 s[4:5], s[4:5], s[6:7]
	v_cndmask_b32_e64 v47, v5, v47, s[4:5]
	s_and_saveexec_b64 s[8:9], vcc
	s_cbranch_execz .LBB201_16
; %bb.15:                               ;   in Loop: Header=BB201_14 Depth=1
	v_cndmask_b32_e64 v1, v1, v3, s[4:5]
	v_sub_f32_e32 v1, v1, v9
	v_mul_f32_e32 v3, 0x3fb8aa3b, v1
	v_fma_f32 v5, v1, s25, -v3
	v_rndne_f32_e32 v48, v3
	v_fmac_f32_e32 v5, 0x32a5705f, v1
	v_sub_f32_e32 v3, v3, v48
	v_add_f32_e32 v3, v3, v5
	v_exp_f32_e32 v3, v3
	v_cvt_i32_f32_e32 v5, v48
	v_cmp_le_i32_e64 s[4:5], s13, v47
	v_cmp_gt_i32_e64 s[6:7], s14, v47
	s_and_b64 s[6:7], s[4:5], s[6:7]
	v_ldexp_f32 v3, v3, v5
	v_cmp_ngt_f32_e64 s[4:5], s27, v1
	v_ashrrev_i32_e32 v5, 31, v4
	v_cndmask_b32_e64 v3, 0, v3, s[4:5]
	v_cmp_nlt_f32_e64 s[4:5], s28, v1
	v_lshlrev_b64 v[48:49], 2, v[4:5]
	v_cndmask_b32_e64 v50, v45, v3, s[4:5]
	v_mov_b32_e32 v1, s21
	v_add_co_u32_e64 v48, s[4:5], s20, v48
	v_addc_co_u32_e64 v49, s[4:5], v1, v49, s[4:5]
	v_ashrrev_i32_e32 v3, 31, v2
	global_store_dword v[48:49], v50, off
	v_subrev_u32_e32 v1, s13, v47
	s_and_b64 s[4:5], s[22:23], s[6:7]
	v_lshlrev_b64 v[48:49], 2, v[2:3]
	v_cndmask_b32_e64 v1, v46, v1, s[4:5]
	s_waitcnt lgkmcnt(0)
	v_mov_b32_e32 v3, s17
	v_add_co_u32_e64 v48, s[4:5], s16, v48
	v_addc_co_u32_e64 v49, s[4:5], v3, v49, s[4:5]
	global_store_dword v[48:49], v1, off
	v_ashrrev_i32_e32 v1, 31, v0
	v_lshlrev_b64 v[48:49], 2, v[0:1]
	v_mov_b32_e32 v1, s19
	v_add_co_u32_e64 v48, s[4:5], s18, v48
	v_addc_co_u32_e64 v49, s[4:5], v1, v49, s[4:5]
	v_add_f32_e32 v8, v8, v50
	global_store_dword v[48:49], v42, off
.LBB201_16:                             ;   in Loop: Header=BB201_14 Depth=1
	s_or_b64 exec, exec, s[8:9]
	v_ashrrev_i32_e32 v3, 31, v47
	v_lshrrev_b32_e32 v1, 27, v3
	v_add_u32_e32 v1, v47, v1
	v_ashrrev_i32_e32 v1, 5, v1
	v_lshrrev_b32_e32 v5, 28, v1
	v_add_u32_e32 v5, v1, v5
	v_and_b32_e32 v5, -16, v5
	v_sub_u32_e32 v5, v1, v5
	v_cmp_eq_u32_e64 s[4:5], v7, v5
	s_and_saveexec_b64 s[6:7], s[4:5]
	s_cbranch_execz .LBB201_13
; %bb.17:                               ;   in Loop: Header=BB201_14 Depth=1
	v_lshrrev_b32_e32 v3, 23, v3
	v_add_u32_e32 v3, v47, v3
	v_lshlrev_b32_e32 v1, 5, v1
	v_ashrrev_i32_e32 v3, 9, v3
	v_sub_u32_e32 v1, v47, v1
	v_lshl_add_u32 v1, v3, 5, v1
	v_lshl_add_u32 v1, v1, 2, v43
	buffer_store_dword v44, v1, s[0:3], 0 offen
	s_branch .LBB201_13
.LBB201_18:
	buffer_load_dword v1, off, s[0:3], 0 offset:92
	buffer_load_dword v0, off, s[0:3], 0 offset:96
.LBB201_19:
	buffer_load_dword v3, off, s[0:3], 0
	buffer_load_dword v4, off, s[0:3], 0 offset:4
	buffer_load_dword v5, off, s[0:3], 0 offset:8
	;; [unrolled: 1-line block ×15, first 2 shown]
	s_mov_b32 s5, 0x3fb8aa3b
	s_mov_b32 s4, 0xc2ce8ed0
	;; [unrolled: 1-line block ×3, first 2 shown]
	v_mov_b32_e32 v2, 0x7f800000
	s_waitcnt vmcnt(17)
	v_sub_f32_e32 v1, v1, v9
	s_waitcnt vmcnt(16)
	v_sub_f32_e32 v0, v0, v9
	;; [unrolled: 2-line block ×4, first 2 shown]
	v_mul_f32_e32 v23, 0x3fb8aa3b, v3
	s_waitcnt vmcnt(13)
	v_sub_f32_e32 v5, v5, v9
	v_mul_f32_e32 v24, 0x3fb8aa3b, v4
	v_fma_f32 v29, v3, s5, -v23
	v_rndne_f32_e32 v30, v23
	s_waitcnt vmcnt(12)
	v_sub_f32_e32 v10, v10, v9
	v_mul_f32_e32 v25, 0x3fb8aa3b, v5
	v_fma_f32 v31, v4, s5, -v24
	v_rndne_f32_e32 v32, v24
	v_fmac_f32_e32 v29, 0x32a5705f, v3
	v_sub_f32_e32 v23, v23, v30
	s_waitcnt vmcnt(11)
	v_sub_f32_e32 v11, v11, v9
	v_mul_f32_e32 v26, 0x3fb8aa3b, v10
	v_fma_f32 v33, v5, s5, -v25
	v_rndne_f32_e32 v34, v25
	v_fmac_f32_e32 v31, 0x32a5705f, v4
	v_sub_f32_e32 v24, v24, v32
	v_add_f32_e32 v23, v23, v29
	v_mul_f32_e32 v27, 0x3fb8aa3b, v11
	v_fma_f32 v35, v10, s5, -v26
	v_rndne_f32_e32 v36, v26
	v_cvt_i32_f32_e32 v30, v30
	v_fmac_f32_e32 v33, 0x32a5705f, v5
	v_sub_f32_e32 v25, v25, v34
	v_add_f32_e32 v24, v24, v31
	v_exp_f32_e32 v23, v23
	v_fma_f32 v37, v11, s5, -v27
	v_rndne_f32_e32 v38, v27
	v_cvt_i32_f32_e32 v32, v32
	v_fmac_f32_e32 v35, 0x32a5705f, v10
	v_sub_f32_e32 v26, v26, v36
	v_add_f32_e32 v25, v25, v33
	v_exp_f32_e32 v24, v24
	v_cvt_i32_f32_e32 v34, v34
	v_fmac_f32_e32 v37, 0x32a5705f, v11
	v_sub_f32_e32 v27, v27, v38
	v_add_f32_e32 v26, v26, v35
	v_exp_f32_e32 v25, v25
	v_cvt_i32_f32_e32 v36, v36
	v_add_f32_e32 v27, v27, v37
	v_exp_f32_e32 v26, v26
	v_cvt_i32_f32_e32 v38, v38
	v_exp_f32_e32 v27, v27
	v_ldexp_f32 v23, v23, v30
	v_cmp_ngt_f32_e32 vcc, s4, v3
	v_ldexp_f32 v24, v24, v32
	v_cndmask_b32_e32 v23, 0, v23, vcc
	v_cmp_ngt_f32_e32 vcc, s4, v4
	v_ldexp_f32 v25, v25, v34
	v_cndmask_b32_e32 v24, 0, v24, vcc
	;; [unrolled: 3-line block ×4, first 2 shown]
	v_cmp_ngt_f32_e32 vcc, s4, v11
	v_cndmask_b32_e32 v27, 0, v27, vcc
	v_cmp_nlt_f32_e32 vcc, s6, v3
	s_waitcnt vmcnt(10)
	v_sub_f32_e32 v12, v12, v9
	v_cndmask_b32_e32 v3, v2, v23, vcc
	v_cmp_nlt_f32_e32 vcc, s6, v4
	v_mul_f32_e32 v28, 0x3fb8aa3b, v12
	v_cndmask_b32_e32 v4, v2, v24, vcc
	v_cmp_nlt_f32_e32 vcc, s6, v5
	v_fma_f32 v39, v12, s5, -v28
	v_cndmask_b32_e32 v5, v2, v25, vcc
	v_add_f32_e32 v3, v3, v4
	v_rndne_f32_e32 v4, v28
	v_fmac_f32_e32 v39, 0x32a5705f, v12
	v_add_f32_e32 v3, v3, v5
	v_sub_f32_e32 v5, v28, v4
	v_add_f32_e32 v5, v5, v39
	v_exp_f32_e32 v5, v5
	v_cvt_i32_f32_e32 v4, v4
	v_cmp_nlt_f32_e32 vcc, s6, v10
	v_cndmask_b32_e32 v10, v2, v26, vcc
	v_cmp_nlt_f32_e32 vcc, s6, v11
	v_add_f32_e32 v3, v3, v10
	v_cndmask_b32_e32 v10, v2, v27, vcc
	v_ldexp_f32 v4, v5, v4
	s_waitcnt vmcnt(9)
	v_sub_f32_e32 v5, v13, v9
	v_add_f32_e32 v3, v3, v10
	v_mul_f32_e32 v10, 0x3fb8aa3b, v5
	v_fma_f32 v11, v5, s5, -v10
	v_rndne_f32_e32 v13, v10
	v_fmac_f32_e32 v11, 0x32a5705f, v5
	v_sub_f32_e32 v10, v10, v13
	v_add_f32_e32 v10, v10, v11
	v_exp_f32_e32 v10, v10
	v_cvt_i32_f32_e32 v11, v13
	v_cmp_ngt_f32_e32 vcc, s4, v12
	v_cndmask_b32_e32 v4, 0, v4, vcc
	v_cmp_nlt_f32_e32 vcc, s6, v12
	v_cndmask_b32_e32 v4, v2, v4, vcc
	v_add_f32_e32 v3, v3, v4
	v_ldexp_f32 v4, v10, v11
	s_waitcnt vmcnt(8)
	v_sub_f32_e32 v10, v14, v9
	v_mul_f32_e32 v11, 0x3fb8aa3b, v10
	v_fma_f32 v12, v10, s5, -v11
	v_rndne_f32_e32 v13, v11
	v_fmac_f32_e32 v12, 0x32a5705f, v10
	v_sub_f32_e32 v11, v11, v13
	v_add_f32_e32 v11, v11, v12
	v_exp_f32_e32 v11, v11
	v_cvt_i32_f32_e32 v12, v13
	v_cmp_ngt_f32_e32 vcc, s4, v5
	v_cndmask_b32_e32 v4, 0, v4, vcc
	v_cmp_nlt_f32_e32 vcc, s6, v5
	v_cndmask_b32_e32 v4, v2, v4, vcc
	s_waitcnt vmcnt(7)
	v_sub_f32_e32 v5, v15, v9
	v_add_f32_e32 v3, v3, v4
	v_ldexp_f32 v4, v11, v12
	v_mul_f32_e32 v11, 0x3fb8aa3b, v5
	v_fma_f32 v12, v5, s5, -v11
	v_rndne_f32_e32 v13, v11
	v_fmac_f32_e32 v12, 0x32a5705f, v5
	v_sub_f32_e32 v11, v11, v13
	v_add_f32_e32 v11, v11, v12
	v_exp_f32_e32 v11, v11
	v_cvt_i32_f32_e32 v12, v13
	v_cmp_ngt_f32_e32 vcc, s4, v10
	v_cndmask_b32_e32 v4, 0, v4, vcc
	v_cmp_nlt_f32_e32 vcc, s6, v10
	v_cndmask_b32_e32 v4, v2, v4, vcc
	s_waitcnt vmcnt(6)
	v_sub_f32_e32 v10, v16, v9
	v_add_f32_e32 v3, v3, v4
	v_ldexp_f32 v4, v11, v12
	;; [unrolled: 16-line block ×4, first 2 shown]
	v_mul_f32_e32 v11, 0x3fb8aa3b, v10
	v_fma_f32 v12, v10, s5, -v11
	v_rndne_f32_e32 v14, v11
	buffer_load_dword v13, off, s[0:3], 0 offset:64
	v_fmac_f32_e32 v12, 0x32a5705f, v10
	v_sub_f32_e32 v11, v11, v14
	v_add_f32_e32 v11, v11, v12
	v_exp_f32_e32 v11, v11
	v_cvt_i32_f32_e32 v12, v14
	v_cmp_ngt_f32_e32 vcc, s4, v5
	v_cndmask_b32_e32 v4, 0, v4, vcc
	v_cmp_nlt_f32_e32 vcc, s6, v5
	v_cndmask_b32_e32 v4, v2, v4, vcc
	s_waitcnt vmcnt(4)
	v_sub_f32_e32 v5, v19, v9
	v_add_f32_e32 v3, v3, v4
	v_ldexp_f32 v4, v11, v12
	buffer_load_dword v12, off, s[0:3], 0 offset:68
	v_mul_f32_e32 v11, 0x3fb8aa3b, v5
	v_fma_f32 v14, v5, s5, -v11
	v_rndne_f32_e32 v15, v11
	v_fmac_f32_e32 v14, 0x32a5705f, v5
	v_sub_f32_e32 v11, v11, v15
	v_add_f32_e32 v11, v11, v14
	v_exp_f32_e32 v11, v11
	v_cvt_i32_f32_e32 v14, v15
	v_cmp_ngt_f32_e32 vcc, s4, v10
	v_cndmask_b32_e32 v4, 0, v4, vcc
	v_cmp_nlt_f32_e32 vcc, s6, v10
	v_cndmask_b32_e32 v4, v2, v4, vcc
	v_add_f32_e32 v3, v3, v4
	v_ldexp_f32 v4, v11, v14
	buffer_load_dword v11, off, s[0:3], 0 offset:72
	s_waitcnt vmcnt(5)
	v_sub_f32_e32 v10, v20, v9
	v_mul_f32_e32 v14, 0x3fb8aa3b, v10
	v_cmp_ngt_f32_e32 vcc, s4, v5
	v_fma_f32 v15, v10, s5, -v14
	v_rndne_f32_e32 v16, v14
	v_cndmask_b32_e32 v4, 0, v4, vcc
	v_fmac_f32_e32 v15, 0x32a5705f, v10
	v_sub_f32_e32 v14, v14, v16
	v_cmp_nlt_f32_e32 vcc, s6, v5
	buffer_load_dword v5, off, s[0:3], 0 offset:76
	v_add_f32_e32 v14, v14, v15
	v_exp_f32_e32 v14, v14
	v_cvt_i32_f32_e32 v15, v16
	v_cndmask_b32_e32 v4, v2, v4, vcc
	v_add_f32_e32 v3, v3, v4
	v_cmp_ngt_f32_e32 vcc, s4, v10
	v_ldexp_f32 v4, v14, v15
	s_waitcnt vmcnt(5)
	v_sub_f32_e32 v14, v21, v9
	v_cndmask_b32_e32 v4, 0, v4, vcc
	v_mul_f32_e32 v15, 0x3fb8aa3b, v14
	v_cmp_nlt_f32_e32 vcc, s6, v10
	buffer_load_dword v10, off, s[0:3], 0 offset:80
	v_fma_f32 v16, v14, s5, -v15
	v_rndne_f32_e32 v17, v15
	v_fmac_f32_e32 v16, 0x32a5705f, v14
	v_sub_f32_e32 v15, v15, v17
	v_add_f32_e32 v15, v15, v16
	v_exp_f32_e32 v15, v15
	v_cvt_i32_f32_e32 v16, v17
	v_cndmask_b32_e32 v4, v2, v4, vcc
	v_add_f32_e32 v3, v3, v4
	v_cmp_ngt_f32_e32 vcc, s4, v14
	v_ldexp_f32 v4, v15, v16
	v_cndmask_b32_e32 v4, 0, v4, vcc
	v_cmp_nlt_f32_e32 vcc, s6, v14
	buffer_load_dword v14, off, s[0:3], 0 offset:84
	s_waitcnt vmcnt(6)
	v_sub_f32_e32 v15, v22, v9
	v_mul_f32_e32 v16, 0x3fb8aa3b, v15
	v_fma_f32 v17, v15, s5, -v16
	v_rndne_f32_e32 v18, v16
	v_fmac_f32_e32 v17, 0x32a5705f, v15
	v_sub_f32_e32 v16, v16, v18
	v_add_f32_e32 v16, v16, v17
	v_exp_f32_e32 v16, v16
	v_cvt_i32_f32_e32 v17, v18
	v_cndmask_b32_e32 v4, v2, v4, vcc
	v_add_f32_e32 v3, v3, v4
	v_cmp_ngt_f32_e32 vcc, s4, v15
	v_ldexp_f32 v4, v16, v17
	buffer_load_dword v16, off, s[0:3], 0 offset:88
	buffer_load_dword v17, off, s[0:3], 0 offset:100
	v_cndmask_b32_e32 v4, 0, v4, vcc
	s_waitcnt vmcnt(7)
	v_sub_f32_e32 v13, v13, v9
	v_mul_f32_e32 v18, 0x3fb8aa3b, v13
	v_fma_f32 v19, v13, s5, -v18
	v_rndne_f32_e32 v20, v18
	v_fmac_f32_e32 v19, 0x32a5705f, v13
	v_sub_f32_e32 v18, v18, v20
	v_add_f32_e32 v18, v18, v19
	v_exp_f32_e32 v18, v18
	v_cvt_i32_f32_e32 v19, v20
	v_cmp_nlt_f32_e32 vcc, s6, v15
	v_cndmask_b32_e32 v4, v2, v4, vcc
	v_add_f32_e32 v3, v3, v4
	v_ldexp_f32 v4, v18, v19
	s_waitcnt vmcnt(6)
	v_sub_f32_e32 v12, v12, v9
	v_mul_f32_e32 v15, 0x3fb8aa3b, v12
	v_fma_f32 v18, v12, s5, -v15
	v_rndne_f32_e32 v19, v15
	v_fmac_f32_e32 v18, 0x32a5705f, v12
	v_sub_f32_e32 v15, v15, v19
	v_add_f32_e32 v15, v15, v18
	v_exp_f32_e32 v15, v15
	v_cvt_i32_f32_e32 v18, v19
	v_cmp_ngt_f32_e32 vcc, s4, v13
	v_cndmask_b32_e32 v4, 0, v4, vcc
	v_cmp_nlt_f32_e32 vcc, s6, v13
	v_cndmask_b32_e32 v4, v2, v4, vcc
	v_add_f32_e32 v3, v3, v4
	v_ldexp_f32 v4, v15, v18
	s_waitcnt vmcnt(5)
	v_sub_f32_e32 v11, v11, v9
	v_mul_f32_e32 v13, 0x3fb8aa3b, v11
	v_fma_f32 v15, v11, s5, -v13
	v_rndne_f32_e32 v18, v13
	v_fmac_f32_e32 v15, 0x32a5705f, v11
	v_sub_f32_e32 v13, v13, v18
	v_add_f32_e32 v13, v13, v15
	v_exp_f32_e32 v13, v13
	v_cvt_i32_f32_e32 v15, v18
	v_cmp_ngt_f32_e32 vcc, s4, v12
	v_cndmask_b32_e32 v4, 0, v4, vcc
	v_cmp_nlt_f32_e32 vcc, s6, v12
	s_waitcnt vmcnt(4)
	v_sub_f32_e32 v5, v5, v9
	v_cndmask_b32_e32 v4, v2, v4, vcc
	v_mul_f32_e32 v12, 0x3fb8aa3b, v5
	v_add_f32_e32 v3, v3, v4
	v_ldexp_f32 v4, v13, v15
	v_fma_f32 v13, v5, s5, -v12
	v_rndne_f32_e32 v15, v12
	v_fmac_f32_e32 v13, 0x32a5705f, v5
	v_sub_f32_e32 v12, v12, v15
	v_add_f32_e32 v12, v12, v13
	v_exp_f32_e32 v12, v12
	v_cvt_i32_f32_e32 v13, v15
	v_cmp_ngt_f32_e32 vcc, s4, v11
	v_cndmask_b32_e32 v4, 0, v4, vcc
	v_cmp_nlt_f32_e32 vcc, s6, v11
	s_waitcnt vmcnt(3)
	v_sub_f32_e32 v10, v10, v9
	v_cndmask_b32_e32 v4, v2, v4, vcc
	v_mul_f32_e32 v11, 0x3fb8aa3b, v10
	v_add_f32_e32 v3, v3, v4
	v_ldexp_f32 v4, v12, v13
	v_fma_f32 v12, v10, s5, -v11
	v_rndne_f32_e32 v13, v11
	v_fmac_f32_e32 v12, 0x32a5705f, v10
	v_sub_f32_e32 v11, v11, v13
	v_add_f32_e32 v11, v11, v12
	v_exp_f32_e32 v11, v11
	v_cvt_i32_f32_e32 v12, v13
	v_cmp_ngt_f32_e32 vcc, s4, v5
	v_cndmask_b32_e32 v4, 0, v4, vcc
	v_cmp_nlt_f32_e32 vcc, s6, v5
	v_cndmask_b32_e32 v4, v2, v4, vcc
	v_add_f32_e32 v3, v3, v4
	v_ldexp_f32 v4, v11, v12
	s_waitcnt vmcnt(2)
	v_sub_f32_e32 v5, v14, v9
	buffer_load_dword v11, off, s[0:3], 0 offset:104
	v_mul_f32_e32 v12, 0x3fb8aa3b, v5
	v_fma_f32 v13, v5, s5, -v12
	v_rndne_f32_e32 v14, v12
	v_fmac_f32_e32 v13, 0x32a5705f, v5
	v_sub_f32_e32 v12, v12, v14
	v_add_f32_e32 v12, v12, v13
	v_exp_f32_e32 v12, v12
	v_cvt_i32_f32_e32 v13, v14
	v_cmp_ngt_f32_e32 vcc, s4, v10
	v_cndmask_b32_e32 v4, 0, v4, vcc
	v_cmp_nlt_f32_e32 vcc, s6, v10
	buffer_load_dword v10, off, s[0:3], 0 offset:108
	v_cndmask_b32_e32 v4, v2, v4, vcc
	v_add_f32_e32 v3, v3, v4
	v_ldexp_f32 v4, v12, v13
	s_waitcnt vmcnt(3)
	v_sub_f32_e32 v12, v16, v9
	v_mul_f32_e32 v13, 0x3fb8aa3b, v12
	v_fma_f32 v14, v12, s5, -v13
	v_rndne_f32_e32 v15, v13
	v_fmac_f32_e32 v14, 0x32a5705f, v12
	v_sub_f32_e32 v13, v13, v15
	v_cmp_ngt_f32_e32 vcc, s4, v5
	v_add_f32_e32 v13, v13, v14
	v_cndmask_b32_e32 v4, 0, v4, vcc
	v_exp_f32_e32 v13, v13
	v_cvt_i32_f32_e32 v14, v15
	v_cmp_nlt_f32_e32 vcc, s6, v5
	buffer_load_dword v5, off, s[0:3], 0 offset:112
	v_cndmask_b32_e32 v4, v2, v4, vcc
	v_add_f32_e32 v3, v3, v4
	v_ldexp_f32 v4, v13, v14
	v_mul_f32_e32 v13, 0x3fb8aa3b, v1
	v_fma_f32 v14, v1, s5, -v13
	v_rndne_f32_e32 v15, v13
	v_fmac_f32_e32 v14, 0x32a5705f, v1
	v_sub_f32_e32 v13, v13, v15
	v_cmp_ngt_f32_e32 vcc, s4, v12
	v_add_f32_e32 v13, v13, v14
	v_cndmask_b32_e32 v4, 0, v4, vcc
	v_exp_f32_e32 v13, v13
	v_cvt_i32_f32_e32 v14, v15
	v_cmp_nlt_f32_e32 vcc, s6, v12
	buffer_load_dword v12, off, s[0:3], 0 offset:116
	v_cndmask_b32_e32 v4, v2, v4, vcc
	v_add_f32_e32 v3, v3, v4
	v_ldexp_f32 v4, v13, v14
	v_cmp_ngt_f32_e32 vcc, s4, v1
	v_cndmask_b32_e32 v4, 0, v4, vcc
	v_mul_f32_e32 v13, 0x3fb8aa3b, v0
	v_cmp_nlt_f32_e32 vcc, s6, v1
	v_fma_f32 v14, v0, s5, -v13
	v_rndne_f32_e32 v15, v13
	v_cndmask_b32_e32 v1, v2, v4, vcc
	v_fmac_f32_e32 v14, 0x32a5705f, v0
	v_sub_f32_e32 v13, v13, v15
	v_add_f32_e32 v1, v3, v1
	buffer_load_dword v3, off, s[0:3], 0 offset:120
	v_add_f32_e32 v13, v13, v14
	v_exp_f32_e32 v13, v13
	v_cvt_i32_f32_e32 v14, v15
	v_cmp_ngt_f32_e32 vcc, s4, v0
	v_ldexp_f32 v4, v13, v14
	v_cndmask_b32_e32 v4, 0, v4, vcc
	v_cmp_nlt_f32_e32 vcc, s6, v0
	v_cndmask_b32_e32 v0, v2, v4, vcc
	buffer_load_dword v4, off, s[0:3], 0 offset:124
	s_waitcnt vmcnt(6)
	v_sub_f32_e32 v13, v17, v9
	v_mul_f32_e32 v14, 0x3fb8aa3b, v13
	v_fma_f32 v15, v13, s5, -v14
	v_rndne_f32_e32 v16, v14
	v_fmac_f32_e32 v15, 0x32a5705f, v13
	v_sub_f32_e32 v14, v14, v16
	v_add_f32_e32 v14, v14, v15
	v_exp_f32_e32 v14, v14
	v_cvt_i32_f32_e32 v15, v16
	v_add_f32_e32 v0, v1, v0
	v_cmp_ngt_f32_e32 vcc, s4, v13
	s_waitcnt vmcnt(5)
	v_sub_f32_e32 v11, v11, v9
	v_ldexp_f32 v1, v14, v15
	v_mul_f32_e32 v14, 0x3fb8aa3b, v11
	v_fma_f32 v15, v11, s5, -v14
	v_rndne_f32_e32 v16, v14
	v_fmac_f32_e32 v15, 0x32a5705f, v11
	v_sub_f32_e32 v14, v14, v16
	v_add_f32_e32 v14, v14, v15
	v_exp_f32_e32 v14, v14
	v_cvt_i32_f32_e32 v15, v16
	v_cndmask_b32_e32 v1, 0, v1, vcc
	v_cmp_nlt_f32_e32 vcc, s6, v13
	s_waitcnt vmcnt(4)
	v_sub_f32_e32 v10, v10, v9
	v_cndmask_b32_e32 v1, v2, v1, vcc
	v_mul_f32_e32 v13, 0x3fb8aa3b, v10
	v_add_f32_e32 v0, v0, v1
	v_ldexp_f32 v1, v14, v15
	v_fma_f32 v14, v10, s5, -v13
	v_rndne_f32_e32 v15, v13
	v_fmac_f32_e32 v14, 0x32a5705f, v10
	v_sub_f32_e32 v13, v13, v15
	v_add_f32_e32 v13, v13, v14
	v_exp_f32_e32 v13, v13
	v_cvt_i32_f32_e32 v14, v15
	v_cmp_ngt_f32_e32 vcc, s4, v11
	v_cndmask_b32_e32 v1, 0, v1, vcc
	v_cmp_nlt_f32_e32 vcc, s6, v11
	v_cndmask_b32_e32 v1, v2, v1, vcc
	s_waitcnt vmcnt(3)
	v_sub_f32_e32 v5, v5, v9
	v_mul_f32_e32 v11, 0x3fb8aa3b, v5
	v_add_f32_e32 v0, v0, v1
	v_ldexp_f32 v1, v13, v14
	v_fma_f32 v13, v5, s5, -v11
	v_rndne_f32_e32 v14, v11
	v_fmac_f32_e32 v13, 0x32a5705f, v5
	v_sub_f32_e32 v11, v11, v14
	v_add_f32_e32 v11, v11, v13
	v_exp_f32_e32 v11, v11
	v_cvt_i32_f32_e32 v13, v14
	v_cmp_ngt_f32_e32 vcc, s4, v10
	v_cndmask_b32_e32 v1, 0, v1, vcc
	v_cmp_nlt_f32_e32 vcc, s6, v10
	v_cndmask_b32_e32 v1, v2, v1, vcc
	s_waitcnt vmcnt(2)
	v_sub_f32_e32 v10, v12, v9
	v_add_f32_e32 v0, v0, v1
	v_ldexp_f32 v1, v11, v13
	v_mul_f32_e32 v11, 0x3fb8aa3b, v10
	v_fma_f32 v12, v10, s5, -v11
	v_rndne_f32_e32 v13, v11
	v_fmac_f32_e32 v12, 0x32a5705f, v10
	v_sub_f32_e32 v11, v11, v13
	v_add_f32_e32 v11, v11, v12
	v_exp_f32_e32 v11, v11
	v_cvt_i32_f32_e32 v12, v13
	v_cmp_ngt_f32_e32 vcc, s4, v5
	v_cndmask_b32_e32 v1, 0, v1, vcc
	v_cmp_nlt_f32_e32 vcc, s6, v5
	s_waitcnt vmcnt(1)
	v_sub_f32_e32 v3, v3, v9
	v_cndmask_b32_e32 v1, v2, v1, vcc
	v_mul_f32_e32 v5, 0x3fb8aa3b, v3
	v_add_f32_e32 v0, v0, v1
	v_ldexp_f32 v1, v11, v12
	v_fma_f32 v11, v3, s5, -v5
	v_rndne_f32_e32 v12, v5
	v_fmac_f32_e32 v11, 0x32a5705f, v3
	v_sub_f32_e32 v5, v5, v12
	v_add_f32_e32 v5, v5, v11
	v_exp_f32_e32 v5, v5
	v_cvt_i32_f32_e32 v11, v12
	v_cmp_ngt_f32_e32 vcc, s4, v10
	v_cndmask_b32_e32 v1, 0, v1, vcc
	v_cmp_nlt_f32_e32 vcc, s6, v10
	v_cndmask_b32_e32 v1, v2, v1, vcc
	s_waitcnt vmcnt(0)
	v_sub_f32_e32 v4, v4, v9
	v_add_f32_e32 v0, v0, v1
	v_ldexp_f32 v1, v5, v11
	v_mul_f32_e32 v5, 0x3fb8aa3b, v4
	v_fma_f32 v9, v4, s5, -v5
	v_rndne_f32_e32 v10, v5
	v_fmac_f32_e32 v9, 0x32a5705f, v4
	v_sub_f32_e32 v5, v5, v10
	v_add_f32_e32 v5, v5, v9
	v_exp_f32_e32 v5, v5
	v_cvt_i32_f32_e32 v9, v10
	v_cmp_ngt_f32_e32 vcc, s4, v3
	v_cndmask_b32_e32 v1, 0, v1, vcc
	v_cmp_nlt_f32_e32 vcc, s6, v3
	v_cndmask_b32_e32 v1, v2, v1, vcc
	v_add_f32_e32 v0, v0, v1
	v_ldexp_f32 v1, v5, v9
	v_cmp_ngt_f32_e32 vcc, s4, v4
	v_cndmask_b32_e32 v1, 0, v1, vcc
	v_cmp_nlt_f32_e32 vcc, s6, v4
	v_cndmask_b32_e32 v1, v2, v1, vcc
	v_add_f32_e32 v0, v0, v1
	v_cmp_eq_u32_e32 vcc, 0, v7
	s_nop 0
	v_mov_b32_dpp v1, v0 quad_perm:[1,0,3,2] row_mask:0xf bank_mask:0xf
	v_add_f32_e32 v0, v0, v1
	s_nop 1
	v_mov_b32_dpp v1, v0 quad_perm:[2,3,0,1] row_mask:0xf bank_mask:0xf
	v_add_f32_e32 v0, v0, v1
	s_nop 1
	v_mov_b32_dpp v1, v0 row_half_mirror row_mask:0xf bank_mask:0xf
	v_add_f32_e32 v0, v0, v1
	s_nop 1
	v_mov_b32_dpp v1, v0 row_mirror row_mask:0xf bank_mask:0xf
	s_and_b64 exec, exec, vcc
	s_cbranch_execz .LBB201_32
; %bb.20:
	v_add_f32_e32 v0, v0, v1
	v_add_f32_e32 v0, v8, v0
	v_cmp_neq_f32_e32 vcc, 0, v0
	s_and_b64 exec, exec, vcc
	s_cbranch_execz .LBB201_32
; %bb.21:
	s_andn2_b64 vcc, exec, s[10:11]
	s_cbranch_vccnz .LBB201_32
; %bb.22:
	v_div_scale_f32 v1, s[4:5], v0, v0, 1.0
	v_rcp_f32_e32 v2, v1
	v_div_scale_f32 v3, vcc, 1.0, v0, 1.0
	s_cmp_gt_u32 s12, 3
	v_fma_f32 v4, -v1, v2, 1.0
	v_fmac_f32_e32 v2, v4, v2
	v_mul_f32_e32 v4, v3, v2
	v_fma_f32 v5, -v1, v4, v3
	v_fmac_f32_e32 v4, v5, v2
	v_fma_f32 v1, -v1, v4, v3
	v_div_fmas_f32 v1, v1, v2, v4
	v_mul_lo_u32 v2, v6, s15
	v_div_fixup_f32 v0, v1, v0, 1.0
	v_ashrrev_i32_e32 v3, 31, v2
	s_cbranch_scc0 .LBB201_26
; %bb.23:
	v_lshlrev_b64 v[4:5], 2, v[2:3]
	v_mov_b32_e32 v6, s21
	v_add_co_u32_e32 v4, vcc, s20, v4
	v_addc_co_u32_e32 v5, vcc, v5, v6, vcc
	s_and_b32 s8, s12, 0x7ffffffc
	v_add_co_u32_e32 v4, vcc, 8, v4
	v_mov_b32_e32 v1, v0
	v_addc_co_u32_e32 v5, vcc, 0, v5, vcc
	s_mov_b32 s4, s8
.LBB201_24:                             ; =>This Inner Loop Header: Depth=1
	global_load_dwordx4 v[6:9], v[4:5], off offset:-8
	s_add_i32 s4, s4, -4
	s_cmp_lg_u32 s4, 0
	s_waitcnt vmcnt(0)
	v_pk_mul_f32 v[6:7], v[0:1], v[6:7]
	v_pk_mul_f32 v[8:9], v[0:1], v[8:9]
	global_store_dwordx4 v[4:5], v[6:9], off offset:-8
	v_add_co_u32_e32 v4, vcc, 16, v4
	v_addc_co_u32_e32 v5, vcc, 0, v5, vcc
	s_cbranch_scc1 .LBB201_24
; %bb.25:
	s_cmp_lg_u32 s8, s12
	s_mov_b64 s[6:7], 0
	s_cselect_b64 s[4:5], -1, 0
	s_branch .LBB201_27
.LBB201_26:
	s_mov_b64 s[6:7], -1
	s_mov_b64 s[4:5], 0
                                        ; implicit-def: $sgpr8
.LBB201_27:
	s_and_b64 vcc, exec, s[6:7]
	s_cbranch_vccz .LBB201_29
; %bb.28:
	s_mov_b64 s[4:5], -1
	s_mov_b32 s8, 0
.LBB201_29:
	s_andn2_b64 vcc, exec, s[4:5]
	s_cbranch_vccnz .LBB201_32
; %bb.30:
	v_add_co_u32_e32 v2, vcc, s8, v2
	v_addc_co_u32_e32 v3, vcc, 0, v3, vcc
	v_lshlrev_b64 v[2:3], 2, v[2:3]
	v_mov_b32_e32 v1, s21
	v_add_co_u32_e32 v2, vcc, s20, v2
	s_sub_i32 s4, s12, s8
	v_addc_co_u32_e32 v3, vcc, v1, v3, vcc
.LBB201_31:                             ; =>This Inner Loop Header: Depth=1
	global_load_dword v1, v[2:3], off
	s_add_i32 s4, s4, -1
	s_cmp_lg_u32 s4, 0
	s_waitcnt vmcnt(0)
	v_mul_f32_e32 v1, v0, v1
	global_store_dword v[2:3], v1, off
	v_add_co_u32_e32 v2, vcc, 4, v2
	v_addc_co_u32_e32 v3, vcc, 0, v3, vcc
	s_cbranch_scc1 .LBB201_31
.LBB201_32:
	s_endpgm
	.section	.rodata,"a",@progbits
	.p2align	6, 0x0
	.amdhsa_kernel _ZN4vllm3moe17topkGatingSoftmaxIDF16_Li32ELi512ELi2ELi64ELb0ELi2ELNS0_23SharedExpertScoringFuncE1EEEvPKT_PKbPfiPiS9_iiiiii
		.amdhsa_group_segment_fixed_size 0
		.amdhsa_private_segment_fixed_size 144
		.amdhsa_kernarg_size 72
		.amdhsa_user_sgpr_count 8
		.amdhsa_user_sgpr_private_segment_buffer 1
		.amdhsa_user_sgpr_dispatch_ptr 0
		.amdhsa_user_sgpr_queue_ptr 0
		.amdhsa_user_sgpr_kernarg_segment_ptr 1
		.amdhsa_user_sgpr_dispatch_id 0
		.amdhsa_user_sgpr_flat_scratch_init 1
		.amdhsa_user_sgpr_kernarg_preload_length 0
		.amdhsa_user_sgpr_kernarg_preload_offset 0
		.amdhsa_user_sgpr_private_segment_size 0
		.amdhsa_uses_dynamic_stack 0
		.amdhsa_system_sgpr_private_segment_wavefront_offset 1
		.amdhsa_system_sgpr_workgroup_id_x 1
		.amdhsa_system_sgpr_workgroup_id_y 0
		.amdhsa_system_sgpr_workgroup_id_z 0
		.amdhsa_system_sgpr_workgroup_info 0
		.amdhsa_system_vgpr_workitem_id 1
		.amdhsa_next_free_vgpr 61
		.amdhsa_next_free_sgpr 29
		.amdhsa_accum_offset 64
		.amdhsa_reserve_vcc 1
		.amdhsa_reserve_flat_scratch 0
		.amdhsa_float_round_mode_32 0
		.amdhsa_float_round_mode_16_64 0
		.amdhsa_float_denorm_mode_32 3
		.amdhsa_float_denorm_mode_16_64 3
		.amdhsa_dx10_clamp 1
		.amdhsa_ieee_mode 1
		.amdhsa_fp16_overflow 0
		.amdhsa_tg_split 0
		.amdhsa_exception_fp_ieee_invalid_op 0
		.amdhsa_exception_fp_denorm_src 0
		.amdhsa_exception_fp_ieee_div_zero 0
		.amdhsa_exception_fp_ieee_overflow 0
		.amdhsa_exception_fp_ieee_underflow 0
		.amdhsa_exception_fp_ieee_inexact 0
		.amdhsa_exception_int_div_zero 0
	.end_amdhsa_kernel
	.section	.text._ZN4vllm3moe17topkGatingSoftmaxIDF16_Li32ELi512ELi2ELi64ELb0ELi2ELNS0_23SharedExpertScoringFuncE1EEEvPKT_PKbPfiPiS9_iiiiii,"axG",@progbits,_ZN4vllm3moe17topkGatingSoftmaxIDF16_Li32ELi512ELi2ELi64ELb0ELi2ELNS0_23SharedExpertScoringFuncE1EEEvPKT_PKbPfiPiS9_iiiiii,comdat
.Lfunc_end201:
	.size	_ZN4vllm3moe17topkGatingSoftmaxIDF16_Li32ELi512ELi2ELi64ELb0ELi2ELNS0_23SharedExpertScoringFuncE1EEEvPKT_PKbPfiPiS9_iiiiii, .Lfunc_end201-_ZN4vllm3moe17topkGatingSoftmaxIDF16_Li32ELi512ELi2ELi64ELb0ELi2ELNS0_23SharedExpertScoringFuncE1EEEvPKT_PKbPfiPiS9_iiiiii
                                        ; -- End function
	.section	.AMDGPU.csdata,"",@progbits
; Kernel info:
; codeLenInByte = 7472
; NumSgprs: 33
; NumVgprs: 61
; NumAgprs: 0
; TotalNumVgprs: 61
; ScratchSize: 144
; MemoryBound: 0
; FloatMode: 240
; IeeeMode: 1
; LDSByteSize: 0 bytes/workgroup (compile time only)
; SGPRBlocks: 4
; VGPRBlocks: 7
; NumSGPRsForWavesPerEU: 33
; NumVGPRsForWavesPerEU: 61
; AccumOffset: 64
; Occupancy: 8
; WaveLimiterHint : 0
; COMPUTE_PGM_RSRC2:SCRATCH_EN: 1
; COMPUTE_PGM_RSRC2:USER_SGPR: 8
; COMPUTE_PGM_RSRC2:TRAP_HANDLER: 0
; COMPUTE_PGM_RSRC2:TGID_X_EN: 1
; COMPUTE_PGM_RSRC2:TGID_Y_EN: 0
; COMPUTE_PGM_RSRC2:TGID_Z_EN: 0
; COMPUTE_PGM_RSRC2:TIDIG_COMP_CNT: 1
; COMPUTE_PGM_RSRC3_GFX90A:ACCUM_OFFSET: 15
; COMPUTE_PGM_RSRC3_GFX90A:TG_SPLIT: 0
	.section	.text._ZN4vllm3moe17topkGatingSoftmaxIDF16_Li32ELi512ELi2ELi64ELb1ELi4ELNS0_23SharedExpertScoringFuncE1EEEvPKT_PKbPfiPiS9_iiiiii,"axG",@progbits,_ZN4vllm3moe17topkGatingSoftmaxIDF16_Li32ELi512ELi2ELi64ELb1ELi4ELNS0_23SharedExpertScoringFuncE1EEEvPKT_PKbPfiPiS9_iiiiii,comdat
	.protected	_ZN4vllm3moe17topkGatingSoftmaxIDF16_Li32ELi512ELi2ELi64ELb1ELi4ELNS0_23SharedExpertScoringFuncE1EEEvPKT_PKbPfiPiS9_iiiiii ; -- Begin function _ZN4vllm3moe17topkGatingSoftmaxIDF16_Li32ELi512ELi2ELi64ELb1ELi4ELNS0_23SharedExpertScoringFuncE1EEEvPKT_PKbPfiPiS9_iiiiii
	.globl	_ZN4vllm3moe17topkGatingSoftmaxIDF16_Li32ELi512ELi2ELi64ELb1ELi4ELNS0_23SharedExpertScoringFuncE1EEEvPKT_PKbPfiPiS9_iiiiii
	.p2align	8
	.type	_ZN4vllm3moe17topkGatingSoftmaxIDF16_Li32ELi512ELi2ELi64ELb1ELi4ELNS0_23SharedExpertScoringFuncE1EEEvPKT_PKbPfiPiS9_iiiiii,@function
_ZN4vllm3moe17topkGatingSoftmaxIDF16_Li32ELi512ELi2ELi64ELb1ELi4ELNS0_23SharedExpertScoringFuncE1EEEvPKT_PKbPfiPiS9_iiiiii: ; @_ZN4vllm3moe17topkGatingSoftmaxIDF16_Li32ELi512ELi2ELi64ELb1ELi4ELNS0_23SharedExpertScoringFuncE1EEEvPKT_PKbPfiPiS9_iiiiii
; %bb.0:
	s_load_dword s28, s[4:5], 0x18
	s_add_u32 s0, s0, s9
	v_bfe_u32 v1, v0, 10, 10
	v_and_b32_e32 v0, 0x3ff, v0
	s_addc_u32 s1, s1, 0
	s_lshl_b32 s29, s8, 3
	v_lshlrev_b32_e32 v41, 2, v1
	v_lshrrev_b32_e32 v42, 4, v0
	v_add3_u32 v6, s29, v41, v42
	s_waitcnt lgkmcnt(0)
	v_cmp_gt_i32_e32 vcc, s28, v6
	s_and_saveexec_b64 s[6:7], vcc
	s_cbranch_execz .LBB202_29
; %bb.1:
	s_load_dwordx4 s[8:11], s[4:5], 0x0
	s_load_dwordx2 s[20:21], s[4:5], 0x10
	s_waitcnt lgkmcnt(0)
	s_cmp_eq_u64 s[10:11], 0
	s_cbranch_scc1 .LBB202_3
; %bb.2:
	v_ashrrev_i32_e32 v1, 31, v6
	v_mov_b32_e32 v3, s11
	v_add_co_u32_e32 v2, vcc, s10, v6
	v_addc_co_u32_e32 v3, vcc, v3, v1, vcc
	global_load_ubyte v1, v[2:3], off
	s_waitcnt vmcnt(0)
	v_and_b32_e32 v1, 1, v1
	v_cmp_eq_u32_e32 vcc, 1, v1
	s_xor_b64 s[6:7], vcc, -1
	s_orn2_b64 s[22:23], s[6:7], exec
	s_branch .LBB202_4
.LBB202_3:
	s_mov_b64 s[22:23], -1
.LBB202_4:
	s_load_dwordx2 s[26:27], s[4:5], 0x40
	s_load_dwordx4 s[12:15], s[4:5], 0x30
	v_mov_b32_e32 v1, s9
	v_and_b32_e32 v7, 15, v0
	v_lshlrev_b32_e32 v0, 6, v7
	s_waitcnt lgkmcnt(0)
	v_mul_lo_u32 v2, v6, s27
	v_ashrrev_i32_e32 v3, 31, v2
	v_lshlrev_b64 v[2:3], 1, v[2:3]
	v_add_co_u32_e32 v10, vcc, s8, v2
	v_addc_co_u32_e32 v27, vcc, v1, v3, vcc
	v_add_co_u32_e32 v4, vcc, v10, v0
	v_addc_co_u32_e32 v5, vcc, 0, v27, vcc
	global_load_dwordx4 v[0:3], v[4:5], off
	global_load_dwordx4 v[22:25], v[4:5], off offset:16
	global_load_dwordx4 v[28:31], v[4:5], off offset:32
	;; [unrolled: 1-line block ×3, first 2 shown]
	v_mov_b32_e32 v8, 0
	v_lshlrev_b32_e32 v9, 5, v7
	v_cmp_gt_u32_e32 vcc, 4, v7
	s_waitcnt vmcnt(3)
	v_cvt_f32_f16_e32 v11, v0
	v_cvt_f32_f16_sdwa v26, v0 dst_sel:DWORD dst_unused:UNUSED_PAD src0_sel:WORD_1
	v_cvt_f32_f16_e32 v12, v1
	v_cvt_f32_f16_sdwa v13, v1 dst_sel:DWORD dst_unused:UNUSED_PAD src0_sel:WORD_1
	v_cvt_f32_f16_e32 v14, v2
	v_cvt_f32_f16_sdwa v15, v2 dst_sel:DWORD dst_unused:UNUSED_PAD src0_sel:WORD_1
	v_cvt_f32_f16_e32 v16, v3
	v_cvt_f32_f16_sdwa v17, v3 dst_sel:DWORD dst_unused:UNUSED_PAD src0_sel:WORD_1
	s_waitcnt vmcnt(2)
	v_cvt_f32_f16_e32 v18, v22
	v_cvt_f32_f16_sdwa v19, v22 dst_sel:DWORD dst_unused:UNUSED_PAD src0_sel:WORD_1
	v_cvt_f32_f16_e32 v20, v23
	v_cvt_f32_f16_sdwa v21, v23 dst_sel:DWORD dst_unused:UNUSED_PAD src0_sel:WORD_1
	;; [unrolled: 2-line block ×4, first 2 shown]
	s_waitcnt vmcnt(1)
	v_cvt_f32_f16_e32 v5, v28
	v_cvt_f32_f16_sdwa v4, v28 dst_sel:DWORD dst_unused:UNUSED_PAD src0_sel:WORD_1
	v_cvt_f32_f16_e32 v3, v29
	v_cvt_f32_f16_sdwa v2, v29 dst_sel:DWORD dst_unused:UNUSED_PAD src0_sel:WORD_1
	v_cvt_f32_f16_e32 v1, v30
	s_waitcnt vmcnt(0)
	v_cvt_f32_f16_e32 v37, v35
	v_cvt_f32_f16_e32 v38, v34
	v_cvt_f32_f16_sdwa v36, v33 dst_sel:DWORD dst_unused:UNUSED_PAD src0_sel:WORD_1
	v_cvt_f32_f16_e32 v33, v33
	v_cvt_f32_f16_sdwa v28, v30 dst_sel:DWORD dst_unused:UNUSED_PAD src0_sel:WORD_1
	v_cvt_f32_f16_sdwa v29, v31 dst_sel:DWORD dst_unused:UNUSED_PAD src0_sel:WORD_1
	v_cvt_f32_f16_e32 v30, v31
	v_cvt_f32_f16_sdwa v31, v32 dst_sel:DWORD dst_unused:UNUSED_PAD src0_sel:WORD_1
	v_cvt_f32_f16_e32 v32, v32
	v_cvt_f32_f16_sdwa v34, v34 dst_sel:DWORD dst_unused:UNUSED_PAD src0_sel:WORD_1
	v_cvt_f32_f16_sdwa v35, v35 dst_sel:DWORD dst_unused:UNUSED_PAD src0_sel:WORD_1
	buffer_store_dword v37, off, s[0:3], 0 offset:120
	buffer_store_dword v38, off, s[0:3], 0 offset:112
	;; [unrolled: 1-line block ×15, first 2 shown]
	buffer_store_dword v11, off, s[0:3], 0
	buffer_store_dword v35, off, s[0:3], 0 offset:124
	buffer_store_dword v34, off, s[0:3], 0 offset:116
	;; [unrolled: 1-line block ×16, first 2 shown]
	s_and_saveexec_b64 s[6:7], vcc
	s_cbranch_execz .LBB202_6
; %bb.5:
	v_lshlrev_b32_e32 v28, 1, v7
	v_add_co_u32_e32 v28, vcc, v10, v28
	v_addc_co_u32_e32 v29, vcc, 0, v27, vcc
	global_load_ushort v10, v[28:29], off offset:1024
	s_mov_b32 s8, 0x3fb8aa3b
	s_mov_b32 s9, 0x32a5705f
	;; [unrolled: 1-line block ×4, first 2 shown]
	v_mov_b32_e32 v31, 0x7f800000
	v_mul_lo_u32 v27, v6, s15
	v_mov_b32_e32 v33, s21
	s_waitcnt vmcnt(0)
	v_cvt_f32_f16_e64 v30, -v10
	v_mul_f32_e32 v28, 0x3fb8aa3b, v30
	v_fma_mix_f32 v29, -v10, s8, -v28 op_sel_hi:[1,0,0]
	v_rndne_f32_e32 v32, v28
	v_fma_mix_f32 v10, -v10, s9, v29 op_sel_hi:[1,0,0]
	v_sub_f32_e32 v28, v28, v32
	v_add_f32_e32 v10, v28, v10
	v_cvt_i32_f32_e32 v32, v32
	v_exp_f32_e32 v10, v10
	v_cmp_ngt_f32_e32 vcc, s10, v30
	v_add3_u32 v28, v27, s12, v7
	v_ashrrev_i32_e32 v29, 31, v28
	v_ldexp_f32 v10, v10, v32
	v_cndmask_b32_e32 v10, 0, v10, vcc
	v_cmp_nlt_f32_e32 vcc, s11, v30
	v_cndmask_b32_e32 v10, v31, v10, vcc
	v_add_f32_e32 v10, 1.0, v10
	v_div_scale_f32 v27, s[8:9], v10, v10, 1.0
	v_rcp_f32_e32 v30, v27
	v_div_scale_f32 v31, vcc, 1.0, v10, 1.0
	v_lshlrev_b64 v[28:29], 2, v[28:29]
	v_fma_f32 v32, -v27, v30, 1.0
	v_fmac_f32_e32 v30, v32, v30
	v_mul_f32_e32 v32, v31, v30
	v_fma_f32 v34, -v27, v32, v31
	v_fmac_f32_e32 v32, v34, v30
	v_fma_f32 v27, -v27, v32, v31
	v_div_fmas_f32 v27, v27, v30, v32
	v_add_co_u32_e32 v28, vcc, s20, v28
	v_div_fixup_f32 v10, v27, v10, 1.0
	v_addc_co_u32_e32 v29, vcc, v33, v29, vcc
	global_store_dword v[28:29], v10, off
.LBB202_6:
	s_or_b64 exec, exec, s[6:7]
	buffer_load_dword v31, off, s[0:3], 0 offset:84
	buffer_load_dword v32, off, s[0:3], 0 offset:88
	;; [unrolled: 1-line block ×11, first 2 shown]
	v_cmp_lt_f16_sdwa vcc, v0, v0 src0_sel:DWORD src1_sel:WORD_1
	v_or_b32_e32 v10, 1, v9
	v_cndmask_b32_e32 v26, v11, v26, vcc
	v_cndmask_b32_e32 v0, v9, v10, vcc
	v_cmp_lt_f32_e32 vcc, v26, v12
	v_or_b32_e32 v11, 2, v9
	v_cndmask_b32_e32 v26, v26, v12, vcc
	v_cndmask_b32_e32 v0, v0, v11, vcc
	v_cmp_lt_f32_e32 vcc, v26, v13
	;; [unrolled: 4-line block ×19, first 2 shown]
	v_or_b32_e32 v29, 20, v9
	v_cndmask_b32_e32 v1, v2, v1, vcc
	v_cndmask_b32_e32 v0, v0, v29, vcc
	s_waitcnt vmcnt(10)
	v_cmp_lt_f32_e32 vcc, v1, v31
	v_or_b32_e32 v30, 21, v9
	v_cndmask_b32_e32 v1, v1, v31, vcc
	v_cndmask_b32_e32 v0, v0, v30, vcc
	s_waitcnt vmcnt(9)
	v_cmp_lt_f32_e32 vcc, v1, v32
	;; [unrolled: 5-line block ×10, first 2 shown]
	v_or_b32_e32 v39, 30, v9
	v_cndmask_b32_e32 v1, v1, v40, vcc
	v_cndmask_b32_e32 v0, v0, v39, vcc
	v_or_b32_e32 v40, 31, v9
	s_waitcnt vmcnt(0)
	v_cmp_lt_f32_e32 vcc, v1, v43
	v_cndmask_b32_e32 v0, v0, v40, vcc
	v_cndmask_b32_e32 v1, v1, v43, vcc
	s_nop 0
	v_mov_b32_dpp v2, v0 quad_perm:[1,0,3,2] row_mask:0xf bank_mask:0xf
	v_mov_b32_dpp v3, v1 quad_perm:[1,0,3,2] row_mask:0xf bank_mask:0xf
	v_cmp_eq_f32_e64 s[6:7], v1, v3
	v_cmp_lt_i32_e64 s[8:9], v2, v0
	v_cmp_lt_f32_e32 vcc, v1, v3
	s_and_b64 s[6:7], s[6:7], s[8:9]
	s_or_b64 vcc, vcc, s[6:7]
	v_cndmask_b32_e32 v1, v1, v3, vcc
	v_cndmask_b32_e32 v0, v0, v2, vcc
	s_nop 0
	v_mov_b32_dpp v3, v1 quad_perm:[2,3,0,1] row_mask:0xf bank_mask:0xf
	v_mov_b32_dpp v2, v0 quad_perm:[2,3,0,1] row_mask:0xf bank_mask:0xf
	v_cmp_eq_f32_e64 s[6:7], v1, v3
	v_cmp_lt_i32_e64 s[8:9], v2, v0
	v_cmp_lt_f32_e32 vcc, v1, v3
	s_and_b64 s[6:7], s[6:7], s[8:9]
	s_or_b64 vcc, vcc, s[6:7]
	v_cndmask_b32_e32 v1, v1, v3, vcc
	v_cndmask_b32_e32 v2, v0, v2, vcc
	s_nop 0
	v_mov_b32_dpp v0, v1 row_half_mirror row_mask:0xf bank_mask:0xf
	v_mov_b32_dpp v3, v2 row_half_mirror row_mask:0xf bank_mask:0xf
	v_cmp_eq_f32_e64 s[6:7], v1, v0
	v_cmp_lt_i32_e64 s[8:9], v3, v2
	v_cmp_lt_f32_e32 vcc, v1, v0
	s_and_b64 s[6:7], s[6:7], s[8:9]
	s_or_b64 vcc, vcc, s[6:7]
	v_cndmask_b32_e32 v0, v1, v0, vcc
	v_cndmask_b32_e32 v1, v2, v3, vcc
	s_cmp_gt_i32 s12, 0
	v_mov_b32_dpp v3, v0 row_mirror row_mask:0xf bank_mask:0xf
	v_mov_b32_dpp v2, v1 row_mirror row_mask:0xf bank_mask:0xf
	s_cselect_b64 s[24:25], -1, 0
	s_cmp_lt_i32 s12, 1
	v_cmp_eq_u32_e32 vcc, 0, v7
	s_cbranch_scc1 .LBB202_18
; %bb.7:
	s_load_dwordx4 s[16:19], s[4:5], 0x20
	v_cmp_eq_f32_e64 s[8:9], v0, v3
	v_cmp_lt_i32_e64 s[10:11], v2, v1
	v_cmp_lt_f32_e64 s[6:7], v0, v3
	s_and_b64 s[8:9], s[8:9], s[10:11]
	s_or_b64 s[6:7], s[6:7], s[8:9]
	v_cndmask_b32_e64 v44, v1, v2, s[6:7]
	v_cndmask_b32_e64 v43, v0, v3, s[6:7]
	v_mul_lo_u32 v4, v6, s15
	v_mul_lo_u32 v2, v6, s26
	;; [unrolled: 1-line block ×3, first 2 shown]
	v_mov_b32_e32 v8, 0
	s_and_saveexec_b64 s[8:9], vcc
	s_cbranch_execz .LBB202_9
; %bb.8:
	v_sub_f32_e32 v1, v43, v43
	v_mul_f32_e32 v3, 0x3fb8aa3b, v1
	s_mov_b32 s4, 0x3fb8aa3b
	v_rndne_f32_e32 v5, v3
	v_sub_f32_e32 v8, v3, v5
	v_fma_f32 v3, v1, s4, -v3
	v_fmac_f32_e32 v3, 0x32a5705f, v1
	v_add_f32_e32 v3, v8, v3
	v_exp_f32_e32 v3, v3
	v_cvt_i32_f32_e32 v5, v5
	v_cmp_le_i32_e64 s[4:5], s13, v44
	v_cmp_gt_i32_e64 s[6:7], s14, v44
	s_and_b64 s[6:7], s[4:5], s[6:7]
	s_mov_b32 s4, 0xc2ce8ed0
	v_ldexp_f32 v3, v3, v5
	v_cmp_ngt_f32_e64 s[4:5], s4, v1
	v_cndmask_b32_e64 v3, 0, v3, s[4:5]
	s_mov_b32 s4, 0x42b17218
	v_mov_b32_e32 v5, 0x7f800000
	v_cmp_nlt_f32_e64 s[4:5], s4, v1
	v_cndmask_b32_e64 v8, v5, v3, s[4:5]
	v_ashrrev_i32_e32 v5, 31, v4
	v_lshlrev_b64 v[46:47], 2, v[4:5]
	v_mov_b32_e32 v1, s21
	v_add_co_u32_e64 v46, s[4:5], s20, v46
	v_addc_co_u32_e64 v47, s[4:5], v1, v47, s[4:5]
	v_subrev_u32_e32 v1, s13, v44
	v_mov_b32_e32 v3, 0x200
	s_and_b64 s[4:5], s[22:23], s[6:7]
	v_cndmask_b32_e64 v1, v3, v1, s[4:5]
	v_ashrrev_i32_e32 v3, 31, v2
	global_store_dword v[46:47], v8, off
	v_lshlrev_b64 v[46:47], 2, v[2:3]
	s_waitcnt lgkmcnt(0)
	v_mov_b32_e32 v3, s17
	v_add_co_u32_e64 v46, s[4:5], s16, v46
	v_addc_co_u32_e64 v47, s[4:5], v3, v47, s[4:5]
	global_store_dword v[46:47], v1, off
	v_ashrrev_i32_e32 v1, 31, v0
	v_lshlrev_b64 v[46:47], 2, v[0:1]
	v_mov_b32_e32 v1, s19
	v_add_co_u32_e64 v46, s[4:5], s18, v46
	v_addc_co_u32_e64 v47, s[4:5], v1, v47, s[4:5]
	global_store_dword v[46:47], v6, off
.LBB202_9:
	s_or_b64 exec, exec, s[8:9]
	v_ashrrev_i32_e32 v3, 31, v44
	v_lshrrev_b32_e32 v1, 27, v3
	v_add_u32_e32 v1, v44, v1
	v_ashrrev_i32_e32 v1, 5, v1
	v_lshrrev_b32_e32 v5, 28, v1
	v_add_u32_e32 v5, v1, v5
	v_and_b32_e32 v5, -16, v5
	v_sub_u32_e32 v5, v1, v5
	v_cmp_eq_u32_e64 s[4:5], v7, v5
	s_and_saveexec_b64 s[6:7], s[4:5]
	s_cbranch_execz .LBB202_11
; %bb.10:
	v_lshrrev_b32_e32 v3, 23, v3
	v_add_u32_e32 v3, v44, v3
	v_lshlrev_b32_e32 v1, 5, v1
	v_ashrrev_i32_e32 v3, 9, v3
	v_sub_u32_e32 v1, v44, v1
	v_lshl_add_u32 v1, v3, 5, v1
	v_mov_b32_e32 v3, 0
	v_lshl_add_u32 v1, v1, 2, v3
	v_mov_b32_e32 v3, 0xff800000
	buffer_store_dword v3, v1, s[0:3], 0 offen
.LBB202_11:
	s_or_b64 exec, exec, s[6:7]
	s_cmp_eq_u32 s12, 1
	s_cbranch_scc1 .LBB202_18
; %bb.12:
	s_add_i32 s29, s29, s28
	s_add_i32 s10, s12, -1
	v_add3_u32 v41, s29, v42, v41
	v_add_u32_e32 v0, 1, v0
	v_add_u32_e32 v2, 1, v2
	;; [unrolled: 1-line block ×3, first 2 shown]
	s_mov_b32 s11, 0x3fb8aa3b
	s_mov_b32 s26, 0xc2ce8ed0
	;; [unrolled: 1-line block ×3, first 2 shown]
	v_mov_b32_e32 v42, 0
	v_mov_b32_e32 v44, 0xff800000
	;; [unrolled: 1-line block ×4, first 2 shown]
	s_branch .LBB202_14
.LBB202_13:                             ;   in Loop: Header=BB202_14 Depth=1
	s_or_b64 exec, exec, s[6:7]
	s_add_i32 s10, s10, -1
	v_add_u32_e32 v41, s28, v41
	v_add_u32_e32 v0, 1, v0
	;; [unrolled: 1-line block ×3, first 2 shown]
	s_cmp_eq_u32 s10, 0
	v_add_u32_e32 v4, 1, v4
	s_cbranch_scc1 .LBB202_18
.LBB202_14:                             ; =>This Inner Loop Header: Depth=1
	buffer_load_dword v1, off, s[0:3], 0
	buffer_load_dword v3, off, s[0:3], 0 offset:4
	buffer_load_dword v5, off, s[0:3], 0 offset:8
	buffer_load_dword v47, off, s[0:3], 0 offset:12
	buffer_load_dword v48, off, s[0:3], 0 offset:16
	buffer_load_dword v49, off, s[0:3], 0 offset:20
	buffer_load_dword v50, off, s[0:3], 0 offset:24
	buffer_load_dword v51, off, s[0:3], 0 offset:28
	buffer_load_dword v52, off, s[0:3], 0 offset:32
	buffer_load_dword v53, off, s[0:3], 0 offset:36
	buffer_load_dword v54, off, s[0:3], 0 offset:40
	buffer_load_dword v55, off, s[0:3], 0 offset:44
	buffer_load_dword v56, off, s[0:3], 0 offset:48
	buffer_load_dword v57, off, s[0:3], 0 offset:52
	buffer_load_dword v58, off, s[0:3], 0 offset:56
	buffer_load_dword v59, off, s[0:3], 0 offset:60
	s_waitcnt vmcnt(14)
	v_cmp_gt_f32_e64 s[4:5], v3, v1
	v_cndmask_b32_e64 v1, v1, v3, s[4:5]
	v_cndmask_b32_e64 v60, v9, v10, s[4:5]
	s_waitcnt vmcnt(13)
	v_cmp_gt_f32_e64 s[4:5], v5, v1
	v_cndmask_b32_e64 v1, v1, v5, s[4:5]
	buffer_load_dword v5, off, s[0:3], 0 offset:64
	v_cndmask_b32_e64 v3, v60, v11, s[4:5]
	s_waitcnt vmcnt(13)
	v_cmp_gt_f32_e64 s[4:5], v47, v1
	v_cndmask_b32_e64 v1, v1, v47, s[4:5]
	v_cndmask_b32_e64 v3, v3, v12, s[4:5]
	s_waitcnt vmcnt(12)
	v_cmp_gt_f32_e64 s[4:5], v48, v1
	v_cndmask_b32_e64 v1, v1, v48, s[4:5]
	;; [unrolled: 4-line block ×14, first 2 shown]
	buffer_load_dword v5, off, s[0:3], 0 offset:68
	v_cndmask_b32_e64 v3, v3, v25, s[4:5]
	s_waitcnt vmcnt(0)
	v_cmp_gt_f32_e64 s[4:5], v5, v1
	v_cndmask_b32_e64 v1, v1, v5, s[4:5]
	buffer_load_dword v5, off, s[0:3], 0 offset:72
	v_cndmask_b32_e64 v3, v3, v26, s[4:5]
	s_waitcnt vmcnt(0)
	v_cmp_gt_f32_e64 s[4:5], v5, v1
	v_cndmask_b32_e64 v1, v1, v5, s[4:5]
	;; [unrolled: 5-line block ×15, first 2 shown]
	v_cndmask_b32_e64 v1, v1, v5, s[4:5]
	s_nop 0
	v_mov_b32_dpp v5, v3 quad_perm:[1,0,3,2] row_mask:0xf bank_mask:0xf
	v_mov_b32_dpp v47, v1 quad_perm:[1,0,3,2] row_mask:0xf bank_mask:0xf
	v_cmp_eq_f32_e64 s[6:7], v1, v47
	v_cmp_lt_i32_e64 s[8:9], v5, v3
	v_cmp_lt_f32_e64 s[4:5], v1, v47
	s_and_b64 s[6:7], s[6:7], s[8:9]
	s_or_b64 s[4:5], s[4:5], s[6:7]
	v_cndmask_b32_e64 v1, v1, v47, s[4:5]
	v_cndmask_b32_e64 v3, v3, v5, s[4:5]
	s_nop 0
	v_mov_b32_dpp v47, v1 quad_perm:[2,3,0,1] row_mask:0xf bank_mask:0xf
	v_mov_b32_dpp v5, v3 quad_perm:[2,3,0,1] row_mask:0xf bank_mask:0xf
	v_cmp_eq_f32_e64 s[6:7], v1, v47
	v_cmp_lt_i32_e64 s[8:9], v5, v3
	v_cmp_lt_f32_e64 s[4:5], v1, v47
	s_and_b64 s[6:7], s[6:7], s[8:9]
	s_or_b64 s[4:5], s[4:5], s[6:7]
	v_cndmask_b32_e64 v1, v1, v47, s[4:5]
	v_cndmask_b32_e64 v3, v3, v5, s[4:5]
	s_nop 0
	v_mov_b32_dpp v47, v1 row_half_mirror row_mask:0xf bank_mask:0xf
	v_mov_b32_dpp v5, v3 row_half_mirror row_mask:0xf bank_mask:0xf
	v_cmp_eq_f32_e64 s[6:7], v1, v47
	v_cmp_lt_i32_e64 s[8:9], v5, v3
	v_cmp_lt_f32_e64 s[4:5], v1, v47
	s_and_b64 s[6:7], s[6:7], s[8:9]
	s_or_b64 s[4:5], s[4:5], s[6:7]
	v_cndmask_b32_e64 v1, v1, v47, s[4:5]
	v_cndmask_b32_e64 v5, v3, v5, s[4:5]
	s_nop 0
	v_mov_b32_dpp v3, v1 row_mirror row_mask:0xf bank_mask:0xf
	v_mov_b32_dpp v47, v5 row_mirror row_mask:0xf bank_mask:0xf
	v_cmp_eq_f32_e64 s[6:7], v1, v3
	v_cmp_lt_i32_e64 s[8:9], v47, v5
	v_cmp_lt_f32_e64 s[4:5], v1, v3
	s_and_b64 s[6:7], s[6:7], s[8:9]
	s_or_b64 s[4:5], s[4:5], s[6:7]
	v_cndmask_b32_e64 v47, v5, v47, s[4:5]
	s_and_saveexec_b64 s[8:9], vcc
	s_cbranch_execz .LBB202_16
; %bb.15:                               ;   in Loop: Header=BB202_14 Depth=1
	v_cndmask_b32_e64 v1, v1, v3, s[4:5]
	v_sub_f32_e32 v1, v1, v43
	v_mul_f32_e32 v3, 0x3fb8aa3b, v1
	v_fma_f32 v5, v1, s11, -v3
	v_rndne_f32_e32 v48, v3
	v_fmac_f32_e32 v5, 0x32a5705f, v1
	v_sub_f32_e32 v3, v3, v48
	v_add_f32_e32 v3, v3, v5
	v_exp_f32_e32 v3, v3
	v_cvt_i32_f32_e32 v5, v48
	v_cmp_le_i32_e64 s[4:5], s13, v47
	v_cmp_gt_i32_e64 s[6:7], s14, v47
	s_and_b64 s[6:7], s[4:5], s[6:7]
	v_ldexp_f32 v3, v3, v5
	v_cmp_ngt_f32_e64 s[4:5], s26, v1
	v_ashrrev_i32_e32 v5, 31, v4
	v_cndmask_b32_e64 v3, 0, v3, s[4:5]
	v_cmp_nlt_f32_e64 s[4:5], s27, v1
	v_lshlrev_b64 v[48:49], 2, v[4:5]
	v_cndmask_b32_e64 v50, v45, v3, s[4:5]
	v_mov_b32_e32 v1, s21
	v_add_co_u32_e64 v48, s[4:5], s20, v48
	v_addc_co_u32_e64 v49, s[4:5], v1, v49, s[4:5]
	v_ashrrev_i32_e32 v3, 31, v2
	global_store_dword v[48:49], v50, off
	v_subrev_u32_e32 v1, s13, v47
	s_and_b64 s[4:5], s[22:23], s[6:7]
	v_lshlrev_b64 v[48:49], 2, v[2:3]
	v_cndmask_b32_e64 v1, v46, v1, s[4:5]
	s_waitcnt lgkmcnt(0)
	v_mov_b32_e32 v3, s17
	v_add_co_u32_e64 v48, s[4:5], s16, v48
	v_addc_co_u32_e64 v49, s[4:5], v3, v49, s[4:5]
	global_store_dword v[48:49], v1, off
	v_ashrrev_i32_e32 v1, 31, v0
	v_lshlrev_b64 v[48:49], 2, v[0:1]
	v_mov_b32_e32 v1, s19
	v_add_co_u32_e64 v48, s[4:5], s18, v48
	v_addc_co_u32_e64 v49, s[4:5], v1, v49, s[4:5]
	v_add_f32_e32 v8, v8, v50
	global_store_dword v[48:49], v41, off
.LBB202_16:                             ;   in Loop: Header=BB202_14 Depth=1
	s_or_b64 exec, exec, s[8:9]
	v_ashrrev_i32_e32 v3, 31, v47
	v_lshrrev_b32_e32 v1, 27, v3
	v_add_u32_e32 v1, v47, v1
	v_ashrrev_i32_e32 v1, 5, v1
	v_lshrrev_b32_e32 v5, 28, v1
	v_add_u32_e32 v5, v1, v5
	v_and_b32_e32 v5, -16, v5
	v_sub_u32_e32 v5, v1, v5
	v_cmp_eq_u32_e64 s[4:5], v7, v5
	s_and_saveexec_b64 s[6:7], s[4:5]
	s_cbranch_execz .LBB202_13
; %bb.17:                               ;   in Loop: Header=BB202_14 Depth=1
	v_lshrrev_b32_e32 v3, 23, v3
	v_add_u32_e32 v3, v47, v3
	v_lshlrev_b32_e32 v1, 5, v1
	v_ashrrev_i32_e32 v3, 9, v3
	v_sub_u32_e32 v1, v47, v1
	v_lshl_add_u32 v1, v3, 5, v1
	v_lshl_add_u32 v1, v1, 2, v42
	buffer_store_dword v44, v1, s[0:3], 0 offen
	s_branch .LBB202_13
.LBB202_18:
	v_cmp_eq_u32_e32 vcc, 0, v7
	v_cmp_neq_f32_e64 s[4:5], 0, v8
	s_and_b64 s[4:5], vcc, s[4:5]
	s_and_b64 exec, exec, s[4:5]
	s_cbranch_execz .LBB202_29
; %bb.19:
	s_andn2_b64 vcc, exec, s[24:25]
	s_cbranch_vccnz .LBB202_29
; %bb.20:
	v_div_scale_f32 v0, s[4:5], v8, v8, 1.0
	v_rcp_f32_e32 v1, v0
	v_div_scale_f32 v2, vcc, 1.0, v8, 1.0
	s_cmp_gt_u32 s12, 3
	v_fma_f32 v3, -v0, v1, 1.0
	v_fmac_f32_e32 v1, v3, v1
	v_mul_f32_e32 v3, v2, v1
	v_fma_f32 v4, -v0, v3, v2
	v_fmac_f32_e32 v3, v4, v1
	v_fma_f32 v0, -v0, v3, v2
	v_div_fmas_f32 v0, v0, v1, v3
	v_mul_lo_u32 v2, v6, s15
	v_div_fixup_f32 v0, v0, v8, 1.0
	v_ashrrev_i32_e32 v3, 31, v2
	s_cbranch_scc0 .LBB202_24
; %bb.21:
	v_lshlrev_b64 v[4:5], 2, v[2:3]
	v_mov_b32_e32 v6, s21
	v_add_co_u32_e32 v4, vcc, s20, v4
	v_addc_co_u32_e32 v5, vcc, v5, v6, vcc
	s_and_b32 s8, s12, 0x7ffffffc
	v_add_co_u32_e32 v4, vcc, 8, v4
	v_mov_b32_e32 v1, v0
	v_addc_co_u32_e32 v5, vcc, 0, v5, vcc
	s_mov_b32 s4, s8
.LBB202_22:                             ; =>This Inner Loop Header: Depth=1
	global_load_dwordx4 v[6:9], v[4:5], off offset:-8
	s_add_i32 s4, s4, -4
	s_cmp_lg_u32 s4, 0
	s_waitcnt vmcnt(0)
	v_pk_mul_f32 v[6:7], v[0:1], v[6:7]
	v_pk_mul_f32 v[8:9], v[0:1], v[8:9]
	global_store_dwordx4 v[4:5], v[6:9], off offset:-8
	v_add_co_u32_e32 v4, vcc, 16, v4
	v_addc_co_u32_e32 v5, vcc, 0, v5, vcc
	s_cbranch_scc1 .LBB202_22
; %bb.23:
	s_cmp_lg_u32 s8, s12
	s_cselect_b64 s[4:5], -1, 0
	s_branch .LBB202_26
.LBB202_24:
	s_mov_b64 s[4:5], 0
                                        ; implicit-def: $sgpr8
	s_cbranch_execz .LBB202_26
; %bb.25:
	s_mov_b64 s[4:5], -1
	s_mov_b32 s8, 0
.LBB202_26:
	s_andn2_b64 vcc, exec, s[4:5]
	s_cbranch_vccnz .LBB202_29
; %bb.27:
	v_add_co_u32_e32 v2, vcc, s8, v2
	v_addc_co_u32_e32 v3, vcc, 0, v3, vcc
	v_lshlrev_b64 v[2:3], 2, v[2:3]
	v_mov_b32_e32 v1, s21
	v_add_co_u32_e32 v2, vcc, s20, v2
	s_sub_i32 s4, s12, s8
	v_addc_co_u32_e32 v3, vcc, v1, v3, vcc
.LBB202_28:                             ; =>This Inner Loop Header: Depth=1
	global_load_dword v1, v[2:3], off
	s_add_i32 s4, s4, -1
	s_cmp_lg_u32 s4, 0
	s_waitcnt vmcnt(0)
	v_mul_f32_e32 v1, v0, v1
	global_store_dword v[2:3], v1, off
	v_add_co_u32_e32 v2, vcc, 4, v2
	v_addc_co_u32_e32 v3, vcc, 0, v3, vcc
	s_cbranch_scc1 .LBB202_28
.LBB202_29:
	s_endpgm
	.section	.rodata,"a",@progbits
	.p2align	6, 0x0
	.amdhsa_kernel _ZN4vllm3moe17topkGatingSoftmaxIDF16_Li32ELi512ELi2ELi64ELb1ELi4ELNS0_23SharedExpertScoringFuncE1EEEvPKT_PKbPfiPiS9_iiiiii
		.amdhsa_group_segment_fixed_size 0
		.amdhsa_private_segment_fixed_size 144
		.amdhsa_kernarg_size 72
		.amdhsa_user_sgpr_count 8
		.amdhsa_user_sgpr_private_segment_buffer 1
		.amdhsa_user_sgpr_dispatch_ptr 0
		.amdhsa_user_sgpr_queue_ptr 0
		.amdhsa_user_sgpr_kernarg_segment_ptr 1
		.amdhsa_user_sgpr_dispatch_id 0
		.amdhsa_user_sgpr_flat_scratch_init 1
		.amdhsa_user_sgpr_kernarg_preload_length 0
		.amdhsa_user_sgpr_kernarg_preload_offset 0
		.amdhsa_user_sgpr_private_segment_size 0
		.amdhsa_uses_dynamic_stack 0
		.amdhsa_system_sgpr_private_segment_wavefront_offset 1
		.amdhsa_system_sgpr_workgroup_id_x 1
		.amdhsa_system_sgpr_workgroup_id_y 0
		.amdhsa_system_sgpr_workgroup_id_z 0
		.amdhsa_system_sgpr_workgroup_info 0
		.amdhsa_system_vgpr_workitem_id 1
		.amdhsa_next_free_vgpr 61
		.amdhsa_next_free_sgpr 30
		.amdhsa_accum_offset 64
		.amdhsa_reserve_vcc 1
		.amdhsa_reserve_flat_scratch 0
		.amdhsa_float_round_mode_32 0
		.amdhsa_float_round_mode_16_64 0
		.amdhsa_float_denorm_mode_32 3
		.amdhsa_float_denorm_mode_16_64 3
		.amdhsa_dx10_clamp 1
		.amdhsa_ieee_mode 1
		.amdhsa_fp16_overflow 0
		.amdhsa_tg_split 0
		.amdhsa_exception_fp_ieee_invalid_op 0
		.amdhsa_exception_fp_denorm_src 0
		.amdhsa_exception_fp_ieee_div_zero 0
		.amdhsa_exception_fp_ieee_overflow 0
		.amdhsa_exception_fp_ieee_underflow 0
		.amdhsa_exception_fp_ieee_inexact 0
		.amdhsa_exception_int_div_zero 0
	.end_amdhsa_kernel
	.section	.text._ZN4vllm3moe17topkGatingSoftmaxIDF16_Li32ELi512ELi2ELi64ELb1ELi4ELNS0_23SharedExpertScoringFuncE1EEEvPKT_PKbPfiPiS9_iiiiii,"axG",@progbits,_ZN4vllm3moe17topkGatingSoftmaxIDF16_Li32ELi512ELi2ELi64ELb1ELi4ELNS0_23SharedExpertScoringFuncE1EEEvPKT_PKbPfiPiS9_iiiiii,comdat
.Lfunc_end202:
	.size	_ZN4vllm3moe17topkGatingSoftmaxIDF16_Li32ELi512ELi2ELi64ELb1ELi4ELNS0_23SharedExpertScoringFuncE1EEEvPKT_PKbPfiPiS9_iiiiii, .Lfunc_end202-_ZN4vllm3moe17topkGatingSoftmaxIDF16_Li32ELi512ELi2ELi64ELb1ELi4ELNS0_23SharedExpertScoringFuncE1EEEvPKT_PKbPfiPiS9_iiiiii
                                        ; -- End function
	.section	.AMDGPU.csdata,"",@progbits
; Kernel info:
; codeLenInByte = 4548
; NumSgprs: 34
; NumVgprs: 61
; NumAgprs: 0
; TotalNumVgprs: 61
; ScratchSize: 144
; MemoryBound: 0
; FloatMode: 240
; IeeeMode: 1
; LDSByteSize: 0 bytes/workgroup (compile time only)
; SGPRBlocks: 4
; VGPRBlocks: 7
; NumSGPRsForWavesPerEU: 34
; NumVGPRsForWavesPerEU: 61
; AccumOffset: 64
; Occupancy: 8
; WaveLimiterHint : 0
; COMPUTE_PGM_RSRC2:SCRATCH_EN: 1
; COMPUTE_PGM_RSRC2:USER_SGPR: 8
; COMPUTE_PGM_RSRC2:TRAP_HANDLER: 0
; COMPUTE_PGM_RSRC2:TGID_X_EN: 1
; COMPUTE_PGM_RSRC2:TGID_Y_EN: 0
; COMPUTE_PGM_RSRC2:TGID_Z_EN: 0
; COMPUTE_PGM_RSRC2:TIDIG_COMP_CNT: 1
; COMPUTE_PGM_RSRC3_GFX90A:ACCUM_OFFSET: 15
; COMPUTE_PGM_RSRC3_GFX90A:TG_SPLIT: 0
	.section	.text._ZN4vllm3moe17topkGatingSoftmaxIDF16_Li32ELi512ELi2ELi64ELb0ELi4ELNS0_23SharedExpertScoringFuncE1EEEvPKT_PKbPfiPiS9_iiiiii,"axG",@progbits,_ZN4vllm3moe17topkGatingSoftmaxIDF16_Li32ELi512ELi2ELi64ELb0ELi4ELNS0_23SharedExpertScoringFuncE1EEEvPKT_PKbPfiPiS9_iiiiii,comdat
	.protected	_ZN4vllm3moe17topkGatingSoftmaxIDF16_Li32ELi512ELi2ELi64ELb0ELi4ELNS0_23SharedExpertScoringFuncE1EEEvPKT_PKbPfiPiS9_iiiiii ; -- Begin function _ZN4vllm3moe17topkGatingSoftmaxIDF16_Li32ELi512ELi2ELi64ELb0ELi4ELNS0_23SharedExpertScoringFuncE1EEEvPKT_PKbPfiPiS9_iiiiii
	.globl	_ZN4vllm3moe17topkGatingSoftmaxIDF16_Li32ELi512ELi2ELi64ELb0ELi4ELNS0_23SharedExpertScoringFuncE1EEEvPKT_PKbPfiPiS9_iiiiii
	.p2align	8
	.type	_ZN4vllm3moe17topkGatingSoftmaxIDF16_Li32ELi512ELi2ELi64ELb0ELi4ELNS0_23SharedExpertScoringFuncE1EEEvPKT_PKbPfiPiS9_iiiiii,@function
_ZN4vllm3moe17topkGatingSoftmaxIDF16_Li32ELi512ELi2ELi64ELb0ELi4ELNS0_23SharedExpertScoringFuncE1EEEvPKT_PKbPfiPiS9_iiiiii: ; @_ZN4vllm3moe17topkGatingSoftmaxIDF16_Li32ELi512ELi2ELi64ELb0ELi4ELNS0_23SharedExpertScoringFuncE1EEEvPKT_PKbPfiPiS9_iiiiii
; %bb.0:
	s_load_dword s26, s[4:5], 0x18
	s_add_u32 s0, s0, s9
	v_bfe_u32 v1, v0, 10, 10
	v_and_b32_e32 v0, 0x3ff, v0
	s_addc_u32 s1, s1, 0
	s_lshl_b32 s27, s8, 3
	v_lshlrev_b32_e32 v42, 2, v1
	v_lshrrev_b32_e32 v43, 4, v0
	v_add3_u32 v6, s27, v42, v43
	s_waitcnt lgkmcnt(0)
	v_cmp_gt_i32_e32 vcc, s26, v6
	s_and_saveexec_b64 s[6:7], vcc
	s_cbranch_execz .LBB203_32
; %bb.1:
	s_load_dwordx4 s[8:11], s[4:5], 0x0
	s_load_dwordx2 s[20:21], s[4:5], 0x10
	s_waitcnt lgkmcnt(0)
	s_cmp_eq_u64 s[10:11], 0
	s_cbranch_scc1 .LBB203_3
; %bb.2:
	v_ashrrev_i32_e32 v1, 31, v6
	v_mov_b32_e32 v3, s11
	v_add_co_u32_e32 v2, vcc, s10, v6
	v_addc_co_u32_e32 v3, vcc, v3, v1, vcc
	global_load_ubyte v1, v[2:3], off
	s_waitcnt vmcnt(0)
	v_and_b32_e32 v1, 1, v1
	v_cmp_eq_u32_e32 vcc, 1, v1
	s_xor_b64 s[6:7], vcc, -1
	s_orn2_b64 s[22:23], s[6:7], exec
	s_branch .LBB203_4
.LBB203_3:
	s_mov_b64 s[22:23], -1
.LBB203_4:
	s_load_dwordx2 s[24:25], s[4:5], 0x40
	s_load_dwordx4 s[12:15], s[4:5], 0x30
	v_mov_b32_e32 v1, s9
	v_and_b32_e32 v7, 15, v0
	v_lshlrev_b32_e32 v0, 6, v7
	s_waitcnt lgkmcnt(0)
	v_mul_lo_u32 v2, v6, s25
	v_ashrrev_i32_e32 v3, 31, v2
	v_lshlrev_b64 v[2:3], 1, v[2:3]
	v_add_co_u32_e32 v11, vcc, s8, v2
	v_addc_co_u32_e32 v27, vcc, v1, v3, vcc
	v_add_co_u32_e32 v4, vcc, v11, v0
	v_addc_co_u32_e32 v5, vcc, 0, v27, vcc
	global_load_dwordx4 v[0:3], v[4:5], off
	global_load_dwordx4 v[28:31], v[4:5], off offset:16
	global_load_dwordx4 v[32:35], v[4:5], off offset:32
	;; [unrolled: 1-line block ×3, first 2 shown]
	v_mov_b32_e32 v8, 0
	v_lshlrev_b32_e32 v10, 5, v7
	v_cmp_gt_u32_e32 vcc, 4, v7
	s_waitcnt vmcnt(3)
	v_cvt_f32_f16_e32 v12, v0
	v_cvt_f32_f16_sdwa v15, v0 dst_sel:DWORD dst_unused:UNUSED_PAD src0_sel:WORD_1
	v_cvt_f32_f16_e32 v13, v1
	v_cvt_f32_f16_sdwa v14, v1 dst_sel:DWORD dst_unused:UNUSED_PAD src0_sel:WORD_1
	;; [unrolled: 2-line block ×4, first 2 shown]
	s_waitcnt vmcnt(2)
	v_cvt_f32_f16_e32 v19, v28
	v_cvt_f32_f16_sdwa v20, v28 dst_sel:DWORD dst_unused:UNUSED_PAD src0_sel:WORD_1
	v_cvt_f32_f16_e32 v21, v29
	v_cvt_f32_f16_sdwa v22, v29 dst_sel:DWORD dst_unused:UNUSED_PAD src0_sel:WORD_1
	;; [unrolled: 2-line block ×4, first 2 shown]
	s_waitcnt vmcnt(1)
	v_cvt_f32_f16_e32 v9, v32
	v_cvt_f32_f16_sdwa v5, v32 dst_sel:DWORD dst_unused:UNUSED_PAD src0_sel:WORD_1
	v_cvt_f32_f16_e32 v4, v33
	v_cvt_f32_f16_sdwa v3, v33 dst_sel:DWORD dst_unused:UNUSED_PAD src0_sel:WORD_1
	;; [unrolled: 2-line block ×3, first 2 shown]
	v_cvt_f32_f16_e32 v30, v35
	s_waitcnt vmcnt(0)
	v_cvt_f32_f16_e32 v35, v39
	v_cvt_f32_f16_sdwa v31, v36 dst_sel:DWORD dst_unused:UNUSED_PAD src0_sel:WORD_1
	v_cvt_f32_f16_e32 v32, v36
	v_cvt_f32_f16_e32 v36, v38
	v_cvt_f32_f16_sdwa v28, v34 dst_sel:DWORD dst_unused:UNUSED_PAD src0_sel:WORD_1
	v_cvt_f32_f16_e32 v34, v37
	v_cvt_f32_f16_sdwa v33, v37 dst_sel:DWORD dst_unused:UNUSED_PAD src0_sel:WORD_1
	v_cvt_f32_f16_sdwa v37, v38 dst_sel:DWORD dst_unused:UNUSED_PAD src0_sel:WORD_1
	;; [unrolled: 1-line block ×3, first 2 shown]
	buffer_store_dword v35, off, s[0:3], 0 offset:120
	buffer_store_dword v36, off, s[0:3], 0 offset:112
	;; [unrolled: 1-line block ×15, first 2 shown]
	buffer_store_dword v12, off, s[0:3], 0
	buffer_store_dword v38, off, s[0:3], 0 offset:124
	buffer_store_dword v37, off, s[0:3], 0 offset:116
	;; [unrolled: 1-line block ×16, first 2 shown]
	s_and_saveexec_b64 s[6:7], vcc
	s_cbranch_execz .LBB203_6
; %bb.5:
	v_lshlrev_b32_e32 v28, 1, v7
	v_add_co_u32_e32 v28, vcc, v11, v28
	v_addc_co_u32_e32 v29, vcc, 0, v27, vcc
	global_load_ushort v11, v[28:29], off offset:1024
	s_mov_b32 s8, 0x3fb8aa3b
	s_mov_b32 s9, 0x32a5705f
	;; [unrolled: 1-line block ×4, first 2 shown]
	v_mov_b32_e32 v31, 0x7f800000
	v_mul_lo_u32 v27, v6, s15
	v_mov_b32_e32 v33, s21
	s_waitcnt vmcnt(0)
	v_cvt_f32_f16_e64 v30, -v11
	v_mul_f32_e32 v28, 0x3fb8aa3b, v30
	v_fma_mix_f32 v29, -v11, s8, -v28 op_sel_hi:[1,0,0]
	v_rndne_f32_e32 v32, v28
	v_fma_mix_f32 v11, -v11, s9, v29 op_sel_hi:[1,0,0]
	v_sub_f32_e32 v28, v28, v32
	v_add_f32_e32 v11, v28, v11
	v_cvt_i32_f32_e32 v32, v32
	v_exp_f32_e32 v11, v11
	v_cmp_ngt_f32_e32 vcc, s10, v30
	v_add3_u32 v28, v27, s12, v7
	v_ashrrev_i32_e32 v29, 31, v28
	v_ldexp_f32 v11, v11, v32
	v_cndmask_b32_e32 v11, 0, v11, vcc
	v_cmp_nlt_f32_e32 vcc, s11, v30
	v_cndmask_b32_e32 v11, v31, v11, vcc
	v_add_f32_e32 v11, 1.0, v11
	v_div_scale_f32 v27, s[8:9], v11, v11, 1.0
	v_rcp_f32_e32 v30, v27
	v_div_scale_f32 v31, vcc, 1.0, v11, 1.0
	v_lshlrev_b64 v[28:29], 2, v[28:29]
	v_fma_f32 v32, -v27, v30, 1.0
	v_fmac_f32_e32 v30, v32, v30
	v_mul_f32_e32 v32, v31, v30
	v_fma_f32 v34, -v27, v32, v31
	v_fmac_f32_e32 v32, v34, v30
	v_fma_f32 v27, -v27, v32, v31
	v_div_fmas_f32 v27, v27, v30, v32
	v_add_co_u32_e32 v28, vcc, s20, v28
	v_div_fixup_f32 v11, v27, v11, 1.0
	v_addc_co_u32_e32 v29, vcc, v33, v29, vcc
	global_store_dword v[28:29], v11, off
.LBB203_6:
	s_or_b64 exec, exec, s[6:7]
	v_cmp_lt_f16_sdwa vcc, v0, v0 src0_sel:DWORD src1_sel:WORD_1
	v_or_b32_e32 v11, 1, v10
	v_cndmask_b32_e32 v15, v12, v15, vcc
	v_cndmask_b32_e32 v0, v10, v11, vcc
	v_cmp_lt_f32_e32 vcc, v15, v13
	v_or_b32_e32 v12, 2, v10
	v_cndmask_b32_e32 v15, v15, v13, vcc
	buffer_load_dword v32, off, s[0:3], 0 offset:84
	buffer_load_dword v33, off, s[0:3], 0 offset:88
	v_cndmask_b32_e32 v0, v0, v12, vcc
	v_cmp_lt_f32_e32 vcc, v15, v14
	v_or_b32_e32 v13, 3, v10
	v_cndmask_b32_e32 v15, v15, v14, vcc
	v_cndmask_b32_e32 v0, v0, v13, vcc
	v_cmp_lt_f32_e32 vcc, v15, v1
	v_or_b32_e32 v14, 4, v10
	v_cndmask_b32_e32 v27, v15, v1, vcc
	buffer_load_dword v1, off, s[0:3], 0 offset:92
	v_cndmask_b32_e32 v0, v0, v14, vcc
	v_or_b32_e32 v15, 5, v10
	v_cmp_lt_f32_e32 vcc, v27, v16
	v_cndmask_b32_e32 v28, v0, v15, vcc
	buffer_load_dword v0, off, s[0:3], 0 offset:96
	buffer_load_dword v36, off, s[0:3], 0 offset:100
	;; [unrolled: 1-line block ×8, first 2 shown]
	v_cndmask_b32_e32 v27, v27, v16, vcc
	v_cmp_lt_f32_e32 vcc, v27, v17
	v_or_b32_e32 v16, 6, v10
	v_cndmask_b32_e32 v27, v27, v17, vcc
	v_cndmask_b32_e32 v28, v28, v16, vcc
	v_cmp_lt_f32_e32 vcc, v27, v18
	v_or_b32_e32 v17, 7, v10
	v_cndmask_b32_e32 v27, v27, v18, vcc
	;; [unrolled: 4-line block ×15, first 2 shown]
	v_cndmask_b32_e32 v4, v5, v30, vcc
	s_waitcnt vmcnt(10)
	v_cmp_lt_f32_e32 vcc, v2, v32
	v_or_b32_e32 v31, 21, v10
	v_cndmask_b32_e32 v2, v2, v32, vcc
	v_cndmask_b32_e32 v3, v4, v31, vcc
	s_waitcnt vmcnt(9)
	v_cmp_lt_f32_e32 vcc, v2, v33
	v_or_b32_e32 v32, 22, v10
	v_cndmask_b32_e32 v2, v2, v33, vcc
	;; [unrolled: 5-line block ×10, first 2 shown]
	v_cndmask_b32_e32 v3, v3, v40, vcc
	v_or_b32_e32 v41, 31, v10
	s_waitcnt vmcnt(0)
	v_cmp_lt_f32_e32 vcc, v2, v44
	v_cndmask_b32_e32 v3, v3, v41, vcc
	v_cndmask_b32_e32 v2, v2, v44, vcc
	s_nop 0
	v_mov_b32_dpp v4, v3 quad_perm:[1,0,3,2] row_mask:0xf bank_mask:0xf
	v_mov_b32_dpp v5, v2 quad_perm:[1,0,3,2] row_mask:0xf bank_mask:0xf
	v_cmp_eq_f32_e64 s[6:7], v2, v5
	v_cmp_lt_i32_e64 s[8:9], v4, v3
	v_cmp_lt_f32_e32 vcc, v2, v5
	s_and_b64 s[6:7], s[6:7], s[8:9]
	s_or_b64 vcc, vcc, s[6:7]
	v_cndmask_b32_e32 v2, v2, v5, vcc
	v_cndmask_b32_e32 v3, v3, v4, vcc
	s_nop 0
	v_mov_b32_dpp v5, v2 quad_perm:[2,3,0,1] row_mask:0xf bank_mask:0xf
	v_mov_b32_dpp v4, v3 quad_perm:[2,3,0,1] row_mask:0xf bank_mask:0xf
	v_cmp_eq_f32_e64 s[6:7], v2, v5
	v_cmp_lt_i32_e64 s[8:9], v4, v3
	v_cmp_lt_f32_e32 vcc, v2, v5
	s_and_b64 s[6:7], s[6:7], s[8:9]
	s_or_b64 vcc, vcc, s[6:7]
	v_cndmask_b32_e32 v2, v2, v5, vcc
	v_cndmask_b32_e32 v3, v3, v4, vcc
	s_nop 0
	v_mov_b32_dpp v5, v2 row_half_mirror row_mask:0xf bank_mask:0xf
	v_mov_b32_dpp v4, v3 row_half_mirror row_mask:0xf bank_mask:0xf
	v_cmp_eq_f32_e64 s[6:7], v2, v5
	v_cmp_lt_i32_e64 s[8:9], v4, v3
	v_cmp_lt_f32_e32 vcc, v2, v5
	s_and_b64 s[6:7], s[6:7], s[8:9]
	s_or_b64 vcc, vcc, s[6:7]
	v_cndmask_b32_e32 v5, v2, v5, vcc
	v_cndmask_b32_e32 v2, v3, v4, vcc
	s_nop 0
	v_mov_b32_dpp v4, v5 row_mirror row_mask:0xf bank_mask:0xf
	v_mov_b32_dpp v3, v2 row_mirror row_mask:0xf bank_mask:0xf
	v_cmp_eq_f32_e64 s[6:7], v5, v4
	v_cmp_lt_i32_e64 s[8:9], v3, v2
	v_cmp_lt_f32_e32 vcc, v5, v4
	s_and_b64 s[6:7], s[6:7], s[8:9]
	s_or_b64 s[6:7], vcc, s[6:7]
	s_cmp_gt_i32 s12, 0
	v_cndmask_b32_e64 v9, v5, v4, s[6:7]
	s_cselect_b64 s[10:11], -1, 0
	s_cmp_lt_i32 s12, 1
	v_cmp_eq_u32_e32 vcc, 0, v7
	s_cbranch_scc1 .LBB203_19
; %bb.7:
	s_load_dwordx4 s[16:19], s[4:5], 0x20
	v_cndmask_b32_e64 v44, v2, v3, s[6:7]
	v_mul_lo_u32 v4, v6, s15
	v_mul_lo_u32 v2, v6, s24
	;; [unrolled: 1-line block ×3, first 2 shown]
	v_mov_b32_e32 v8, 0
	s_and_saveexec_b64 s[8:9], vcc
	s_cbranch_execz .LBB203_9
; %bb.8:
	v_sub_f32_e32 v1, v9, v9
	v_mul_f32_e32 v3, 0x3fb8aa3b, v1
	s_mov_b32 s4, 0x3fb8aa3b
	v_rndne_f32_e32 v5, v3
	v_sub_f32_e32 v8, v3, v5
	v_fma_f32 v3, v1, s4, -v3
	v_fmac_f32_e32 v3, 0x32a5705f, v1
	v_add_f32_e32 v3, v8, v3
	v_exp_f32_e32 v3, v3
	v_cvt_i32_f32_e32 v5, v5
	v_cmp_le_i32_e64 s[4:5], s13, v44
	v_cmp_gt_i32_e64 s[6:7], s14, v44
	s_and_b64 s[6:7], s[4:5], s[6:7]
	s_mov_b32 s4, 0xc2ce8ed0
	v_ldexp_f32 v3, v3, v5
	v_cmp_ngt_f32_e64 s[4:5], s4, v1
	v_cndmask_b32_e64 v3, 0, v3, s[4:5]
	s_mov_b32 s4, 0x42b17218
	v_mov_b32_e32 v5, 0x7f800000
	v_cmp_nlt_f32_e64 s[4:5], s4, v1
	v_cndmask_b32_e64 v8, v5, v3, s[4:5]
	v_ashrrev_i32_e32 v5, 31, v4
	v_lshlrev_b64 v[46:47], 2, v[4:5]
	v_mov_b32_e32 v1, s21
	v_add_co_u32_e64 v46, s[4:5], s20, v46
	v_addc_co_u32_e64 v47, s[4:5], v1, v47, s[4:5]
	v_subrev_u32_e32 v1, s13, v44
	v_mov_b32_e32 v3, 0x200
	s_and_b64 s[4:5], s[22:23], s[6:7]
	v_cndmask_b32_e64 v1, v3, v1, s[4:5]
	v_ashrrev_i32_e32 v3, 31, v2
	global_store_dword v[46:47], v8, off
	v_lshlrev_b64 v[46:47], 2, v[2:3]
	s_waitcnt lgkmcnt(0)
	v_mov_b32_e32 v3, s17
	v_add_co_u32_e64 v46, s[4:5], s16, v46
	v_addc_co_u32_e64 v47, s[4:5], v3, v47, s[4:5]
	global_store_dword v[46:47], v1, off
	v_ashrrev_i32_e32 v1, 31, v0
	v_lshlrev_b64 v[46:47], 2, v[0:1]
	v_mov_b32_e32 v1, s19
	v_add_co_u32_e64 v46, s[4:5], s18, v46
	v_addc_co_u32_e64 v47, s[4:5], v1, v47, s[4:5]
	global_store_dword v[46:47], v6, off
.LBB203_9:
	s_or_b64 exec, exec, s[8:9]
	v_ashrrev_i32_e32 v3, 31, v44
	v_lshrrev_b32_e32 v1, 27, v3
	v_add_u32_e32 v1, v44, v1
	v_ashrrev_i32_e32 v1, 5, v1
	v_lshrrev_b32_e32 v5, 28, v1
	v_add_u32_e32 v5, v1, v5
	v_and_b32_e32 v5, -16, v5
	v_sub_u32_e32 v5, v1, v5
	v_cmp_eq_u32_e64 s[4:5], v7, v5
	s_and_saveexec_b64 s[6:7], s[4:5]
	s_cbranch_execz .LBB203_11
; %bb.10:
	v_lshrrev_b32_e32 v3, 23, v3
	v_add_u32_e32 v3, v44, v3
	v_lshlrev_b32_e32 v1, 5, v1
	v_ashrrev_i32_e32 v3, 9, v3
	v_sub_u32_e32 v1, v44, v1
	v_lshl_add_u32 v1, v3, 5, v1
	v_mov_b32_e32 v3, 0
	v_lshl_add_u32 v1, v1, 2, v3
	v_mov_b32_e32 v3, 0xff800000
	buffer_store_dword v3, v1, s[0:3], 0 offen
.LBB203_11:
	s_or_b64 exec, exec, s[6:7]
	s_cmp_eq_u32 s12, 1
	s_cbranch_scc1 .LBB203_18
; %bb.12:
	s_add_i32 s27, s27, s26
	s_add_i32 s24, s12, -1
	v_add3_u32 v42, s27, v43, v42
	v_add_u32_e32 v0, 1, v0
	v_add_u32_e32 v2, 1, v2
	;; [unrolled: 1-line block ×3, first 2 shown]
	s_mov_b32 s25, 0x3fb8aa3b
	s_mov_b32 s27, 0xc2ce8ed0
	;; [unrolled: 1-line block ×3, first 2 shown]
	v_mov_b32_e32 v43, 0
	v_mov_b32_e32 v44, 0xff800000
	;; [unrolled: 1-line block ×4, first 2 shown]
	s_branch .LBB203_14
.LBB203_13:                             ;   in Loop: Header=BB203_14 Depth=1
	s_or_b64 exec, exec, s[6:7]
	s_add_i32 s24, s24, -1
	v_add_u32_e32 v42, s26, v42
	v_add_u32_e32 v0, 1, v0
	;; [unrolled: 1-line block ×3, first 2 shown]
	s_cmp_eq_u32 s24, 0
	v_add_u32_e32 v4, 1, v4
	s_cbranch_scc1 .LBB203_18
.LBB203_14:                             ; =>This Inner Loop Header: Depth=1
	buffer_load_dword v1, off, s[0:3], 0
	buffer_load_dword v3, off, s[0:3], 0 offset:4
	buffer_load_dword v5, off, s[0:3], 0 offset:8
	;; [unrolled: 1-line block ×15, first 2 shown]
	s_waitcnt vmcnt(14)
	v_cmp_gt_f32_e64 s[4:5], v3, v1
	v_cndmask_b32_e64 v1, v1, v3, s[4:5]
	v_cndmask_b32_e64 v60, v10, v11, s[4:5]
	s_waitcnt vmcnt(13)
	v_cmp_gt_f32_e64 s[4:5], v5, v1
	v_cndmask_b32_e64 v1, v1, v5, s[4:5]
	buffer_load_dword v5, off, s[0:3], 0 offset:64
	v_cndmask_b32_e64 v3, v60, v12, s[4:5]
	s_waitcnt vmcnt(13)
	v_cmp_gt_f32_e64 s[4:5], v47, v1
	v_cndmask_b32_e64 v1, v1, v47, s[4:5]
	v_cndmask_b32_e64 v3, v3, v13, s[4:5]
	s_waitcnt vmcnt(12)
	v_cmp_gt_f32_e64 s[4:5], v48, v1
	v_cndmask_b32_e64 v1, v1, v48, s[4:5]
	;; [unrolled: 4-line block ×14, first 2 shown]
	buffer_load_dword v5, off, s[0:3], 0 offset:68
	v_cndmask_b32_e64 v3, v3, v26, s[4:5]
	s_waitcnt vmcnt(0)
	v_cmp_gt_f32_e64 s[4:5], v5, v1
	v_cndmask_b32_e64 v1, v1, v5, s[4:5]
	buffer_load_dword v5, off, s[0:3], 0 offset:72
	v_cndmask_b32_e64 v3, v3, v27, s[4:5]
	s_waitcnt vmcnt(0)
	v_cmp_gt_f32_e64 s[4:5], v5, v1
	v_cndmask_b32_e64 v1, v1, v5, s[4:5]
	;; [unrolled: 5-line block ×15, first 2 shown]
	v_cndmask_b32_e64 v1, v1, v5, s[4:5]
	s_nop 0
	v_mov_b32_dpp v5, v3 quad_perm:[1,0,3,2] row_mask:0xf bank_mask:0xf
	v_mov_b32_dpp v47, v1 quad_perm:[1,0,3,2] row_mask:0xf bank_mask:0xf
	v_cmp_eq_f32_e64 s[6:7], v1, v47
	v_cmp_lt_i32_e64 s[8:9], v5, v3
	v_cmp_lt_f32_e64 s[4:5], v1, v47
	s_and_b64 s[6:7], s[6:7], s[8:9]
	s_or_b64 s[4:5], s[4:5], s[6:7]
	v_cndmask_b32_e64 v1, v1, v47, s[4:5]
	v_cndmask_b32_e64 v3, v3, v5, s[4:5]
	s_nop 0
	v_mov_b32_dpp v47, v1 quad_perm:[2,3,0,1] row_mask:0xf bank_mask:0xf
	v_mov_b32_dpp v5, v3 quad_perm:[2,3,0,1] row_mask:0xf bank_mask:0xf
	v_cmp_eq_f32_e64 s[6:7], v1, v47
	v_cmp_lt_i32_e64 s[8:9], v5, v3
	v_cmp_lt_f32_e64 s[4:5], v1, v47
	s_and_b64 s[6:7], s[6:7], s[8:9]
	s_or_b64 s[4:5], s[4:5], s[6:7]
	v_cndmask_b32_e64 v1, v1, v47, s[4:5]
	v_cndmask_b32_e64 v3, v3, v5, s[4:5]
	s_nop 0
	v_mov_b32_dpp v47, v1 row_half_mirror row_mask:0xf bank_mask:0xf
	v_mov_b32_dpp v5, v3 row_half_mirror row_mask:0xf bank_mask:0xf
	v_cmp_eq_f32_e64 s[6:7], v1, v47
	v_cmp_lt_i32_e64 s[8:9], v5, v3
	v_cmp_lt_f32_e64 s[4:5], v1, v47
	s_and_b64 s[6:7], s[6:7], s[8:9]
	s_or_b64 s[4:5], s[4:5], s[6:7]
	v_cndmask_b32_e64 v1, v1, v47, s[4:5]
	v_cndmask_b32_e64 v5, v3, v5, s[4:5]
	s_nop 0
	v_mov_b32_dpp v3, v1 row_mirror row_mask:0xf bank_mask:0xf
	v_mov_b32_dpp v47, v5 row_mirror row_mask:0xf bank_mask:0xf
	v_cmp_eq_f32_e64 s[6:7], v1, v3
	v_cmp_lt_i32_e64 s[8:9], v47, v5
	v_cmp_lt_f32_e64 s[4:5], v1, v3
	s_and_b64 s[6:7], s[6:7], s[8:9]
	s_or_b64 s[4:5], s[4:5], s[6:7]
	v_cndmask_b32_e64 v47, v5, v47, s[4:5]
	s_and_saveexec_b64 s[8:9], vcc
	s_cbranch_execz .LBB203_16
; %bb.15:                               ;   in Loop: Header=BB203_14 Depth=1
	v_cndmask_b32_e64 v1, v1, v3, s[4:5]
	v_sub_f32_e32 v1, v1, v9
	v_mul_f32_e32 v3, 0x3fb8aa3b, v1
	v_fma_f32 v5, v1, s25, -v3
	v_rndne_f32_e32 v48, v3
	v_fmac_f32_e32 v5, 0x32a5705f, v1
	v_sub_f32_e32 v3, v3, v48
	v_add_f32_e32 v3, v3, v5
	v_exp_f32_e32 v3, v3
	v_cvt_i32_f32_e32 v5, v48
	v_cmp_le_i32_e64 s[4:5], s13, v47
	v_cmp_gt_i32_e64 s[6:7], s14, v47
	s_and_b64 s[6:7], s[4:5], s[6:7]
	v_ldexp_f32 v3, v3, v5
	v_cmp_ngt_f32_e64 s[4:5], s27, v1
	v_ashrrev_i32_e32 v5, 31, v4
	v_cndmask_b32_e64 v3, 0, v3, s[4:5]
	v_cmp_nlt_f32_e64 s[4:5], s28, v1
	v_lshlrev_b64 v[48:49], 2, v[4:5]
	v_cndmask_b32_e64 v50, v45, v3, s[4:5]
	v_mov_b32_e32 v1, s21
	v_add_co_u32_e64 v48, s[4:5], s20, v48
	v_addc_co_u32_e64 v49, s[4:5], v1, v49, s[4:5]
	v_ashrrev_i32_e32 v3, 31, v2
	global_store_dword v[48:49], v50, off
	v_subrev_u32_e32 v1, s13, v47
	s_and_b64 s[4:5], s[22:23], s[6:7]
	v_lshlrev_b64 v[48:49], 2, v[2:3]
	v_cndmask_b32_e64 v1, v46, v1, s[4:5]
	s_waitcnt lgkmcnt(0)
	v_mov_b32_e32 v3, s17
	v_add_co_u32_e64 v48, s[4:5], s16, v48
	v_addc_co_u32_e64 v49, s[4:5], v3, v49, s[4:5]
	global_store_dword v[48:49], v1, off
	v_ashrrev_i32_e32 v1, 31, v0
	v_lshlrev_b64 v[48:49], 2, v[0:1]
	v_mov_b32_e32 v1, s19
	v_add_co_u32_e64 v48, s[4:5], s18, v48
	v_addc_co_u32_e64 v49, s[4:5], v1, v49, s[4:5]
	v_add_f32_e32 v8, v8, v50
	global_store_dword v[48:49], v42, off
.LBB203_16:                             ;   in Loop: Header=BB203_14 Depth=1
	s_or_b64 exec, exec, s[8:9]
	v_ashrrev_i32_e32 v3, 31, v47
	v_lshrrev_b32_e32 v1, 27, v3
	v_add_u32_e32 v1, v47, v1
	v_ashrrev_i32_e32 v1, 5, v1
	v_lshrrev_b32_e32 v5, 28, v1
	v_add_u32_e32 v5, v1, v5
	v_and_b32_e32 v5, -16, v5
	v_sub_u32_e32 v5, v1, v5
	v_cmp_eq_u32_e64 s[4:5], v7, v5
	s_and_saveexec_b64 s[6:7], s[4:5]
	s_cbranch_execz .LBB203_13
; %bb.17:                               ;   in Loop: Header=BB203_14 Depth=1
	v_lshrrev_b32_e32 v3, 23, v3
	v_add_u32_e32 v3, v47, v3
	v_lshlrev_b32_e32 v1, 5, v1
	v_ashrrev_i32_e32 v3, 9, v3
	v_sub_u32_e32 v1, v47, v1
	v_lshl_add_u32 v1, v3, 5, v1
	v_lshl_add_u32 v1, v1, 2, v43
	buffer_store_dword v44, v1, s[0:3], 0 offen
	s_branch .LBB203_13
.LBB203_18:
	buffer_load_dword v1, off, s[0:3], 0 offset:92
	buffer_load_dword v0, off, s[0:3], 0 offset:96
.LBB203_19:
	buffer_load_dword v3, off, s[0:3], 0
	buffer_load_dword v4, off, s[0:3], 0 offset:4
	buffer_load_dword v5, off, s[0:3], 0 offset:8
	buffer_load_dword v10, off, s[0:3], 0 offset:12
	buffer_load_dword v11, off, s[0:3], 0 offset:16
	buffer_load_dword v12, off, s[0:3], 0 offset:20
	buffer_load_dword v13, off, s[0:3], 0 offset:24
	buffer_load_dword v14, off, s[0:3], 0 offset:28
	buffer_load_dword v15, off, s[0:3], 0 offset:32
	buffer_load_dword v16, off, s[0:3], 0 offset:36
	buffer_load_dword v17, off, s[0:3], 0 offset:40
	buffer_load_dword v18, off, s[0:3], 0 offset:44
	buffer_load_dword v19, off, s[0:3], 0 offset:48
	buffer_load_dword v20, off, s[0:3], 0 offset:52
	buffer_load_dword v21, off, s[0:3], 0 offset:56
	buffer_load_dword v22, off, s[0:3], 0 offset:60
	s_mov_b32 s5, 0x3fb8aa3b
	s_mov_b32 s4, 0xc2ce8ed0
	;; [unrolled: 1-line block ×3, first 2 shown]
	v_mov_b32_e32 v2, 0x7f800000
	s_waitcnt vmcnt(17)
	v_sub_f32_e32 v1, v1, v9
	s_waitcnt vmcnt(16)
	v_sub_f32_e32 v0, v0, v9
	;; [unrolled: 2-line block ×4, first 2 shown]
	v_mul_f32_e32 v23, 0x3fb8aa3b, v3
	s_waitcnt vmcnt(13)
	v_sub_f32_e32 v5, v5, v9
	v_mul_f32_e32 v24, 0x3fb8aa3b, v4
	v_fma_f32 v29, v3, s5, -v23
	v_rndne_f32_e32 v30, v23
	s_waitcnt vmcnt(12)
	v_sub_f32_e32 v10, v10, v9
	v_mul_f32_e32 v25, 0x3fb8aa3b, v5
	v_fma_f32 v31, v4, s5, -v24
	v_rndne_f32_e32 v32, v24
	v_fmac_f32_e32 v29, 0x32a5705f, v3
	v_sub_f32_e32 v23, v23, v30
	s_waitcnt vmcnt(11)
	v_sub_f32_e32 v11, v11, v9
	v_mul_f32_e32 v26, 0x3fb8aa3b, v10
	v_fma_f32 v33, v5, s5, -v25
	v_rndne_f32_e32 v34, v25
	v_fmac_f32_e32 v31, 0x32a5705f, v4
	v_sub_f32_e32 v24, v24, v32
	v_add_f32_e32 v23, v23, v29
	v_mul_f32_e32 v27, 0x3fb8aa3b, v11
	v_fma_f32 v35, v10, s5, -v26
	v_rndne_f32_e32 v36, v26
	v_cvt_i32_f32_e32 v30, v30
	v_fmac_f32_e32 v33, 0x32a5705f, v5
	v_sub_f32_e32 v25, v25, v34
	v_add_f32_e32 v24, v24, v31
	v_exp_f32_e32 v23, v23
	v_fma_f32 v37, v11, s5, -v27
	v_rndne_f32_e32 v38, v27
	v_cvt_i32_f32_e32 v32, v32
	v_fmac_f32_e32 v35, 0x32a5705f, v10
	v_sub_f32_e32 v26, v26, v36
	v_add_f32_e32 v25, v25, v33
	v_exp_f32_e32 v24, v24
	v_cvt_i32_f32_e32 v34, v34
	v_fmac_f32_e32 v37, 0x32a5705f, v11
	v_sub_f32_e32 v27, v27, v38
	v_add_f32_e32 v26, v26, v35
	v_exp_f32_e32 v25, v25
	v_cvt_i32_f32_e32 v36, v36
	v_add_f32_e32 v27, v27, v37
	v_exp_f32_e32 v26, v26
	v_cvt_i32_f32_e32 v38, v38
	v_exp_f32_e32 v27, v27
	v_ldexp_f32 v23, v23, v30
	v_cmp_ngt_f32_e32 vcc, s4, v3
	v_ldexp_f32 v24, v24, v32
	v_cndmask_b32_e32 v23, 0, v23, vcc
	v_cmp_ngt_f32_e32 vcc, s4, v4
	v_ldexp_f32 v25, v25, v34
	v_cndmask_b32_e32 v24, 0, v24, vcc
	;; [unrolled: 3-line block ×4, first 2 shown]
	v_cmp_ngt_f32_e32 vcc, s4, v11
	v_cndmask_b32_e32 v27, 0, v27, vcc
	v_cmp_nlt_f32_e32 vcc, s6, v3
	s_waitcnt vmcnt(10)
	v_sub_f32_e32 v12, v12, v9
	v_cndmask_b32_e32 v3, v2, v23, vcc
	v_cmp_nlt_f32_e32 vcc, s6, v4
	v_mul_f32_e32 v28, 0x3fb8aa3b, v12
	v_cndmask_b32_e32 v4, v2, v24, vcc
	v_cmp_nlt_f32_e32 vcc, s6, v5
	v_fma_f32 v39, v12, s5, -v28
	v_cndmask_b32_e32 v5, v2, v25, vcc
	v_add_f32_e32 v3, v3, v4
	v_rndne_f32_e32 v4, v28
	v_fmac_f32_e32 v39, 0x32a5705f, v12
	v_add_f32_e32 v3, v3, v5
	v_sub_f32_e32 v5, v28, v4
	v_add_f32_e32 v5, v5, v39
	v_exp_f32_e32 v5, v5
	v_cvt_i32_f32_e32 v4, v4
	v_cmp_nlt_f32_e32 vcc, s6, v10
	v_cndmask_b32_e32 v10, v2, v26, vcc
	v_cmp_nlt_f32_e32 vcc, s6, v11
	v_add_f32_e32 v3, v3, v10
	v_cndmask_b32_e32 v10, v2, v27, vcc
	v_ldexp_f32 v4, v5, v4
	s_waitcnt vmcnt(9)
	v_sub_f32_e32 v5, v13, v9
	v_add_f32_e32 v3, v3, v10
	v_mul_f32_e32 v10, 0x3fb8aa3b, v5
	v_fma_f32 v11, v5, s5, -v10
	v_rndne_f32_e32 v13, v10
	v_fmac_f32_e32 v11, 0x32a5705f, v5
	v_sub_f32_e32 v10, v10, v13
	v_add_f32_e32 v10, v10, v11
	v_exp_f32_e32 v10, v10
	v_cvt_i32_f32_e32 v11, v13
	v_cmp_ngt_f32_e32 vcc, s4, v12
	v_cndmask_b32_e32 v4, 0, v4, vcc
	v_cmp_nlt_f32_e32 vcc, s6, v12
	v_cndmask_b32_e32 v4, v2, v4, vcc
	v_add_f32_e32 v3, v3, v4
	v_ldexp_f32 v4, v10, v11
	s_waitcnt vmcnt(8)
	v_sub_f32_e32 v10, v14, v9
	v_mul_f32_e32 v11, 0x3fb8aa3b, v10
	v_fma_f32 v12, v10, s5, -v11
	v_rndne_f32_e32 v13, v11
	v_fmac_f32_e32 v12, 0x32a5705f, v10
	v_sub_f32_e32 v11, v11, v13
	v_add_f32_e32 v11, v11, v12
	v_exp_f32_e32 v11, v11
	v_cvt_i32_f32_e32 v12, v13
	v_cmp_ngt_f32_e32 vcc, s4, v5
	v_cndmask_b32_e32 v4, 0, v4, vcc
	v_cmp_nlt_f32_e32 vcc, s6, v5
	v_cndmask_b32_e32 v4, v2, v4, vcc
	s_waitcnt vmcnt(7)
	v_sub_f32_e32 v5, v15, v9
	v_add_f32_e32 v3, v3, v4
	v_ldexp_f32 v4, v11, v12
	v_mul_f32_e32 v11, 0x3fb8aa3b, v5
	v_fma_f32 v12, v5, s5, -v11
	v_rndne_f32_e32 v13, v11
	v_fmac_f32_e32 v12, 0x32a5705f, v5
	v_sub_f32_e32 v11, v11, v13
	v_add_f32_e32 v11, v11, v12
	v_exp_f32_e32 v11, v11
	v_cvt_i32_f32_e32 v12, v13
	v_cmp_ngt_f32_e32 vcc, s4, v10
	v_cndmask_b32_e32 v4, 0, v4, vcc
	v_cmp_nlt_f32_e32 vcc, s6, v10
	v_cndmask_b32_e32 v4, v2, v4, vcc
	s_waitcnt vmcnt(6)
	v_sub_f32_e32 v10, v16, v9
	v_add_f32_e32 v3, v3, v4
	v_ldexp_f32 v4, v11, v12
	;; [unrolled: 16-line block ×4, first 2 shown]
	v_mul_f32_e32 v11, 0x3fb8aa3b, v10
	v_fma_f32 v12, v10, s5, -v11
	v_rndne_f32_e32 v14, v11
	buffer_load_dword v13, off, s[0:3], 0 offset:64
	v_fmac_f32_e32 v12, 0x32a5705f, v10
	v_sub_f32_e32 v11, v11, v14
	v_add_f32_e32 v11, v11, v12
	v_exp_f32_e32 v11, v11
	v_cvt_i32_f32_e32 v12, v14
	v_cmp_ngt_f32_e32 vcc, s4, v5
	v_cndmask_b32_e32 v4, 0, v4, vcc
	v_cmp_nlt_f32_e32 vcc, s6, v5
	v_cndmask_b32_e32 v4, v2, v4, vcc
	s_waitcnt vmcnt(4)
	v_sub_f32_e32 v5, v19, v9
	v_add_f32_e32 v3, v3, v4
	v_ldexp_f32 v4, v11, v12
	buffer_load_dword v12, off, s[0:3], 0 offset:68
	v_mul_f32_e32 v11, 0x3fb8aa3b, v5
	v_fma_f32 v14, v5, s5, -v11
	v_rndne_f32_e32 v15, v11
	v_fmac_f32_e32 v14, 0x32a5705f, v5
	v_sub_f32_e32 v11, v11, v15
	v_add_f32_e32 v11, v11, v14
	v_exp_f32_e32 v11, v11
	v_cvt_i32_f32_e32 v14, v15
	v_cmp_ngt_f32_e32 vcc, s4, v10
	v_cndmask_b32_e32 v4, 0, v4, vcc
	v_cmp_nlt_f32_e32 vcc, s6, v10
	v_cndmask_b32_e32 v4, v2, v4, vcc
	v_add_f32_e32 v3, v3, v4
	v_ldexp_f32 v4, v11, v14
	buffer_load_dword v11, off, s[0:3], 0 offset:72
	s_waitcnt vmcnt(5)
	v_sub_f32_e32 v10, v20, v9
	v_mul_f32_e32 v14, 0x3fb8aa3b, v10
	v_cmp_ngt_f32_e32 vcc, s4, v5
	v_fma_f32 v15, v10, s5, -v14
	v_rndne_f32_e32 v16, v14
	v_cndmask_b32_e32 v4, 0, v4, vcc
	v_fmac_f32_e32 v15, 0x32a5705f, v10
	v_sub_f32_e32 v14, v14, v16
	v_cmp_nlt_f32_e32 vcc, s6, v5
	buffer_load_dword v5, off, s[0:3], 0 offset:76
	v_add_f32_e32 v14, v14, v15
	v_exp_f32_e32 v14, v14
	v_cvt_i32_f32_e32 v15, v16
	v_cndmask_b32_e32 v4, v2, v4, vcc
	v_add_f32_e32 v3, v3, v4
	v_cmp_ngt_f32_e32 vcc, s4, v10
	v_ldexp_f32 v4, v14, v15
	s_waitcnt vmcnt(5)
	v_sub_f32_e32 v14, v21, v9
	v_cndmask_b32_e32 v4, 0, v4, vcc
	v_mul_f32_e32 v15, 0x3fb8aa3b, v14
	v_cmp_nlt_f32_e32 vcc, s6, v10
	buffer_load_dword v10, off, s[0:3], 0 offset:80
	v_fma_f32 v16, v14, s5, -v15
	v_rndne_f32_e32 v17, v15
	v_fmac_f32_e32 v16, 0x32a5705f, v14
	v_sub_f32_e32 v15, v15, v17
	v_add_f32_e32 v15, v15, v16
	v_exp_f32_e32 v15, v15
	v_cvt_i32_f32_e32 v16, v17
	v_cndmask_b32_e32 v4, v2, v4, vcc
	v_add_f32_e32 v3, v3, v4
	v_cmp_ngt_f32_e32 vcc, s4, v14
	v_ldexp_f32 v4, v15, v16
	v_cndmask_b32_e32 v4, 0, v4, vcc
	v_cmp_nlt_f32_e32 vcc, s6, v14
	buffer_load_dword v14, off, s[0:3], 0 offset:84
	s_waitcnt vmcnt(6)
	v_sub_f32_e32 v15, v22, v9
	v_mul_f32_e32 v16, 0x3fb8aa3b, v15
	v_fma_f32 v17, v15, s5, -v16
	v_rndne_f32_e32 v18, v16
	v_fmac_f32_e32 v17, 0x32a5705f, v15
	v_sub_f32_e32 v16, v16, v18
	v_add_f32_e32 v16, v16, v17
	v_exp_f32_e32 v16, v16
	v_cvt_i32_f32_e32 v17, v18
	v_cndmask_b32_e32 v4, v2, v4, vcc
	v_add_f32_e32 v3, v3, v4
	v_cmp_ngt_f32_e32 vcc, s4, v15
	v_ldexp_f32 v4, v16, v17
	buffer_load_dword v16, off, s[0:3], 0 offset:88
	buffer_load_dword v17, off, s[0:3], 0 offset:100
	v_cndmask_b32_e32 v4, 0, v4, vcc
	s_waitcnt vmcnt(7)
	v_sub_f32_e32 v13, v13, v9
	v_mul_f32_e32 v18, 0x3fb8aa3b, v13
	v_fma_f32 v19, v13, s5, -v18
	v_rndne_f32_e32 v20, v18
	v_fmac_f32_e32 v19, 0x32a5705f, v13
	v_sub_f32_e32 v18, v18, v20
	v_add_f32_e32 v18, v18, v19
	v_exp_f32_e32 v18, v18
	v_cvt_i32_f32_e32 v19, v20
	v_cmp_nlt_f32_e32 vcc, s6, v15
	v_cndmask_b32_e32 v4, v2, v4, vcc
	v_add_f32_e32 v3, v3, v4
	v_ldexp_f32 v4, v18, v19
	s_waitcnt vmcnt(6)
	v_sub_f32_e32 v12, v12, v9
	v_mul_f32_e32 v15, 0x3fb8aa3b, v12
	v_fma_f32 v18, v12, s5, -v15
	v_rndne_f32_e32 v19, v15
	v_fmac_f32_e32 v18, 0x32a5705f, v12
	v_sub_f32_e32 v15, v15, v19
	v_add_f32_e32 v15, v15, v18
	v_exp_f32_e32 v15, v15
	v_cvt_i32_f32_e32 v18, v19
	v_cmp_ngt_f32_e32 vcc, s4, v13
	v_cndmask_b32_e32 v4, 0, v4, vcc
	v_cmp_nlt_f32_e32 vcc, s6, v13
	v_cndmask_b32_e32 v4, v2, v4, vcc
	v_add_f32_e32 v3, v3, v4
	v_ldexp_f32 v4, v15, v18
	s_waitcnt vmcnt(5)
	v_sub_f32_e32 v11, v11, v9
	v_mul_f32_e32 v13, 0x3fb8aa3b, v11
	v_fma_f32 v15, v11, s5, -v13
	v_rndne_f32_e32 v18, v13
	v_fmac_f32_e32 v15, 0x32a5705f, v11
	v_sub_f32_e32 v13, v13, v18
	v_add_f32_e32 v13, v13, v15
	v_exp_f32_e32 v13, v13
	v_cvt_i32_f32_e32 v15, v18
	v_cmp_ngt_f32_e32 vcc, s4, v12
	v_cndmask_b32_e32 v4, 0, v4, vcc
	v_cmp_nlt_f32_e32 vcc, s6, v12
	s_waitcnt vmcnt(4)
	v_sub_f32_e32 v5, v5, v9
	v_cndmask_b32_e32 v4, v2, v4, vcc
	v_mul_f32_e32 v12, 0x3fb8aa3b, v5
	v_add_f32_e32 v3, v3, v4
	v_ldexp_f32 v4, v13, v15
	v_fma_f32 v13, v5, s5, -v12
	v_rndne_f32_e32 v15, v12
	v_fmac_f32_e32 v13, 0x32a5705f, v5
	v_sub_f32_e32 v12, v12, v15
	v_add_f32_e32 v12, v12, v13
	v_exp_f32_e32 v12, v12
	v_cvt_i32_f32_e32 v13, v15
	v_cmp_ngt_f32_e32 vcc, s4, v11
	v_cndmask_b32_e32 v4, 0, v4, vcc
	v_cmp_nlt_f32_e32 vcc, s6, v11
	s_waitcnt vmcnt(3)
	v_sub_f32_e32 v10, v10, v9
	v_cndmask_b32_e32 v4, v2, v4, vcc
	v_mul_f32_e32 v11, 0x3fb8aa3b, v10
	v_add_f32_e32 v3, v3, v4
	v_ldexp_f32 v4, v12, v13
	v_fma_f32 v12, v10, s5, -v11
	v_rndne_f32_e32 v13, v11
	v_fmac_f32_e32 v12, 0x32a5705f, v10
	v_sub_f32_e32 v11, v11, v13
	v_add_f32_e32 v11, v11, v12
	v_exp_f32_e32 v11, v11
	v_cvt_i32_f32_e32 v12, v13
	v_cmp_ngt_f32_e32 vcc, s4, v5
	v_cndmask_b32_e32 v4, 0, v4, vcc
	v_cmp_nlt_f32_e32 vcc, s6, v5
	v_cndmask_b32_e32 v4, v2, v4, vcc
	v_add_f32_e32 v3, v3, v4
	v_ldexp_f32 v4, v11, v12
	s_waitcnt vmcnt(2)
	v_sub_f32_e32 v5, v14, v9
	buffer_load_dword v11, off, s[0:3], 0 offset:104
	v_mul_f32_e32 v12, 0x3fb8aa3b, v5
	v_fma_f32 v13, v5, s5, -v12
	v_rndne_f32_e32 v14, v12
	v_fmac_f32_e32 v13, 0x32a5705f, v5
	v_sub_f32_e32 v12, v12, v14
	v_add_f32_e32 v12, v12, v13
	v_exp_f32_e32 v12, v12
	v_cvt_i32_f32_e32 v13, v14
	v_cmp_ngt_f32_e32 vcc, s4, v10
	v_cndmask_b32_e32 v4, 0, v4, vcc
	v_cmp_nlt_f32_e32 vcc, s6, v10
	buffer_load_dword v10, off, s[0:3], 0 offset:108
	v_cndmask_b32_e32 v4, v2, v4, vcc
	v_add_f32_e32 v3, v3, v4
	v_ldexp_f32 v4, v12, v13
	s_waitcnt vmcnt(3)
	v_sub_f32_e32 v12, v16, v9
	v_mul_f32_e32 v13, 0x3fb8aa3b, v12
	v_fma_f32 v14, v12, s5, -v13
	v_rndne_f32_e32 v15, v13
	v_fmac_f32_e32 v14, 0x32a5705f, v12
	v_sub_f32_e32 v13, v13, v15
	v_cmp_ngt_f32_e32 vcc, s4, v5
	v_add_f32_e32 v13, v13, v14
	v_cndmask_b32_e32 v4, 0, v4, vcc
	v_exp_f32_e32 v13, v13
	v_cvt_i32_f32_e32 v14, v15
	v_cmp_nlt_f32_e32 vcc, s6, v5
	buffer_load_dword v5, off, s[0:3], 0 offset:112
	v_cndmask_b32_e32 v4, v2, v4, vcc
	v_add_f32_e32 v3, v3, v4
	v_ldexp_f32 v4, v13, v14
	v_mul_f32_e32 v13, 0x3fb8aa3b, v1
	v_fma_f32 v14, v1, s5, -v13
	v_rndne_f32_e32 v15, v13
	v_fmac_f32_e32 v14, 0x32a5705f, v1
	v_sub_f32_e32 v13, v13, v15
	v_cmp_ngt_f32_e32 vcc, s4, v12
	v_add_f32_e32 v13, v13, v14
	v_cndmask_b32_e32 v4, 0, v4, vcc
	v_exp_f32_e32 v13, v13
	v_cvt_i32_f32_e32 v14, v15
	v_cmp_nlt_f32_e32 vcc, s6, v12
	buffer_load_dword v12, off, s[0:3], 0 offset:116
	v_cndmask_b32_e32 v4, v2, v4, vcc
	v_add_f32_e32 v3, v3, v4
	v_ldexp_f32 v4, v13, v14
	v_cmp_ngt_f32_e32 vcc, s4, v1
	v_cndmask_b32_e32 v4, 0, v4, vcc
	v_mul_f32_e32 v13, 0x3fb8aa3b, v0
	v_cmp_nlt_f32_e32 vcc, s6, v1
	v_fma_f32 v14, v0, s5, -v13
	v_rndne_f32_e32 v15, v13
	v_cndmask_b32_e32 v1, v2, v4, vcc
	v_fmac_f32_e32 v14, 0x32a5705f, v0
	v_sub_f32_e32 v13, v13, v15
	v_add_f32_e32 v1, v3, v1
	buffer_load_dword v3, off, s[0:3], 0 offset:120
	v_add_f32_e32 v13, v13, v14
	v_exp_f32_e32 v13, v13
	v_cvt_i32_f32_e32 v14, v15
	v_cmp_ngt_f32_e32 vcc, s4, v0
	v_ldexp_f32 v4, v13, v14
	v_cndmask_b32_e32 v4, 0, v4, vcc
	v_cmp_nlt_f32_e32 vcc, s6, v0
	v_cndmask_b32_e32 v0, v2, v4, vcc
	buffer_load_dword v4, off, s[0:3], 0 offset:124
	s_waitcnt vmcnt(6)
	v_sub_f32_e32 v13, v17, v9
	v_mul_f32_e32 v14, 0x3fb8aa3b, v13
	v_fma_f32 v15, v13, s5, -v14
	v_rndne_f32_e32 v16, v14
	v_fmac_f32_e32 v15, 0x32a5705f, v13
	v_sub_f32_e32 v14, v14, v16
	v_add_f32_e32 v14, v14, v15
	v_exp_f32_e32 v14, v14
	v_cvt_i32_f32_e32 v15, v16
	v_add_f32_e32 v0, v1, v0
	v_cmp_ngt_f32_e32 vcc, s4, v13
	s_waitcnt vmcnt(5)
	v_sub_f32_e32 v11, v11, v9
	v_ldexp_f32 v1, v14, v15
	v_mul_f32_e32 v14, 0x3fb8aa3b, v11
	v_fma_f32 v15, v11, s5, -v14
	v_rndne_f32_e32 v16, v14
	v_fmac_f32_e32 v15, 0x32a5705f, v11
	v_sub_f32_e32 v14, v14, v16
	v_add_f32_e32 v14, v14, v15
	v_exp_f32_e32 v14, v14
	v_cvt_i32_f32_e32 v15, v16
	v_cndmask_b32_e32 v1, 0, v1, vcc
	v_cmp_nlt_f32_e32 vcc, s6, v13
	s_waitcnt vmcnt(4)
	v_sub_f32_e32 v10, v10, v9
	v_cndmask_b32_e32 v1, v2, v1, vcc
	v_mul_f32_e32 v13, 0x3fb8aa3b, v10
	v_add_f32_e32 v0, v0, v1
	v_ldexp_f32 v1, v14, v15
	v_fma_f32 v14, v10, s5, -v13
	v_rndne_f32_e32 v15, v13
	v_fmac_f32_e32 v14, 0x32a5705f, v10
	v_sub_f32_e32 v13, v13, v15
	v_add_f32_e32 v13, v13, v14
	v_exp_f32_e32 v13, v13
	v_cvt_i32_f32_e32 v14, v15
	v_cmp_ngt_f32_e32 vcc, s4, v11
	v_cndmask_b32_e32 v1, 0, v1, vcc
	v_cmp_nlt_f32_e32 vcc, s6, v11
	v_cndmask_b32_e32 v1, v2, v1, vcc
	s_waitcnt vmcnt(3)
	v_sub_f32_e32 v5, v5, v9
	v_mul_f32_e32 v11, 0x3fb8aa3b, v5
	v_add_f32_e32 v0, v0, v1
	v_ldexp_f32 v1, v13, v14
	v_fma_f32 v13, v5, s5, -v11
	v_rndne_f32_e32 v14, v11
	v_fmac_f32_e32 v13, 0x32a5705f, v5
	v_sub_f32_e32 v11, v11, v14
	v_add_f32_e32 v11, v11, v13
	v_exp_f32_e32 v11, v11
	v_cvt_i32_f32_e32 v13, v14
	v_cmp_ngt_f32_e32 vcc, s4, v10
	v_cndmask_b32_e32 v1, 0, v1, vcc
	v_cmp_nlt_f32_e32 vcc, s6, v10
	v_cndmask_b32_e32 v1, v2, v1, vcc
	s_waitcnt vmcnt(2)
	v_sub_f32_e32 v10, v12, v9
	v_add_f32_e32 v0, v0, v1
	v_ldexp_f32 v1, v11, v13
	v_mul_f32_e32 v11, 0x3fb8aa3b, v10
	v_fma_f32 v12, v10, s5, -v11
	v_rndne_f32_e32 v13, v11
	v_fmac_f32_e32 v12, 0x32a5705f, v10
	v_sub_f32_e32 v11, v11, v13
	v_add_f32_e32 v11, v11, v12
	v_exp_f32_e32 v11, v11
	v_cvt_i32_f32_e32 v12, v13
	v_cmp_ngt_f32_e32 vcc, s4, v5
	v_cndmask_b32_e32 v1, 0, v1, vcc
	v_cmp_nlt_f32_e32 vcc, s6, v5
	s_waitcnt vmcnt(1)
	v_sub_f32_e32 v3, v3, v9
	v_cndmask_b32_e32 v1, v2, v1, vcc
	v_mul_f32_e32 v5, 0x3fb8aa3b, v3
	v_add_f32_e32 v0, v0, v1
	v_ldexp_f32 v1, v11, v12
	v_fma_f32 v11, v3, s5, -v5
	v_rndne_f32_e32 v12, v5
	v_fmac_f32_e32 v11, 0x32a5705f, v3
	v_sub_f32_e32 v5, v5, v12
	v_add_f32_e32 v5, v5, v11
	v_exp_f32_e32 v5, v5
	v_cvt_i32_f32_e32 v11, v12
	v_cmp_ngt_f32_e32 vcc, s4, v10
	v_cndmask_b32_e32 v1, 0, v1, vcc
	v_cmp_nlt_f32_e32 vcc, s6, v10
	v_cndmask_b32_e32 v1, v2, v1, vcc
	s_waitcnt vmcnt(0)
	v_sub_f32_e32 v4, v4, v9
	v_add_f32_e32 v0, v0, v1
	v_ldexp_f32 v1, v5, v11
	v_mul_f32_e32 v5, 0x3fb8aa3b, v4
	v_fma_f32 v9, v4, s5, -v5
	v_rndne_f32_e32 v10, v5
	v_fmac_f32_e32 v9, 0x32a5705f, v4
	v_sub_f32_e32 v5, v5, v10
	v_add_f32_e32 v5, v5, v9
	v_exp_f32_e32 v5, v5
	v_cvt_i32_f32_e32 v9, v10
	v_cmp_ngt_f32_e32 vcc, s4, v3
	v_cndmask_b32_e32 v1, 0, v1, vcc
	v_cmp_nlt_f32_e32 vcc, s6, v3
	v_cndmask_b32_e32 v1, v2, v1, vcc
	v_add_f32_e32 v0, v0, v1
	v_ldexp_f32 v1, v5, v9
	v_cmp_ngt_f32_e32 vcc, s4, v4
	v_cndmask_b32_e32 v1, 0, v1, vcc
	v_cmp_nlt_f32_e32 vcc, s6, v4
	v_cndmask_b32_e32 v1, v2, v1, vcc
	v_add_f32_e32 v0, v0, v1
	v_cmp_eq_u32_e32 vcc, 0, v7
	s_nop 0
	v_mov_b32_dpp v1, v0 quad_perm:[1,0,3,2] row_mask:0xf bank_mask:0xf
	v_add_f32_e32 v0, v0, v1
	s_nop 1
	v_mov_b32_dpp v1, v0 quad_perm:[2,3,0,1] row_mask:0xf bank_mask:0xf
	v_add_f32_e32 v0, v0, v1
	s_nop 1
	v_mov_b32_dpp v1, v0 row_half_mirror row_mask:0xf bank_mask:0xf
	v_add_f32_e32 v0, v0, v1
	s_nop 1
	v_mov_b32_dpp v1, v0 row_mirror row_mask:0xf bank_mask:0xf
	s_and_b64 exec, exec, vcc
	s_cbranch_execz .LBB203_32
; %bb.20:
	v_add_f32_e32 v0, v0, v1
	v_add_f32_e32 v0, v8, v0
	v_cmp_neq_f32_e32 vcc, 0, v0
	s_and_b64 exec, exec, vcc
	s_cbranch_execz .LBB203_32
; %bb.21:
	s_andn2_b64 vcc, exec, s[10:11]
	s_cbranch_vccnz .LBB203_32
; %bb.22:
	v_div_scale_f32 v1, s[4:5], v0, v0, 1.0
	v_rcp_f32_e32 v2, v1
	v_div_scale_f32 v3, vcc, 1.0, v0, 1.0
	s_cmp_gt_u32 s12, 3
	v_fma_f32 v4, -v1, v2, 1.0
	v_fmac_f32_e32 v2, v4, v2
	v_mul_f32_e32 v4, v3, v2
	v_fma_f32 v5, -v1, v4, v3
	v_fmac_f32_e32 v4, v5, v2
	v_fma_f32 v1, -v1, v4, v3
	v_div_fmas_f32 v1, v1, v2, v4
	v_mul_lo_u32 v2, v6, s15
	v_div_fixup_f32 v0, v1, v0, 1.0
	v_ashrrev_i32_e32 v3, 31, v2
	s_cbranch_scc0 .LBB203_26
; %bb.23:
	v_lshlrev_b64 v[4:5], 2, v[2:3]
	v_mov_b32_e32 v6, s21
	v_add_co_u32_e32 v4, vcc, s20, v4
	v_addc_co_u32_e32 v5, vcc, v5, v6, vcc
	s_and_b32 s8, s12, 0x7ffffffc
	v_add_co_u32_e32 v4, vcc, 8, v4
	v_mov_b32_e32 v1, v0
	v_addc_co_u32_e32 v5, vcc, 0, v5, vcc
	s_mov_b32 s4, s8
.LBB203_24:                             ; =>This Inner Loop Header: Depth=1
	global_load_dwordx4 v[6:9], v[4:5], off offset:-8
	s_add_i32 s4, s4, -4
	s_cmp_lg_u32 s4, 0
	s_waitcnt vmcnt(0)
	v_pk_mul_f32 v[6:7], v[0:1], v[6:7]
	v_pk_mul_f32 v[8:9], v[0:1], v[8:9]
	global_store_dwordx4 v[4:5], v[6:9], off offset:-8
	v_add_co_u32_e32 v4, vcc, 16, v4
	v_addc_co_u32_e32 v5, vcc, 0, v5, vcc
	s_cbranch_scc1 .LBB203_24
; %bb.25:
	s_cmp_lg_u32 s8, s12
	s_mov_b64 s[6:7], 0
	s_cselect_b64 s[4:5], -1, 0
	s_branch .LBB203_27
.LBB203_26:
	s_mov_b64 s[6:7], -1
	s_mov_b64 s[4:5], 0
                                        ; implicit-def: $sgpr8
.LBB203_27:
	s_and_b64 vcc, exec, s[6:7]
	s_cbranch_vccz .LBB203_29
; %bb.28:
	s_mov_b64 s[4:5], -1
	s_mov_b32 s8, 0
.LBB203_29:
	s_andn2_b64 vcc, exec, s[4:5]
	s_cbranch_vccnz .LBB203_32
; %bb.30:
	v_add_co_u32_e32 v2, vcc, s8, v2
	v_addc_co_u32_e32 v3, vcc, 0, v3, vcc
	v_lshlrev_b64 v[2:3], 2, v[2:3]
	v_mov_b32_e32 v1, s21
	v_add_co_u32_e32 v2, vcc, s20, v2
	s_sub_i32 s4, s12, s8
	v_addc_co_u32_e32 v3, vcc, v1, v3, vcc
.LBB203_31:                             ; =>This Inner Loop Header: Depth=1
	global_load_dword v1, v[2:3], off
	s_add_i32 s4, s4, -1
	s_cmp_lg_u32 s4, 0
	s_waitcnt vmcnt(0)
	v_mul_f32_e32 v1, v0, v1
	global_store_dword v[2:3], v1, off
	v_add_co_u32_e32 v2, vcc, 4, v2
	v_addc_co_u32_e32 v3, vcc, 0, v3, vcc
	s_cbranch_scc1 .LBB203_31
.LBB203_32:
	s_endpgm
	.section	.rodata,"a",@progbits
	.p2align	6, 0x0
	.amdhsa_kernel _ZN4vllm3moe17topkGatingSoftmaxIDF16_Li32ELi512ELi2ELi64ELb0ELi4ELNS0_23SharedExpertScoringFuncE1EEEvPKT_PKbPfiPiS9_iiiiii
		.amdhsa_group_segment_fixed_size 0
		.amdhsa_private_segment_fixed_size 144
		.amdhsa_kernarg_size 72
		.amdhsa_user_sgpr_count 8
		.amdhsa_user_sgpr_private_segment_buffer 1
		.amdhsa_user_sgpr_dispatch_ptr 0
		.amdhsa_user_sgpr_queue_ptr 0
		.amdhsa_user_sgpr_kernarg_segment_ptr 1
		.amdhsa_user_sgpr_dispatch_id 0
		.amdhsa_user_sgpr_flat_scratch_init 1
		.amdhsa_user_sgpr_kernarg_preload_length 0
		.amdhsa_user_sgpr_kernarg_preload_offset 0
		.amdhsa_user_sgpr_private_segment_size 0
		.amdhsa_uses_dynamic_stack 0
		.amdhsa_system_sgpr_private_segment_wavefront_offset 1
		.amdhsa_system_sgpr_workgroup_id_x 1
		.amdhsa_system_sgpr_workgroup_id_y 0
		.amdhsa_system_sgpr_workgroup_id_z 0
		.amdhsa_system_sgpr_workgroup_info 0
		.amdhsa_system_vgpr_workitem_id 1
		.amdhsa_next_free_vgpr 61
		.amdhsa_next_free_sgpr 29
		.amdhsa_accum_offset 64
		.amdhsa_reserve_vcc 1
		.amdhsa_reserve_flat_scratch 0
		.amdhsa_float_round_mode_32 0
		.amdhsa_float_round_mode_16_64 0
		.amdhsa_float_denorm_mode_32 3
		.amdhsa_float_denorm_mode_16_64 3
		.amdhsa_dx10_clamp 1
		.amdhsa_ieee_mode 1
		.amdhsa_fp16_overflow 0
		.amdhsa_tg_split 0
		.amdhsa_exception_fp_ieee_invalid_op 0
		.amdhsa_exception_fp_denorm_src 0
		.amdhsa_exception_fp_ieee_div_zero 0
		.amdhsa_exception_fp_ieee_overflow 0
		.amdhsa_exception_fp_ieee_underflow 0
		.amdhsa_exception_fp_ieee_inexact 0
		.amdhsa_exception_int_div_zero 0
	.end_amdhsa_kernel
	.section	.text._ZN4vllm3moe17topkGatingSoftmaxIDF16_Li32ELi512ELi2ELi64ELb0ELi4ELNS0_23SharedExpertScoringFuncE1EEEvPKT_PKbPfiPiS9_iiiiii,"axG",@progbits,_ZN4vllm3moe17topkGatingSoftmaxIDF16_Li32ELi512ELi2ELi64ELb0ELi4ELNS0_23SharedExpertScoringFuncE1EEEvPKT_PKbPfiPiS9_iiiiii,comdat
.Lfunc_end203:
	.size	_ZN4vllm3moe17topkGatingSoftmaxIDF16_Li32ELi512ELi2ELi64ELb0ELi4ELNS0_23SharedExpertScoringFuncE1EEEvPKT_PKbPfiPiS9_iiiiii, .Lfunc_end203-_ZN4vllm3moe17topkGatingSoftmaxIDF16_Li32ELi512ELi2ELi64ELb0ELi4ELNS0_23SharedExpertScoringFuncE1EEEvPKT_PKbPfiPiS9_iiiiii
                                        ; -- End function
	.section	.AMDGPU.csdata,"",@progbits
; Kernel info:
; codeLenInByte = 7472
; NumSgprs: 33
; NumVgprs: 61
; NumAgprs: 0
; TotalNumVgprs: 61
; ScratchSize: 144
; MemoryBound: 0
; FloatMode: 240
; IeeeMode: 1
; LDSByteSize: 0 bytes/workgroup (compile time only)
; SGPRBlocks: 4
; VGPRBlocks: 7
; NumSGPRsForWavesPerEU: 33
; NumVGPRsForWavesPerEU: 61
; AccumOffset: 64
; Occupancy: 8
; WaveLimiterHint : 0
; COMPUTE_PGM_RSRC2:SCRATCH_EN: 1
; COMPUTE_PGM_RSRC2:USER_SGPR: 8
; COMPUTE_PGM_RSRC2:TRAP_HANDLER: 0
; COMPUTE_PGM_RSRC2:TGID_X_EN: 1
; COMPUTE_PGM_RSRC2:TGID_Y_EN: 0
; COMPUTE_PGM_RSRC2:TGID_Z_EN: 0
; COMPUTE_PGM_RSRC2:TIDIG_COMP_CNT: 1
; COMPUTE_PGM_RSRC3_GFX90A:ACCUM_OFFSET: 15
; COMPUTE_PGM_RSRC3_GFX90A:TG_SPLIT: 0
	.section	.text._ZN4vllm3moe17topkGatingSoftmaxIDF16_Li32ELi512ELi2ELi64ELb1ELi8ELNS0_23SharedExpertScoringFuncE1EEEvPKT_PKbPfiPiS9_iiiiii,"axG",@progbits,_ZN4vllm3moe17topkGatingSoftmaxIDF16_Li32ELi512ELi2ELi64ELb1ELi8ELNS0_23SharedExpertScoringFuncE1EEEvPKT_PKbPfiPiS9_iiiiii,comdat
	.protected	_ZN4vllm3moe17topkGatingSoftmaxIDF16_Li32ELi512ELi2ELi64ELb1ELi8ELNS0_23SharedExpertScoringFuncE1EEEvPKT_PKbPfiPiS9_iiiiii ; -- Begin function _ZN4vllm3moe17topkGatingSoftmaxIDF16_Li32ELi512ELi2ELi64ELb1ELi8ELNS0_23SharedExpertScoringFuncE1EEEvPKT_PKbPfiPiS9_iiiiii
	.globl	_ZN4vllm3moe17topkGatingSoftmaxIDF16_Li32ELi512ELi2ELi64ELb1ELi8ELNS0_23SharedExpertScoringFuncE1EEEvPKT_PKbPfiPiS9_iiiiii
	.p2align	8
	.type	_ZN4vllm3moe17topkGatingSoftmaxIDF16_Li32ELi512ELi2ELi64ELb1ELi8ELNS0_23SharedExpertScoringFuncE1EEEvPKT_PKbPfiPiS9_iiiiii,@function
_ZN4vllm3moe17topkGatingSoftmaxIDF16_Li32ELi512ELi2ELi64ELb1ELi8ELNS0_23SharedExpertScoringFuncE1EEEvPKT_PKbPfiPiS9_iiiiii: ; @_ZN4vllm3moe17topkGatingSoftmaxIDF16_Li32ELi512ELi2ELi64ELb1ELi8ELNS0_23SharedExpertScoringFuncE1EEEvPKT_PKbPfiPiS9_iiiiii
; %bb.0:
	s_load_dword s28, s[4:5], 0x18
	s_add_u32 s0, s0, s9
	v_bfe_u32 v1, v0, 10, 10
	v_and_b32_e32 v0, 0x3ff, v0
	s_addc_u32 s1, s1, 0
	s_lshl_b32 s29, s8, 3
	v_lshlrev_b32_e32 v41, 2, v1
	v_lshrrev_b32_e32 v42, 4, v0
	v_add3_u32 v6, s29, v41, v42
	s_waitcnt lgkmcnt(0)
	v_cmp_gt_i32_e32 vcc, s28, v6
	s_and_saveexec_b64 s[6:7], vcc
	s_cbranch_execz .LBB204_29
; %bb.1:
	s_load_dwordx4 s[8:11], s[4:5], 0x0
	s_load_dwordx2 s[20:21], s[4:5], 0x10
	s_waitcnt lgkmcnt(0)
	s_cmp_eq_u64 s[10:11], 0
	s_cbranch_scc1 .LBB204_3
; %bb.2:
	v_ashrrev_i32_e32 v1, 31, v6
	v_mov_b32_e32 v3, s11
	v_add_co_u32_e32 v2, vcc, s10, v6
	v_addc_co_u32_e32 v3, vcc, v3, v1, vcc
	global_load_ubyte v1, v[2:3], off
	s_waitcnt vmcnt(0)
	v_and_b32_e32 v1, 1, v1
	v_cmp_eq_u32_e32 vcc, 1, v1
	s_xor_b64 s[6:7], vcc, -1
	s_orn2_b64 s[22:23], s[6:7], exec
	s_branch .LBB204_4
.LBB204_3:
	s_mov_b64 s[22:23], -1
.LBB204_4:
	s_load_dwordx2 s[26:27], s[4:5], 0x40
	s_load_dwordx4 s[12:15], s[4:5], 0x30
	v_mov_b32_e32 v1, s9
	v_and_b32_e32 v7, 15, v0
	v_lshlrev_b32_e32 v0, 6, v7
	s_waitcnt lgkmcnt(0)
	v_mul_lo_u32 v2, v6, s27
	v_ashrrev_i32_e32 v3, 31, v2
	v_lshlrev_b64 v[2:3], 1, v[2:3]
	v_add_co_u32_e32 v10, vcc, s8, v2
	v_addc_co_u32_e32 v27, vcc, v1, v3, vcc
	v_add_co_u32_e32 v4, vcc, v10, v0
	v_addc_co_u32_e32 v5, vcc, 0, v27, vcc
	global_load_dwordx4 v[0:3], v[4:5], off
	global_load_dwordx4 v[22:25], v[4:5], off offset:16
	global_load_dwordx4 v[28:31], v[4:5], off offset:32
	;; [unrolled: 1-line block ×3, first 2 shown]
	v_mov_b32_e32 v8, 0
	v_lshlrev_b32_e32 v9, 5, v7
	v_cmp_gt_u32_e32 vcc, 8, v7
	s_waitcnt vmcnt(3)
	v_cvt_f32_f16_e32 v11, v0
	v_cvt_f32_f16_sdwa v26, v0 dst_sel:DWORD dst_unused:UNUSED_PAD src0_sel:WORD_1
	v_cvt_f32_f16_e32 v12, v1
	v_cvt_f32_f16_sdwa v13, v1 dst_sel:DWORD dst_unused:UNUSED_PAD src0_sel:WORD_1
	;; [unrolled: 2-line block ×4, first 2 shown]
	s_waitcnt vmcnt(2)
	v_cvt_f32_f16_e32 v18, v22
	v_cvt_f32_f16_sdwa v19, v22 dst_sel:DWORD dst_unused:UNUSED_PAD src0_sel:WORD_1
	v_cvt_f32_f16_e32 v20, v23
	v_cvt_f32_f16_sdwa v21, v23 dst_sel:DWORD dst_unused:UNUSED_PAD src0_sel:WORD_1
	;; [unrolled: 2-line block ×4, first 2 shown]
	s_waitcnt vmcnt(1)
	v_cvt_f32_f16_e32 v5, v28
	v_cvt_f32_f16_sdwa v4, v28 dst_sel:DWORD dst_unused:UNUSED_PAD src0_sel:WORD_1
	v_cvt_f32_f16_e32 v3, v29
	v_cvt_f32_f16_sdwa v2, v29 dst_sel:DWORD dst_unused:UNUSED_PAD src0_sel:WORD_1
	v_cvt_f32_f16_e32 v1, v30
	s_waitcnt vmcnt(0)
	v_cvt_f32_f16_e32 v37, v35
	v_cvt_f32_f16_e32 v38, v34
	v_cvt_f32_f16_sdwa v36, v33 dst_sel:DWORD dst_unused:UNUSED_PAD src0_sel:WORD_1
	v_cvt_f32_f16_e32 v33, v33
	v_cvt_f32_f16_sdwa v28, v30 dst_sel:DWORD dst_unused:UNUSED_PAD src0_sel:WORD_1
	v_cvt_f32_f16_sdwa v29, v31 dst_sel:DWORD dst_unused:UNUSED_PAD src0_sel:WORD_1
	v_cvt_f32_f16_e32 v30, v31
	v_cvt_f32_f16_sdwa v31, v32 dst_sel:DWORD dst_unused:UNUSED_PAD src0_sel:WORD_1
	v_cvt_f32_f16_e32 v32, v32
	v_cvt_f32_f16_sdwa v34, v34 dst_sel:DWORD dst_unused:UNUSED_PAD src0_sel:WORD_1
	v_cvt_f32_f16_sdwa v35, v35 dst_sel:DWORD dst_unused:UNUSED_PAD src0_sel:WORD_1
	buffer_store_dword v37, off, s[0:3], 0 offset:120
	buffer_store_dword v38, off, s[0:3], 0 offset:112
	;; [unrolled: 1-line block ×15, first 2 shown]
	buffer_store_dword v11, off, s[0:3], 0
	buffer_store_dword v35, off, s[0:3], 0 offset:124
	buffer_store_dword v34, off, s[0:3], 0 offset:116
	;; [unrolled: 1-line block ×16, first 2 shown]
	s_and_saveexec_b64 s[6:7], vcc
	s_cbranch_execz .LBB204_6
; %bb.5:
	v_lshlrev_b32_e32 v28, 1, v7
	v_add_co_u32_e32 v28, vcc, v10, v28
	v_addc_co_u32_e32 v29, vcc, 0, v27, vcc
	global_load_ushort v10, v[28:29], off offset:1024
	s_mov_b32 s8, 0x3fb8aa3b
	s_mov_b32 s9, 0x32a5705f
	s_mov_b32 s10, 0xc2ce8ed0
	s_mov_b32 s11, 0x42b17218
	v_mov_b32_e32 v31, 0x7f800000
	v_mul_lo_u32 v27, v6, s15
	v_mov_b32_e32 v33, s21
	s_waitcnt vmcnt(0)
	v_cvt_f32_f16_e64 v30, -v10
	v_mul_f32_e32 v28, 0x3fb8aa3b, v30
	v_fma_mix_f32 v29, -v10, s8, -v28 op_sel_hi:[1,0,0]
	v_rndne_f32_e32 v32, v28
	v_fma_mix_f32 v10, -v10, s9, v29 op_sel_hi:[1,0,0]
	v_sub_f32_e32 v28, v28, v32
	v_add_f32_e32 v10, v28, v10
	v_cvt_i32_f32_e32 v32, v32
	v_exp_f32_e32 v10, v10
	v_cmp_ngt_f32_e32 vcc, s10, v30
	v_add3_u32 v28, v27, s12, v7
	v_ashrrev_i32_e32 v29, 31, v28
	v_ldexp_f32 v10, v10, v32
	v_cndmask_b32_e32 v10, 0, v10, vcc
	v_cmp_nlt_f32_e32 vcc, s11, v30
	v_cndmask_b32_e32 v10, v31, v10, vcc
	v_add_f32_e32 v10, 1.0, v10
	v_div_scale_f32 v27, s[8:9], v10, v10, 1.0
	v_rcp_f32_e32 v30, v27
	v_div_scale_f32 v31, vcc, 1.0, v10, 1.0
	v_lshlrev_b64 v[28:29], 2, v[28:29]
	v_fma_f32 v32, -v27, v30, 1.0
	v_fmac_f32_e32 v30, v32, v30
	v_mul_f32_e32 v32, v31, v30
	v_fma_f32 v34, -v27, v32, v31
	v_fmac_f32_e32 v32, v34, v30
	v_fma_f32 v27, -v27, v32, v31
	v_div_fmas_f32 v27, v27, v30, v32
	v_add_co_u32_e32 v28, vcc, s20, v28
	v_div_fixup_f32 v10, v27, v10, 1.0
	v_addc_co_u32_e32 v29, vcc, v33, v29, vcc
	global_store_dword v[28:29], v10, off
.LBB204_6:
	s_or_b64 exec, exec, s[6:7]
	buffer_load_dword v31, off, s[0:3], 0 offset:84
	buffer_load_dword v32, off, s[0:3], 0 offset:88
	;; [unrolled: 1-line block ×11, first 2 shown]
	v_cmp_lt_f16_sdwa vcc, v0, v0 src0_sel:DWORD src1_sel:WORD_1
	v_or_b32_e32 v10, 1, v9
	v_cndmask_b32_e32 v26, v11, v26, vcc
	v_cndmask_b32_e32 v0, v9, v10, vcc
	v_cmp_lt_f32_e32 vcc, v26, v12
	v_or_b32_e32 v11, 2, v9
	v_cndmask_b32_e32 v26, v26, v12, vcc
	v_cndmask_b32_e32 v0, v0, v11, vcc
	v_cmp_lt_f32_e32 vcc, v26, v13
	;; [unrolled: 4-line block ×19, first 2 shown]
	v_or_b32_e32 v29, 20, v9
	v_cndmask_b32_e32 v1, v2, v1, vcc
	v_cndmask_b32_e32 v0, v0, v29, vcc
	s_waitcnt vmcnt(10)
	v_cmp_lt_f32_e32 vcc, v1, v31
	v_or_b32_e32 v30, 21, v9
	v_cndmask_b32_e32 v1, v1, v31, vcc
	v_cndmask_b32_e32 v0, v0, v30, vcc
	s_waitcnt vmcnt(9)
	v_cmp_lt_f32_e32 vcc, v1, v32
	;; [unrolled: 5-line block ×10, first 2 shown]
	v_or_b32_e32 v39, 30, v9
	v_cndmask_b32_e32 v1, v1, v40, vcc
	v_cndmask_b32_e32 v0, v0, v39, vcc
	v_or_b32_e32 v40, 31, v9
	s_waitcnt vmcnt(0)
	v_cmp_lt_f32_e32 vcc, v1, v43
	v_cndmask_b32_e32 v0, v0, v40, vcc
	v_cndmask_b32_e32 v1, v1, v43, vcc
	s_nop 0
	v_mov_b32_dpp v2, v0 quad_perm:[1,0,3,2] row_mask:0xf bank_mask:0xf
	v_mov_b32_dpp v3, v1 quad_perm:[1,0,3,2] row_mask:0xf bank_mask:0xf
	v_cmp_eq_f32_e64 s[6:7], v1, v3
	v_cmp_lt_i32_e64 s[8:9], v2, v0
	v_cmp_lt_f32_e32 vcc, v1, v3
	s_and_b64 s[6:7], s[6:7], s[8:9]
	s_or_b64 vcc, vcc, s[6:7]
	v_cndmask_b32_e32 v1, v1, v3, vcc
	v_cndmask_b32_e32 v0, v0, v2, vcc
	s_nop 0
	v_mov_b32_dpp v3, v1 quad_perm:[2,3,0,1] row_mask:0xf bank_mask:0xf
	v_mov_b32_dpp v2, v0 quad_perm:[2,3,0,1] row_mask:0xf bank_mask:0xf
	v_cmp_eq_f32_e64 s[6:7], v1, v3
	v_cmp_lt_i32_e64 s[8:9], v2, v0
	v_cmp_lt_f32_e32 vcc, v1, v3
	s_and_b64 s[6:7], s[6:7], s[8:9]
	s_or_b64 vcc, vcc, s[6:7]
	v_cndmask_b32_e32 v1, v1, v3, vcc
	v_cndmask_b32_e32 v2, v0, v2, vcc
	s_nop 0
	v_mov_b32_dpp v0, v1 row_half_mirror row_mask:0xf bank_mask:0xf
	v_mov_b32_dpp v3, v2 row_half_mirror row_mask:0xf bank_mask:0xf
	v_cmp_eq_f32_e64 s[6:7], v1, v0
	v_cmp_lt_i32_e64 s[8:9], v3, v2
	v_cmp_lt_f32_e32 vcc, v1, v0
	s_and_b64 s[6:7], s[6:7], s[8:9]
	s_or_b64 vcc, vcc, s[6:7]
	v_cndmask_b32_e32 v0, v1, v0, vcc
	v_cndmask_b32_e32 v1, v2, v3, vcc
	s_cmp_gt_i32 s12, 0
	v_mov_b32_dpp v3, v0 row_mirror row_mask:0xf bank_mask:0xf
	v_mov_b32_dpp v2, v1 row_mirror row_mask:0xf bank_mask:0xf
	s_cselect_b64 s[24:25], -1, 0
	s_cmp_lt_i32 s12, 1
	v_cmp_eq_u32_e32 vcc, 0, v7
	s_cbranch_scc1 .LBB204_18
; %bb.7:
	s_load_dwordx4 s[16:19], s[4:5], 0x20
	v_cmp_eq_f32_e64 s[8:9], v0, v3
	v_cmp_lt_i32_e64 s[10:11], v2, v1
	v_cmp_lt_f32_e64 s[6:7], v0, v3
	s_and_b64 s[8:9], s[8:9], s[10:11]
	s_or_b64 s[6:7], s[6:7], s[8:9]
	v_cndmask_b32_e64 v44, v1, v2, s[6:7]
	v_cndmask_b32_e64 v43, v0, v3, s[6:7]
	v_mul_lo_u32 v4, v6, s15
	v_mul_lo_u32 v2, v6, s26
	;; [unrolled: 1-line block ×3, first 2 shown]
	v_mov_b32_e32 v8, 0
	s_and_saveexec_b64 s[8:9], vcc
	s_cbranch_execz .LBB204_9
; %bb.8:
	v_sub_f32_e32 v1, v43, v43
	v_mul_f32_e32 v3, 0x3fb8aa3b, v1
	s_mov_b32 s4, 0x3fb8aa3b
	v_rndne_f32_e32 v5, v3
	v_sub_f32_e32 v8, v3, v5
	v_fma_f32 v3, v1, s4, -v3
	v_fmac_f32_e32 v3, 0x32a5705f, v1
	v_add_f32_e32 v3, v8, v3
	v_exp_f32_e32 v3, v3
	v_cvt_i32_f32_e32 v5, v5
	v_cmp_le_i32_e64 s[4:5], s13, v44
	v_cmp_gt_i32_e64 s[6:7], s14, v44
	s_and_b64 s[6:7], s[4:5], s[6:7]
	s_mov_b32 s4, 0xc2ce8ed0
	v_ldexp_f32 v3, v3, v5
	v_cmp_ngt_f32_e64 s[4:5], s4, v1
	v_cndmask_b32_e64 v3, 0, v3, s[4:5]
	s_mov_b32 s4, 0x42b17218
	v_mov_b32_e32 v5, 0x7f800000
	v_cmp_nlt_f32_e64 s[4:5], s4, v1
	v_cndmask_b32_e64 v8, v5, v3, s[4:5]
	v_ashrrev_i32_e32 v5, 31, v4
	v_lshlrev_b64 v[46:47], 2, v[4:5]
	v_mov_b32_e32 v1, s21
	v_add_co_u32_e64 v46, s[4:5], s20, v46
	v_addc_co_u32_e64 v47, s[4:5], v1, v47, s[4:5]
	v_subrev_u32_e32 v1, s13, v44
	v_mov_b32_e32 v3, 0x200
	s_and_b64 s[4:5], s[22:23], s[6:7]
	v_cndmask_b32_e64 v1, v3, v1, s[4:5]
	v_ashrrev_i32_e32 v3, 31, v2
	global_store_dword v[46:47], v8, off
	v_lshlrev_b64 v[46:47], 2, v[2:3]
	s_waitcnt lgkmcnt(0)
	v_mov_b32_e32 v3, s17
	v_add_co_u32_e64 v46, s[4:5], s16, v46
	v_addc_co_u32_e64 v47, s[4:5], v3, v47, s[4:5]
	global_store_dword v[46:47], v1, off
	v_ashrrev_i32_e32 v1, 31, v0
	v_lshlrev_b64 v[46:47], 2, v[0:1]
	v_mov_b32_e32 v1, s19
	v_add_co_u32_e64 v46, s[4:5], s18, v46
	v_addc_co_u32_e64 v47, s[4:5], v1, v47, s[4:5]
	global_store_dword v[46:47], v6, off
.LBB204_9:
	s_or_b64 exec, exec, s[8:9]
	v_ashrrev_i32_e32 v3, 31, v44
	v_lshrrev_b32_e32 v1, 27, v3
	v_add_u32_e32 v1, v44, v1
	v_ashrrev_i32_e32 v1, 5, v1
	v_lshrrev_b32_e32 v5, 28, v1
	v_add_u32_e32 v5, v1, v5
	v_and_b32_e32 v5, -16, v5
	v_sub_u32_e32 v5, v1, v5
	v_cmp_eq_u32_e64 s[4:5], v7, v5
	s_and_saveexec_b64 s[6:7], s[4:5]
	s_cbranch_execz .LBB204_11
; %bb.10:
	v_lshrrev_b32_e32 v3, 23, v3
	v_add_u32_e32 v3, v44, v3
	v_lshlrev_b32_e32 v1, 5, v1
	v_ashrrev_i32_e32 v3, 9, v3
	v_sub_u32_e32 v1, v44, v1
	v_lshl_add_u32 v1, v3, 5, v1
	v_mov_b32_e32 v3, 0
	v_lshl_add_u32 v1, v1, 2, v3
	v_mov_b32_e32 v3, 0xff800000
	buffer_store_dword v3, v1, s[0:3], 0 offen
.LBB204_11:
	s_or_b64 exec, exec, s[6:7]
	s_cmp_eq_u32 s12, 1
	s_cbranch_scc1 .LBB204_18
; %bb.12:
	s_add_i32 s29, s29, s28
	s_add_i32 s10, s12, -1
	v_add3_u32 v41, s29, v42, v41
	v_add_u32_e32 v0, 1, v0
	v_add_u32_e32 v2, 1, v2
	;; [unrolled: 1-line block ×3, first 2 shown]
	s_mov_b32 s11, 0x3fb8aa3b
	s_mov_b32 s26, 0xc2ce8ed0
	;; [unrolled: 1-line block ×3, first 2 shown]
	v_mov_b32_e32 v42, 0
	v_mov_b32_e32 v44, 0xff800000
	;; [unrolled: 1-line block ×4, first 2 shown]
	s_branch .LBB204_14
.LBB204_13:                             ;   in Loop: Header=BB204_14 Depth=1
	s_or_b64 exec, exec, s[6:7]
	s_add_i32 s10, s10, -1
	v_add_u32_e32 v41, s28, v41
	v_add_u32_e32 v0, 1, v0
	;; [unrolled: 1-line block ×3, first 2 shown]
	s_cmp_eq_u32 s10, 0
	v_add_u32_e32 v4, 1, v4
	s_cbranch_scc1 .LBB204_18
.LBB204_14:                             ; =>This Inner Loop Header: Depth=1
	buffer_load_dword v1, off, s[0:3], 0
	buffer_load_dword v3, off, s[0:3], 0 offset:4
	buffer_load_dword v5, off, s[0:3], 0 offset:8
	;; [unrolled: 1-line block ×15, first 2 shown]
	s_waitcnt vmcnt(14)
	v_cmp_gt_f32_e64 s[4:5], v3, v1
	v_cndmask_b32_e64 v1, v1, v3, s[4:5]
	v_cndmask_b32_e64 v60, v9, v10, s[4:5]
	s_waitcnt vmcnt(13)
	v_cmp_gt_f32_e64 s[4:5], v5, v1
	v_cndmask_b32_e64 v1, v1, v5, s[4:5]
	buffer_load_dword v5, off, s[0:3], 0 offset:64
	v_cndmask_b32_e64 v3, v60, v11, s[4:5]
	s_waitcnt vmcnt(13)
	v_cmp_gt_f32_e64 s[4:5], v47, v1
	v_cndmask_b32_e64 v1, v1, v47, s[4:5]
	v_cndmask_b32_e64 v3, v3, v12, s[4:5]
	s_waitcnt vmcnt(12)
	v_cmp_gt_f32_e64 s[4:5], v48, v1
	v_cndmask_b32_e64 v1, v1, v48, s[4:5]
	;; [unrolled: 4-line block ×14, first 2 shown]
	buffer_load_dword v5, off, s[0:3], 0 offset:68
	v_cndmask_b32_e64 v3, v3, v25, s[4:5]
	s_waitcnt vmcnt(0)
	v_cmp_gt_f32_e64 s[4:5], v5, v1
	v_cndmask_b32_e64 v1, v1, v5, s[4:5]
	buffer_load_dword v5, off, s[0:3], 0 offset:72
	v_cndmask_b32_e64 v3, v3, v26, s[4:5]
	s_waitcnt vmcnt(0)
	v_cmp_gt_f32_e64 s[4:5], v5, v1
	v_cndmask_b32_e64 v1, v1, v5, s[4:5]
	;; [unrolled: 5-line block ×15, first 2 shown]
	v_cndmask_b32_e64 v1, v1, v5, s[4:5]
	s_nop 0
	v_mov_b32_dpp v5, v3 quad_perm:[1,0,3,2] row_mask:0xf bank_mask:0xf
	v_mov_b32_dpp v47, v1 quad_perm:[1,0,3,2] row_mask:0xf bank_mask:0xf
	v_cmp_eq_f32_e64 s[6:7], v1, v47
	v_cmp_lt_i32_e64 s[8:9], v5, v3
	v_cmp_lt_f32_e64 s[4:5], v1, v47
	s_and_b64 s[6:7], s[6:7], s[8:9]
	s_or_b64 s[4:5], s[4:5], s[6:7]
	v_cndmask_b32_e64 v1, v1, v47, s[4:5]
	v_cndmask_b32_e64 v3, v3, v5, s[4:5]
	s_nop 0
	v_mov_b32_dpp v47, v1 quad_perm:[2,3,0,1] row_mask:0xf bank_mask:0xf
	v_mov_b32_dpp v5, v3 quad_perm:[2,3,0,1] row_mask:0xf bank_mask:0xf
	v_cmp_eq_f32_e64 s[6:7], v1, v47
	v_cmp_lt_i32_e64 s[8:9], v5, v3
	v_cmp_lt_f32_e64 s[4:5], v1, v47
	s_and_b64 s[6:7], s[6:7], s[8:9]
	s_or_b64 s[4:5], s[4:5], s[6:7]
	v_cndmask_b32_e64 v1, v1, v47, s[4:5]
	v_cndmask_b32_e64 v3, v3, v5, s[4:5]
	s_nop 0
	v_mov_b32_dpp v47, v1 row_half_mirror row_mask:0xf bank_mask:0xf
	v_mov_b32_dpp v5, v3 row_half_mirror row_mask:0xf bank_mask:0xf
	v_cmp_eq_f32_e64 s[6:7], v1, v47
	v_cmp_lt_i32_e64 s[8:9], v5, v3
	v_cmp_lt_f32_e64 s[4:5], v1, v47
	s_and_b64 s[6:7], s[6:7], s[8:9]
	s_or_b64 s[4:5], s[4:5], s[6:7]
	v_cndmask_b32_e64 v1, v1, v47, s[4:5]
	v_cndmask_b32_e64 v5, v3, v5, s[4:5]
	s_nop 0
	v_mov_b32_dpp v3, v1 row_mirror row_mask:0xf bank_mask:0xf
	v_mov_b32_dpp v47, v5 row_mirror row_mask:0xf bank_mask:0xf
	v_cmp_eq_f32_e64 s[6:7], v1, v3
	v_cmp_lt_i32_e64 s[8:9], v47, v5
	v_cmp_lt_f32_e64 s[4:5], v1, v3
	s_and_b64 s[6:7], s[6:7], s[8:9]
	s_or_b64 s[4:5], s[4:5], s[6:7]
	v_cndmask_b32_e64 v47, v5, v47, s[4:5]
	s_and_saveexec_b64 s[8:9], vcc
	s_cbranch_execz .LBB204_16
; %bb.15:                               ;   in Loop: Header=BB204_14 Depth=1
	v_cndmask_b32_e64 v1, v1, v3, s[4:5]
	v_sub_f32_e32 v1, v1, v43
	v_mul_f32_e32 v3, 0x3fb8aa3b, v1
	v_fma_f32 v5, v1, s11, -v3
	v_rndne_f32_e32 v48, v3
	v_fmac_f32_e32 v5, 0x32a5705f, v1
	v_sub_f32_e32 v3, v3, v48
	v_add_f32_e32 v3, v3, v5
	v_exp_f32_e32 v3, v3
	v_cvt_i32_f32_e32 v5, v48
	v_cmp_le_i32_e64 s[4:5], s13, v47
	v_cmp_gt_i32_e64 s[6:7], s14, v47
	s_and_b64 s[6:7], s[4:5], s[6:7]
	v_ldexp_f32 v3, v3, v5
	v_cmp_ngt_f32_e64 s[4:5], s26, v1
	v_ashrrev_i32_e32 v5, 31, v4
	v_cndmask_b32_e64 v3, 0, v3, s[4:5]
	v_cmp_nlt_f32_e64 s[4:5], s27, v1
	v_lshlrev_b64 v[48:49], 2, v[4:5]
	v_cndmask_b32_e64 v50, v45, v3, s[4:5]
	v_mov_b32_e32 v1, s21
	v_add_co_u32_e64 v48, s[4:5], s20, v48
	v_addc_co_u32_e64 v49, s[4:5], v1, v49, s[4:5]
	v_ashrrev_i32_e32 v3, 31, v2
	global_store_dword v[48:49], v50, off
	v_subrev_u32_e32 v1, s13, v47
	s_and_b64 s[4:5], s[22:23], s[6:7]
	v_lshlrev_b64 v[48:49], 2, v[2:3]
	v_cndmask_b32_e64 v1, v46, v1, s[4:5]
	s_waitcnt lgkmcnt(0)
	v_mov_b32_e32 v3, s17
	v_add_co_u32_e64 v48, s[4:5], s16, v48
	v_addc_co_u32_e64 v49, s[4:5], v3, v49, s[4:5]
	global_store_dword v[48:49], v1, off
	v_ashrrev_i32_e32 v1, 31, v0
	v_lshlrev_b64 v[48:49], 2, v[0:1]
	v_mov_b32_e32 v1, s19
	v_add_co_u32_e64 v48, s[4:5], s18, v48
	v_addc_co_u32_e64 v49, s[4:5], v1, v49, s[4:5]
	v_add_f32_e32 v8, v8, v50
	global_store_dword v[48:49], v41, off
.LBB204_16:                             ;   in Loop: Header=BB204_14 Depth=1
	s_or_b64 exec, exec, s[8:9]
	v_ashrrev_i32_e32 v3, 31, v47
	v_lshrrev_b32_e32 v1, 27, v3
	v_add_u32_e32 v1, v47, v1
	v_ashrrev_i32_e32 v1, 5, v1
	v_lshrrev_b32_e32 v5, 28, v1
	v_add_u32_e32 v5, v1, v5
	v_and_b32_e32 v5, -16, v5
	v_sub_u32_e32 v5, v1, v5
	v_cmp_eq_u32_e64 s[4:5], v7, v5
	s_and_saveexec_b64 s[6:7], s[4:5]
	s_cbranch_execz .LBB204_13
; %bb.17:                               ;   in Loop: Header=BB204_14 Depth=1
	v_lshrrev_b32_e32 v3, 23, v3
	v_add_u32_e32 v3, v47, v3
	v_lshlrev_b32_e32 v1, 5, v1
	v_ashrrev_i32_e32 v3, 9, v3
	v_sub_u32_e32 v1, v47, v1
	v_lshl_add_u32 v1, v3, 5, v1
	v_lshl_add_u32 v1, v1, 2, v42
	buffer_store_dword v44, v1, s[0:3], 0 offen
	s_branch .LBB204_13
.LBB204_18:
	v_cmp_eq_u32_e32 vcc, 0, v7
	v_cmp_neq_f32_e64 s[4:5], 0, v8
	s_and_b64 s[4:5], vcc, s[4:5]
	s_and_b64 exec, exec, s[4:5]
	s_cbranch_execz .LBB204_29
; %bb.19:
	s_andn2_b64 vcc, exec, s[24:25]
	s_cbranch_vccnz .LBB204_29
; %bb.20:
	v_div_scale_f32 v0, s[4:5], v8, v8, 1.0
	v_rcp_f32_e32 v1, v0
	v_div_scale_f32 v2, vcc, 1.0, v8, 1.0
	s_cmp_gt_u32 s12, 3
	v_fma_f32 v3, -v0, v1, 1.0
	v_fmac_f32_e32 v1, v3, v1
	v_mul_f32_e32 v3, v2, v1
	v_fma_f32 v4, -v0, v3, v2
	v_fmac_f32_e32 v3, v4, v1
	v_fma_f32 v0, -v0, v3, v2
	v_div_fmas_f32 v0, v0, v1, v3
	v_mul_lo_u32 v2, v6, s15
	v_div_fixup_f32 v0, v0, v8, 1.0
	v_ashrrev_i32_e32 v3, 31, v2
	s_cbranch_scc0 .LBB204_24
; %bb.21:
	v_lshlrev_b64 v[4:5], 2, v[2:3]
	v_mov_b32_e32 v6, s21
	v_add_co_u32_e32 v4, vcc, s20, v4
	v_addc_co_u32_e32 v5, vcc, v5, v6, vcc
	s_and_b32 s8, s12, 0x7ffffffc
	v_add_co_u32_e32 v4, vcc, 8, v4
	v_mov_b32_e32 v1, v0
	v_addc_co_u32_e32 v5, vcc, 0, v5, vcc
	s_mov_b32 s4, s8
.LBB204_22:                             ; =>This Inner Loop Header: Depth=1
	global_load_dwordx4 v[6:9], v[4:5], off offset:-8
	s_add_i32 s4, s4, -4
	s_cmp_lg_u32 s4, 0
	s_waitcnt vmcnt(0)
	v_pk_mul_f32 v[6:7], v[0:1], v[6:7]
	v_pk_mul_f32 v[8:9], v[0:1], v[8:9]
	global_store_dwordx4 v[4:5], v[6:9], off offset:-8
	v_add_co_u32_e32 v4, vcc, 16, v4
	v_addc_co_u32_e32 v5, vcc, 0, v5, vcc
	s_cbranch_scc1 .LBB204_22
; %bb.23:
	s_cmp_lg_u32 s8, s12
	s_cselect_b64 s[4:5], -1, 0
	s_branch .LBB204_26
.LBB204_24:
	s_mov_b64 s[4:5], 0
                                        ; implicit-def: $sgpr8
	s_cbranch_execz .LBB204_26
; %bb.25:
	s_mov_b64 s[4:5], -1
	s_mov_b32 s8, 0
.LBB204_26:
	s_andn2_b64 vcc, exec, s[4:5]
	s_cbranch_vccnz .LBB204_29
; %bb.27:
	v_add_co_u32_e32 v2, vcc, s8, v2
	v_addc_co_u32_e32 v3, vcc, 0, v3, vcc
	v_lshlrev_b64 v[2:3], 2, v[2:3]
	v_mov_b32_e32 v1, s21
	v_add_co_u32_e32 v2, vcc, s20, v2
	s_sub_i32 s4, s12, s8
	v_addc_co_u32_e32 v3, vcc, v1, v3, vcc
.LBB204_28:                             ; =>This Inner Loop Header: Depth=1
	global_load_dword v1, v[2:3], off
	s_add_i32 s4, s4, -1
	s_cmp_lg_u32 s4, 0
	s_waitcnt vmcnt(0)
	v_mul_f32_e32 v1, v0, v1
	global_store_dword v[2:3], v1, off
	v_add_co_u32_e32 v2, vcc, 4, v2
	v_addc_co_u32_e32 v3, vcc, 0, v3, vcc
	s_cbranch_scc1 .LBB204_28
.LBB204_29:
	s_endpgm
	.section	.rodata,"a",@progbits
	.p2align	6, 0x0
	.amdhsa_kernel _ZN4vllm3moe17topkGatingSoftmaxIDF16_Li32ELi512ELi2ELi64ELb1ELi8ELNS0_23SharedExpertScoringFuncE1EEEvPKT_PKbPfiPiS9_iiiiii
		.amdhsa_group_segment_fixed_size 0
		.amdhsa_private_segment_fixed_size 144
		.amdhsa_kernarg_size 72
		.amdhsa_user_sgpr_count 8
		.amdhsa_user_sgpr_private_segment_buffer 1
		.amdhsa_user_sgpr_dispatch_ptr 0
		.amdhsa_user_sgpr_queue_ptr 0
		.amdhsa_user_sgpr_kernarg_segment_ptr 1
		.amdhsa_user_sgpr_dispatch_id 0
		.amdhsa_user_sgpr_flat_scratch_init 1
		.amdhsa_user_sgpr_kernarg_preload_length 0
		.amdhsa_user_sgpr_kernarg_preload_offset 0
		.amdhsa_user_sgpr_private_segment_size 0
		.amdhsa_uses_dynamic_stack 0
		.amdhsa_system_sgpr_private_segment_wavefront_offset 1
		.amdhsa_system_sgpr_workgroup_id_x 1
		.amdhsa_system_sgpr_workgroup_id_y 0
		.amdhsa_system_sgpr_workgroup_id_z 0
		.amdhsa_system_sgpr_workgroup_info 0
		.amdhsa_system_vgpr_workitem_id 1
		.amdhsa_next_free_vgpr 61
		.amdhsa_next_free_sgpr 30
		.amdhsa_accum_offset 64
		.amdhsa_reserve_vcc 1
		.amdhsa_reserve_flat_scratch 0
		.amdhsa_float_round_mode_32 0
		.amdhsa_float_round_mode_16_64 0
		.amdhsa_float_denorm_mode_32 3
		.amdhsa_float_denorm_mode_16_64 3
		.amdhsa_dx10_clamp 1
		.amdhsa_ieee_mode 1
		.amdhsa_fp16_overflow 0
		.amdhsa_tg_split 0
		.amdhsa_exception_fp_ieee_invalid_op 0
		.amdhsa_exception_fp_denorm_src 0
		.amdhsa_exception_fp_ieee_div_zero 0
		.amdhsa_exception_fp_ieee_overflow 0
		.amdhsa_exception_fp_ieee_underflow 0
		.amdhsa_exception_fp_ieee_inexact 0
		.amdhsa_exception_int_div_zero 0
	.end_amdhsa_kernel
	.section	.text._ZN4vllm3moe17topkGatingSoftmaxIDF16_Li32ELi512ELi2ELi64ELb1ELi8ELNS0_23SharedExpertScoringFuncE1EEEvPKT_PKbPfiPiS9_iiiiii,"axG",@progbits,_ZN4vllm3moe17topkGatingSoftmaxIDF16_Li32ELi512ELi2ELi64ELb1ELi8ELNS0_23SharedExpertScoringFuncE1EEEvPKT_PKbPfiPiS9_iiiiii,comdat
.Lfunc_end204:
	.size	_ZN4vllm3moe17topkGatingSoftmaxIDF16_Li32ELi512ELi2ELi64ELb1ELi8ELNS0_23SharedExpertScoringFuncE1EEEvPKT_PKbPfiPiS9_iiiiii, .Lfunc_end204-_ZN4vllm3moe17topkGatingSoftmaxIDF16_Li32ELi512ELi2ELi64ELb1ELi8ELNS0_23SharedExpertScoringFuncE1EEEvPKT_PKbPfiPiS9_iiiiii
                                        ; -- End function
	.section	.AMDGPU.csdata,"",@progbits
; Kernel info:
; codeLenInByte = 4548
; NumSgprs: 34
; NumVgprs: 61
; NumAgprs: 0
; TotalNumVgprs: 61
; ScratchSize: 144
; MemoryBound: 0
; FloatMode: 240
; IeeeMode: 1
; LDSByteSize: 0 bytes/workgroup (compile time only)
; SGPRBlocks: 4
; VGPRBlocks: 7
; NumSGPRsForWavesPerEU: 34
; NumVGPRsForWavesPerEU: 61
; AccumOffset: 64
; Occupancy: 8
; WaveLimiterHint : 0
; COMPUTE_PGM_RSRC2:SCRATCH_EN: 1
; COMPUTE_PGM_RSRC2:USER_SGPR: 8
; COMPUTE_PGM_RSRC2:TRAP_HANDLER: 0
; COMPUTE_PGM_RSRC2:TGID_X_EN: 1
; COMPUTE_PGM_RSRC2:TGID_Y_EN: 0
; COMPUTE_PGM_RSRC2:TGID_Z_EN: 0
; COMPUTE_PGM_RSRC2:TIDIG_COMP_CNT: 1
; COMPUTE_PGM_RSRC3_GFX90A:ACCUM_OFFSET: 15
; COMPUTE_PGM_RSRC3_GFX90A:TG_SPLIT: 0
	.section	.text._ZN4vllm3moe17topkGatingSoftmaxIDF16_Li32ELi512ELi2ELi64ELb0ELi8ELNS0_23SharedExpertScoringFuncE1EEEvPKT_PKbPfiPiS9_iiiiii,"axG",@progbits,_ZN4vllm3moe17topkGatingSoftmaxIDF16_Li32ELi512ELi2ELi64ELb0ELi8ELNS0_23SharedExpertScoringFuncE1EEEvPKT_PKbPfiPiS9_iiiiii,comdat
	.protected	_ZN4vllm3moe17topkGatingSoftmaxIDF16_Li32ELi512ELi2ELi64ELb0ELi8ELNS0_23SharedExpertScoringFuncE1EEEvPKT_PKbPfiPiS9_iiiiii ; -- Begin function _ZN4vllm3moe17topkGatingSoftmaxIDF16_Li32ELi512ELi2ELi64ELb0ELi8ELNS0_23SharedExpertScoringFuncE1EEEvPKT_PKbPfiPiS9_iiiiii
	.globl	_ZN4vllm3moe17topkGatingSoftmaxIDF16_Li32ELi512ELi2ELi64ELb0ELi8ELNS0_23SharedExpertScoringFuncE1EEEvPKT_PKbPfiPiS9_iiiiii
	.p2align	8
	.type	_ZN4vllm3moe17topkGatingSoftmaxIDF16_Li32ELi512ELi2ELi64ELb0ELi8ELNS0_23SharedExpertScoringFuncE1EEEvPKT_PKbPfiPiS9_iiiiii,@function
_ZN4vllm3moe17topkGatingSoftmaxIDF16_Li32ELi512ELi2ELi64ELb0ELi8ELNS0_23SharedExpertScoringFuncE1EEEvPKT_PKbPfiPiS9_iiiiii: ; @_ZN4vllm3moe17topkGatingSoftmaxIDF16_Li32ELi512ELi2ELi64ELb0ELi8ELNS0_23SharedExpertScoringFuncE1EEEvPKT_PKbPfiPiS9_iiiiii
; %bb.0:
	s_load_dword s26, s[4:5], 0x18
	s_add_u32 s0, s0, s9
	v_bfe_u32 v1, v0, 10, 10
	v_and_b32_e32 v0, 0x3ff, v0
	s_addc_u32 s1, s1, 0
	s_lshl_b32 s27, s8, 3
	v_lshlrev_b32_e32 v42, 2, v1
	v_lshrrev_b32_e32 v43, 4, v0
	v_add3_u32 v6, s27, v42, v43
	s_waitcnt lgkmcnt(0)
	v_cmp_gt_i32_e32 vcc, s26, v6
	s_and_saveexec_b64 s[6:7], vcc
	s_cbranch_execz .LBB205_32
; %bb.1:
	s_load_dwordx4 s[8:11], s[4:5], 0x0
	s_load_dwordx2 s[20:21], s[4:5], 0x10
	s_waitcnt lgkmcnt(0)
	s_cmp_eq_u64 s[10:11], 0
	s_cbranch_scc1 .LBB205_3
; %bb.2:
	v_ashrrev_i32_e32 v1, 31, v6
	v_mov_b32_e32 v3, s11
	v_add_co_u32_e32 v2, vcc, s10, v6
	v_addc_co_u32_e32 v3, vcc, v3, v1, vcc
	global_load_ubyte v1, v[2:3], off
	s_waitcnt vmcnt(0)
	v_and_b32_e32 v1, 1, v1
	v_cmp_eq_u32_e32 vcc, 1, v1
	s_xor_b64 s[6:7], vcc, -1
	s_orn2_b64 s[22:23], s[6:7], exec
	s_branch .LBB205_4
.LBB205_3:
	s_mov_b64 s[22:23], -1
.LBB205_4:
	s_load_dwordx2 s[24:25], s[4:5], 0x40
	s_load_dwordx4 s[12:15], s[4:5], 0x30
	v_mov_b32_e32 v1, s9
	v_and_b32_e32 v7, 15, v0
	v_lshlrev_b32_e32 v0, 6, v7
	s_waitcnt lgkmcnt(0)
	v_mul_lo_u32 v2, v6, s25
	v_ashrrev_i32_e32 v3, 31, v2
	v_lshlrev_b64 v[2:3], 1, v[2:3]
	v_add_co_u32_e32 v11, vcc, s8, v2
	v_addc_co_u32_e32 v27, vcc, v1, v3, vcc
	v_add_co_u32_e32 v4, vcc, v11, v0
	v_addc_co_u32_e32 v5, vcc, 0, v27, vcc
	global_load_dwordx4 v[0:3], v[4:5], off
	global_load_dwordx4 v[28:31], v[4:5], off offset:16
	global_load_dwordx4 v[32:35], v[4:5], off offset:32
	;; [unrolled: 1-line block ×3, first 2 shown]
	v_mov_b32_e32 v8, 0
	v_lshlrev_b32_e32 v10, 5, v7
	v_cmp_gt_u32_e32 vcc, 8, v7
	s_waitcnt vmcnt(3)
	v_cvt_f32_f16_e32 v12, v0
	v_cvt_f32_f16_sdwa v15, v0 dst_sel:DWORD dst_unused:UNUSED_PAD src0_sel:WORD_1
	v_cvt_f32_f16_e32 v13, v1
	v_cvt_f32_f16_sdwa v14, v1 dst_sel:DWORD dst_unused:UNUSED_PAD src0_sel:WORD_1
	;; [unrolled: 2-line block ×4, first 2 shown]
	s_waitcnt vmcnt(2)
	v_cvt_f32_f16_e32 v19, v28
	v_cvt_f32_f16_sdwa v20, v28 dst_sel:DWORD dst_unused:UNUSED_PAD src0_sel:WORD_1
	v_cvt_f32_f16_e32 v21, v29
	v_cvt_f32_f16_sdwa v22, v29 dst_sel:DWORD dst_unused:UNUSED_PAD src0_sel:WORD_1
	;; [unrolled: 2-line block ×4, first 2 shown]
	s_waitcnt vmcnt(1)
	v_cvt_f32_f16_e32 v9, v32
	v_cvt_f32_f16_sdwa v5, v32 dst_sel:DWORD dst_unused:UNUSED_PAD src0_sel:WORD_1
	v_cvt_f32_f16_e32 v4, v33
	v_cvt_f32_f16_sdwa v3, v33 dst_sel:DWORD dst_unused:UNUSED_PAD src0_sel:WORD_1
	;; [unrolled: 2-line block ×3, first 2 shown]
	v_cvt_f32_f16_e32 v30, v35
	s_waitcnt vmcnt(0)
	v_cvt_f32_f16_e32 v35, v39
	v_cvt_f32_f16_sdwa v31, v36 dst_sel:DWORD dst_unused:UNUSED_PAD src0_sel:WORD_1
	v_cvt_f32_f16_e32 v32, v36
	v_cvt_f32_f16_e32 v36, v38
	v_cvt_f32_f16_sdwa v28, v34 dst_sel:DWORD dst_unused:UNUSED_PAD src0_sel:WORD_1
	v_cvt_f32_f16_e32 v34, v37
	v_cvt_f32_f16_sdwa v33, v37 dst_sel:DWORD dst_unused:UNUSED_PAD src0_sel:WORD_1
	v_cvt_f32_f16_sdwa v37, v38 dst_sel:DWORD dst_unused:UNUSED_PAD src0_sel:WORD_1
	;; [unrolled: 1-line block ×3, first 2 shown]
	buffer_store_dword v35, off, s[0:3], 0 offset:120
	buffer_store_dword v36, off, s[0:3], 0 offset:112
	;; [unrolled: 1-line block ×15, first 2 shown]
	buffer_store_dword v12, off, s[0:3], 0
	buffer_store_dword v38, off, s[0:3], 0 offset:124
	buffer_store_dword v37, off, s[0:3], 0 offset:116
	;; [unrolled: 1-line block ×16, first 2 shown]
	s_and_saveexec_b64 s[6:7], vcc
	s_cbranch_execz .LBB205_6
; %bb.5:
	v_lshlrev_b32_e32 v28, 1, v7
	v_add_co_u32_e32 v28, vcc, v11, v28
	v_addc_co_u32_e32 v29, vcc, 0, v27, vcc
	global_load_ushort v11, v[28:29], off offset:1024
	s_mov_b32 s8, 0x3fb8aa3b
	s_mov_b32 s9, 0x32a5705f
	;; [unrolled: 1-line block ×4, first 2 shown]
	v_mov_b32_e32 v31, 0x7f800000
	v_mul_lo_u32 v27, v6, s15
	v_mov_b32_e32 v33, s21
	s_waitcnt vmcnt(0)
	v_cvt_f32_f16_e64 v30, -v11
	v_mul_f32_e32 v28, 0x3fb8aa3b, v30
	v_fma_mix_f32 v29, -v11, s8, -v28 op_sel_hi:[1,0,0]
	v_rndne_f32_e32 v32, v28
	v_fma_mix_f32 v11, -v11, s9, v29 op_sel_hi:[1,0,0]
	v_sub_f32_e32 v28, v28, v32
	v_add_f32_e32 v11, v28, v11
	v_cvt_i32_f32_e32 v32, v32
	v_exp_f32_e32 v11, v11
	v_cmp_ngt_f32_e32 vcc, s10, v30
	v_add3_u32 v28, v27, s12, v7
	v_ashrrev_i32_e32 v29, 31, v28
	v_ldexp_f32 v11, v11, v32
	v_cndmask_b32_e32 v11, 0, v11, vcc
	v_cmp_nlt_f32_e32 vcc, s11, v30
	v_cndmask_b32_e32 v11, v31, v11, vcc
	v_add_f32_e32 v11, 1.0, v11
	v_div_scale_f32 v27, s[8:9], v11, v11, 1.0
	v_rcp_f32_e32 v30, v27
	v_div_scale_f32 v31, vcc, 1.0, v11, 1.0
	v_lshlrev_b64 v[28:29], 2, v[28:29]
	v_fma_f32 v32, -v27, v30, 1.0
	v_fmac_f32_e32 v30, v32, v30
	v_mul_f32_e32 v32, v31, v30
	v_fma_f32 v34, -v27, v32, v31
	v_fmac_f32_e32 v32, v34, v30
	v_fma_f32 v27, -v27, v32, v31
	v_div_fmas_f32 v27, v27, v30, v32
	v_add_co_u32_e32 v28, vcc, s20, v28
	v_div_fixup_f32 v11, v27, v11, 1.0
	v_addc_co_u32_e32 v29, vcc, v33, v29, vcc
	global_store_dword v[28:29], v11, off
.LBB205_6:
	s_or_b64 exec, exec, s[6:7]
	v_cmp_lt_f16_sdwa vcc, v0, v0 src0_sel:DWORD src1_sel:WORD_1
	v_or_b32_e32 v11, 1, v10
	v_cndmask_b32_e32 v15, v12, v15, vcc
	v_cndmask_b32_e32 v0, v10, v11, vcc
	v_cmp_lt_f32_e32 vcc, v15, v13
	v_or_b32_e32 v12, 2, v10
	v_cndmask_b32_e32 v15, v15, v13, vcc
	buffer_load_dword v32, off, s[0:3], 0 offset:84
	buffer_load_dword v33, off, s[0:3], 0 offset:88
	v_cndmask_b32_e32 v0, v0, v12, vcc
	v_cmp_lt_f32_e32 vcc, v15, v14
	v_or_b32_e32 v13, 3, v10
	v_cndmask_b32_e32 v15, v15, v14, vcc
	v_cndmask_b32_e32 v0, v0, v13, vcc
	v_cmp_lt_f32_e32 vcc, v15, v1
	v_or_b32_e32 v14, 4, v10
	v_cndmask_b32_e32 v27, v15, v1, vcc
	buffer_load_dword v1, off, s[0:3], 0 offset:92
	v_cndmask_b32_e32 v0, v0, v14, vcc
	v_or_b32_e32 v15, 5, v10
	v_cmp_lt_f32_e32 vcc, v27, v16
	v_cndmask_b32_e32 v28, v0, v15, vcc
	buffer_load_dword v0, off, s[0:3], 0 offset:96
	buffer_load_dword v36, off, s[0:3], 0 offset:100
	;; [unrolled: 1-line block ×8, first 2 shown]
	v_cndmask_b32_e32 v27, v27, v16, vcc
	v_cmp_lt_f32_e32 vcc, v27, v17
	v_or_b32_e32 v16, 6, v10
	v_cndmask_b32_e32 v27, v27, v17, vcc
	v_cndmask_b32_e32 v28, v28, v16, vcc
	v_cmp_lt_f32_e32 vcc, v27, v18
	v_or_b32_e32 v17, 7, v10
	v_cndmask_b32_e32 v27, v27, v18, vcc
	;; [unrolled: 4-line block ×15, first 2 shown]
	v_cndmask_b32_e32 v4, v5, v30, vcc
	s_waitcnt vmcnt(10)
	v_cmp_lt_f32_e32 vcc, v2, v32
	v_or_b32_e32 v31, 21, v10
	v_cndmask_b32_e32 v2, v2, v32, vcc
	v_cndmask_b32_e32 v3, v4, v31, vcc
	s_waitcnt vmcnt(9)
	v_cmp_lt_f32_e32 vcc, v2, v33
	v_or_b32_e32 v32, 22, v10
	v_cndmask_b32_e32 v2, v2, v33, vcc
	;; [unrolled: 5-line block ×10, first 2 shown]
	v_cndmask_b32_e32 v3, v3, v40, vcc
	v_or_b32_e32 v41, 31, v10
	s_waitcnt vmcnt(0)
	v_cmp_lt_f32_e32 vcc, v2, v44
	v_cndmask_b32_e32 v3, v3, v41, vcc
	v_cndmask_b32_e32 v2, v2, v44, vcc
	s_nop 0
	v_mov_b32_dpp v4, v3 quad_perm:[1,0,3,2] row_mask:0xf bank_mask:0xf
	v_mov_b32_dpp v5, v2 quad_perm:[1,0,3,2] row_mask:0xf bank_mask:0xf
	v_cmp_eq_f32_e64 s[6:7], v2, v5
	v_cmp_lt_i32_e64 s[8:9], v4, v3
	v_cmp_lt_f32_e32 vcc, v2, v5
	s_and_b64 s[6:7], s[6:7], s[8:9]
	s_or_b64 vcc, vcc, s[6:7]
	v_cndmask_b32_e32 v2, v2, v5, vcc
	v_cndmask_b32_e32 v3, v3, v4, vcc
	s_nop 0
	v_mov_b32_dpp v5, v2 quad_perm:[2,3,0,1] row_mask:0xf bank_mask:0xf
	v_mov_b32_dpp v4, v3 quad_perm:[2,3,0,1] row_mask:0xf bank_mask:0xf
	v_cmp_eq_f32_e64 s[6:7], v2, v5
	v_cmp_lt_i32_e64 s[8:9], v4, v3
	v_cmp_lt_f32_e32 vcc, v2, v5
	s_and_b64 s[6:7], s[6:7], s[8:9]
	s_or_b64 vcc, vcc, s[6:7]
	v_cndmask_b32_e32 v2, v2, v5, vcc
	v_cndmask_b32_e32 v3, v3, v4, vcc
	s_nop 0
	v_mov_b32_dpp v5, v2 row_half_mirror row_mask:0xf bank_mask:0xf
	v_mov_b32_dpp v4, v3 row_half_mirror row_mask:0xf bank_mask:0xf
	v_cmp_eq_f32_e64 s[6:7], v2, v5
	v_cmp_lt_i32_e64 s[8:9], v4, v3
	v_cmp_lt_f32_e32 vcc, v2, v5
	s_and_b64 s[6:7], s[6:7], s[8:9]
	s_or_b64 vcc, vcc, s[6:7]
	v_cndmask_b32_e32 v5, v2, v5, vcc
	v_cndmask_b32_e32 v2, v3, v4, vcc
	s_nop 0
	v_mov_b32_dpp v4, v5 row_mirror row_mask:0xf bank_mask:0xf
	v_mov_b32_dpp v3, v2 row_mirror row_mask:0xf bank_mask:0xf
	v_cmp_eq_f32_e64 s[6:7], v5, v4
	v_cmp_lt_i32_e64 s[8:9], v3, v2
	v_cmp_lt_f32_e32 vcc, v5, v4
	s_and_b64 s[6:7], s[6:7], s[8:9]
	s_or_b64 s[6:7], vcc, s[6:7]
	s_cmp_gt_i32 s12, 0
	v_cndmask_b32_e64 v9, v5, v4, s[6:7]
	s_cselect_b64 s[10:11], -1, 0
	s_cmp_lt_i32 s12, 1
	v_cmp_eq_u32_e32 vcc, 0, v7
	s_cbranch_scc1 .LBB205_19
; %bb.7:
	s_load_dwordx4 s[16:19], s[4:5], 0x20
	v_cndmask_b32_e64 v44, v2, v3, s[6:7]
	v_mul_lo_u32 v4, v6, s15
	v_mul_lo_u32 v2, v6, s24
	;; [unrolled: 1-line block ×3, first 2 shown]
	v_mov_b32_e32 v8, 0
	s_and_saveexec_b64 s[8:9], vcc
	s_cbranch_execz .LBB205_9
; %bb.8:
	v_sub_f32_e32 v1, v9, v9
	v_mul_f32_e32 v3, 0x3fb8aa3b, v1
	s_mov_b32 s4, 0x3fb8aa3b
	v_rndne_f32_e32 v5, v3
	v_sub_f32_e32 v8, v3, v5
	v_fma_f32 v3, v1, s4, -v3
	v_fmac_f32_e32 v3, 0x32a5705f, v1
	v_add_f32_e32 v3, v8, v3
	v_exp_f32_e32 v3, v3
	v_cvt_i32_f32_e32 v5, v5
	v_cmp_le_i32_e64 s[4:5], s13, v44
	v_cmp_gt_i32_e64 s[6:7], s14, v44
	s_and_b64 s[6:7], s[4:5], s[6:7]
	s_mov_b32 s4, 0xc2ce8ed0
	v_ldexp_f32 v3, v3, v5
	v_cmp_ngt_f32_e64 s[4:5], s4, v1
	v_cndmask_b32_e64 v3, 0, v3, s[4:5]
	s_mov_b32 s4, 0x42b17218
	v_mov_b32_e32 v5, 0x7f800000
	v_cmp_nlt_f32_e64 s[4:5], s4, v1
	v_cndmask_b32_e64 v8, v5, v3, s[4:5]
	v_ashrrev_i32_e32 v5, 31, v4
	v_lshlrev_b64 v[46:47], 2, v[4:5]
	v_mov_b32_e32 v1, s21
	v_add_co_u32_e64 v46, s[4:5], s20, v46
	v_addc_co_u32_e64 v47, s[4:5], v1, v47, s[4:5]
	v_subrev_u32_e32 v1, s13, v44
	v_mov_b32_e32 v3, 0x200
	s_and_b64 s[4:5], s[22:23], s[6:7]
	v_cndmask_b32_e64 v1, v3, v1, s[4:5]
	v_ashrrev_i32_e32 v3, 31, v2
	global_store_dword v[46:47], v8, off
	v_lshlrev_b64 v[46:47], 2, v[2:3]
	s_waitcnt lgkmcnt(0)
	v_mov_b32_e32 v3, s17
	v_add_co_u32_e64 v46, s[4:5], s16, v46
	v_addc_co_u32_e64 v47, s[4:5], v3, v47, s[4:5]
	global_store_dword v[46:47], v1, off
	v_ashrrev_i32_e32 v1, 31, v0
	v_lshlrev_b64 v[46:47], 2, v[0:1]
	v_mov_b32_e32 v1, s19
	v_add_co_u32_e64 v46, s[4:5], s18, v46
	v_addc_co_u32_e64 v47, s[4:5], v1, v47, s[4:5]
	global_store_dword v[46:47], v6, off
.LBB205_9:
	s_or_b64 exec, exec, s[8:9]
	v_ashrrev_i32_e32 v3, 31, v44
	v_lshrrev_b32_e32 v1, 27, v3
	v_add_u32_e32 v1, v44, v1
	v_ashrrev_i32_e32 v1, 5, v1
	v_lshrrev_b32_e32 v5, 28, v1
	v_add_u32_e32 v5, v1, v5
	v_and_b32_e32 v5, -16, v5
	v_sub_u32_e32 v5, v1, v5
	v_cmp_eq_u32_e64 s[4:5], v7, v5
	s_and_saveexec_b64 s[6:7], s[4:5]
	s_cbranch_execz .LBB205_11
; %bb.10:
	v_lshrrev_b32_e32 v3, 23, v3
	v_add_u32_e32 v3, v44, v3
	v_lshlrev_b32_e32 v1, 5, v1
	v_ashrrev_i32_e32 v3, 9, v3
	v_sub_u32_e32 v1, v44, v1
	v_lshl_add_u32 v1, v3, 5, v1
	v_mov_b32_e32 v3, 0
	v_lshl_add_u32 v1, v1, 2, v3
	v_mov_b32_e32 v3, 0xff800000
	buffer_store_dword v3, v1, s[0:3], 0 offen
.LBB205_11:
	s_or_b64 exec, exec, s[6:7]
	s_cmp_eq_u32 s12, 1
	s_cbranch_scc1 .LBB205_18
; %bb.12:
	s_add_i32 s27, s27, s26
	s_add_i32 s24, s12, -1
	v_add3_u32 v42, s27, v43, v42
	v_add_u32_e32 v0, 1, v0
	v_add_u32_e32 v2, 1, v2
	;; [unrolled: 1-line block ×3, first 2 shown]
	s_mov_b32 s25, 0x3fb8aa3b
	s_mov_b32 s27, 0xc2ce8ed0
	;; [unrolled: 1-line block ×3, first 2 shown]
	v_mov_b32_e32 v43, 0
	v_mov_b32_e32 v44, 0xff800000
	;; [unrolled: 1-line block ×4, first 2 shown]
	s_branch .LBB205_14
.LBB205_13:                             ;   in Loop: Header=BB205_14 Depth=1
	s_or_b64 exec, exec, s[6:7]
	s_add_i32 s24, s24, -1
	v_add_u32_e32 v42, s26, v42
	v_add_u32_e32 v0, 1, v0
	;; [unrolled: 1-line block ×3, first 2 shown]
	s_cmp_eq_u32 s24, 0
	v_add_u32_e32 v4, 1, v4
	s_cbranch_scc1 .LBB205_18
.LBB205_14:                             ; =>This Inner Loop Header: Depth=1
	buffer_load_dword v1, off, s[0:3], 0
	buffer_load_dword v3, off, s[0:3], 0 offset:4
	buffer_load_dword v5, off, s[0:3], 0 offset:8
	;; [unrolled: 1-line block ×15, first 2 shown]
	s_waitcnt vmcnt(14)
	v_cmp_gt_f32_e64 s[4:5], v3, v1
	v_cndmask_b32_e64 v1, v1, v3, s[4:5]
	v_cndmask_b32_e64 v60, v10, v11, s[4:5]
	s_waitcnt vmcnt(13)
	v_cmp_gt_f32_e64 s[4:5], v5, v1
	v_cndmask_b32_e64 v1, v1, v5, s[4:5]
	buffer_load_dword v5, off, s[0:3], 0 offset:64
	v_cndmask_b32_e64 v3, v60, v12, s[4:5]
	s_waitcnt vmcnt(13)
	v_cmp_gt_f32_e64 s[4:5], v47, v1
	v_cndmask_b32_e64 v1, v1, v47, s[4:5]
	v_cndmask_b32_e64 v3, v3, v13, s[4:5]
	s_waitcnt vmcnt(12)
	v_cmp_gt_f32_e64 s[4:5], v48, v1
	v_cndmask_b32_e64 v1, v1, v48, s[4:5]
	;; [unrolled: 4-line block ×14, first 2 shown]
	buffer_load_dword v5, off, s[0:3], 0 offset:68
	v_cndmask_b32_e64 v3, v3, v26, s[4:5]
	s_waitcnt vmcnt(0)
	v_cmp_gt_f32_e64 s[4:5], v5, v1
	v_cndmask_b32_e64 v1, v1, v5, s[4:5]
	buffer_load_dword v5, off, s[0:3], 0 offset:72
	v_cndmask_b32_e64 v3, v3, v27, s[4:5]
	s_waitcnt vmcnt(0)
	v_cmp_gt_f32_e64 s[4:5], v5, v1
	v_cndmask_b32_e64 v1, v1, v5, s[4:5]
	;; [unrolled: 5-line block ×15, first 2 shown]
	v_cndmask_b32_e64 v1, v1, v5, s[4:5]
	s_nop 0
	v_mov_b32_dpp v5, v3 quad_perm:[1,0,3,2] row_mask:0xf bank_mask:0xf
	v_mov_b32_dpp v47, v1 quad_perm:[1,0,3,2] row_mask:0xf bank_mask:0xf
	v_cmp_eq_f32_e64 s[6:7], v1, v47
	v_cmp_lt_i32_e64 s[8:9], v5, v3
	v_cmp_lt_f32_e64 s[4:5], v1, v47
	s_and_b64 s[6:7], s[6:7], s[8:9]
	s_or_b64 s[4:5], s[4:5], s[6:7]
	v_cndmask_b32_e64 v1, v1, v47, s[4:5]
	v_cndmask_b32_e64 v3, v3, v5, s[4:5]
	s_nop 0
	v_mov_b32_dpp v47, v1 quad_perm:[2,3,0,1] row_mask:0xf bank_mask:0xf
	v_mov_b32_dpp v5, v3 quad_perm:[2,3,0,1] row_mask:0xf bank_mask:0xf
	v_cmp_eq_f32_e64 s[6:7], v1, v47
	v_cmp_lt_i32_e64 s[8:9], v5, v3
	v_cmp_lt_f32_e64 s[4:5], v1, v47
	s_and_b64 s[6:7], s[6:7], s[8:9]
	s_or_b64 s[4:5], s[4:5], s[6:7]
	v_cndmask_b32_e64 v1, v1, v47, s[4:5]
	v_cndmask_b32_e64 v3, v3, v5, s[4:5]
	s_nop 0
	v_mov_b32_dpp v47, v1 row_half_mirror row_mask:0xf bank_mask:0xf
	v_mov_b32_dpp v5, v3 row_half_mirror row_mask:0xf bank_mask:0xf
	v_cmp_eq_f32_e64 s[6:7], v1, v47
	v_cmp_lt_i32_e64 s[8:9], v5, v3
	v_cmp_lt_f32_e64 s[4:5], v1, v47
	s_and_b64 s[6:7], s[6:7], s[8:9]
	s_or_b64 s[4:5], s[4:5], s[6:7]
	v_cndmask_b32_e64 v1, v1, v47, s[4:5]
	v_cndmask_b32_e64 v5, v3, v5, s[4:5]
	s_nop 0
	v_mov_b32_dpp v3, v1 row_mirror row_mask:0xf bank_mask:0xf
	v_mov_b32_dpp v47, v5 row_mirror row_mask:0xf bank_mask:0xf
	v_cmp_eq_f32_e64 s[6:7], v1, v3
	v_cmp_lt_i32_e64 s[8:9], v47, v5
	v_cmp_lt_f32_e64 s[4:5], v1, v3
	s_and_b64 s[6:7], s[6:7], s[8:9]
	s_or_b64 s[4:5], s[4:5], s[6:7]
	v_cndmask_b32_e64 v47, v5, v47, s[4:5]
	s_and_saveexec_b64 s[8:9], vcc
	s_cbranch_execz .LBB205_16
; %bb.15:                               ;   in Loop: Header=BB205_14 Depth=1
	v_cndmask_b32_e64 v1, v1, v3, s[4:5]
	v_sub_f32_e32 v1, v1, v9
	v_mul_f32_e32 v3, 0x3fb8aa3b, v1
	v_fma_f32 v5, v1, s25, -v3
	v_rndne_f32_e32 v48, v3
	v_fmac_f32_e32 v5, 0x32a5705f, v1
	v_sub_f32_e32 v3, v3, v48
	v_add_f32_e32 v3, v3, v5
	v_exp_f32_e32 v3, v3
	v_cvt_i32_f32_e32 v5, v48
	v_cmp_le_i32_e64 s[4:5], s13, v47
	v_cmp_gt_i32_e64 s[6:7], s14, v47
	s_and_b64 s[6:7], s[4:5], s[6:7]
	v_ldexp_f32 v3, v3, v5
	v_cmp_ngt_f32_e64 s[4:5], s27, v1
	v_ashrrev_i32_e32 v5, 31, v4
	v_cndmask_b32_e64 v3, 0, v3, s[4:5]
	v_cmp_nlt_f32_e64 s[4:5], s28, v1
	v_lshlrev_b64 v[48:49], 2, v[4:5]
	v_cndmask_b32_e64 v50, v45, v3, s[4:5]
	v_mov_b32_e32 v1, s21
	v_add_co_u32_e64 v48, s[4:5], s20, v48
	v_addc_co_u32_e64 v49, s[4:5], v1, v49, s[4:5]
	v_ashrrev_i32_e32 v3, 31, v2
	global_store_dword v[48:49], v50, off
	v_subrev_u32_e32 v1, s13, v47
	s_and_b64 s[4:5], s[22:23], s[6:7]
	v_lshlrev_b64 v[48:49], 2, v[2:3]
	v_cndmask_b32_e64 v1, v46, v1, s[4:5]
	s_waitcnt lgkmcnt(0)
	v_mov_b32_e32 v3, s17
	v_add_co_u32_e64 v48, s[4:5], s16, v48
	v_addc_co_u32_e64 v49, s[4:5], v3, v49, s[4:5]
	global_store_dword v[48:49], v1, off
	v_ashrrev_i32_e32 v1, 31, v0
	v_lshlrev_b64 v[48:49], 2, v[0:1]
	v_mov_b32_e32 v1, s19
	v_add_co_u32_e64 v48, s[4:5], s18, v48
	v_addc_co_u32_e64 v49, s[4:5], v1, v49, s[4:5]
	v_add_f32_e32 v8, v8, v50
	global_store_dword v[48:49], v42, off
.LBB205_16:                             ;   in Loop: Header=BB205_14 Depth=1
	s_or_b64 exec, exec, s[8:9]
	v_ashrrev_i32_e32 v3, 31, v47
	v_lshrrev_b32_e32 v1, 27, v3
	v_add_u32_e32 v1, v47, v1
	v_ashrrev_i32_e32 v1, 5, v1
	v_lshrrev_b32_e32 v5, 28, v1
	v_add_u32_e32 v5, v1, v5
	v_and_b32_e32 v5, -16, v5
	v_sub_u32_e32 v5, v1, v5
	v_cmp_eq_u32_e64 s[4:5], v7, v5
	s_and_saveexec_b64 s[6:7], s[4:5]
	s_cbranch_execz .LBB205_13
; %bb.17:                               ;   in Loop: Header=BB205_14 Depth=1
	v_lshrrev_b32_e32 v3, 23, v3
	v_add_u32_e32 v3, v47, v3
	v_lshlrev_b32_e32 v1, 5, v1
	v_ashrrev_i32_e32 v3, 9, v3
	v_sub_u32_e32 v1, v47, v1
	v_lshl_add_u32 v1, v3, 5, v1
	v_lshl_add_u32 v1, v1, 2, v43
	buffer_store_dword v44, v1, s[0:3], 0 offen
	s_branch .LBB205_13
.LBB205_18:
	buffer_load_dword v1, off, s[0:3], 0 offset:92
	buffer_load_dword v0, off, s[0:3], 0 offset:96
.LBB205_19:
	buffer_load_dword v3, off, s[0:3], 0
	buffer_load_dword v4, off, s[0:3], 0 offset:4
	buffer_load_dword v5, off, s[0:3], 0 offset:8
	;; [unrolled: 1-line block ×15, first 2 shown]
	s_mov_b32 s5, 0x3fb8aa3b
	s_mov_b32 s4, 0xc2ce8ed0
	;; [unrolled: 1-line block ×3, first 2 shown]
	v_mov_b32_e32 v2, 0x7f800000
	s_waitcnt vmcnt(17)
	v_sub_f32_e32 v1, v1, v9
	s_waitcnt vmcnt(16)
	v_sub_f32_e32 v0, v0, v9
	s_waitcnt vmcnt(15)
	v_sub_f32_e32 v3, v3, v9
	s_waitcnt vmcnt(14)
	v_sub_f32_e32 v4, v4, v9
	v_mul_f32_e32 v23, 0x3fb8aa3b, v3
	s_waitcnt vmcnt(13)
	v_sub_f32_e32 v5, v5, v9
	v_mul_f32_e32 v24, 0x3fb8aa3b, v4
	v_fma_f32 v29, v3, s5, -v23
	v_rndne_f32_e32 v30, v23
	s_waitcnt vmcnt(12)
	v_sub_f32_e32 v10, v10, v9
	v_mul_f32_e32 v25, 0x3fb8aa3b, v5
	v_fma_f32 v31, v4, s5, -v24
	v_rndne_f32_e32 v32, v24
	v_fmac_f32_e32 v29, 0x32a5705f, v3
	v_sub_f32_e32 v23, v23, v30
	s_waitcnt vmcnt(11)
	v_sub_f32_e32 v11, v11, v9
	v_mul_f32_e32 v26, 0x3fb8aa3b, v10
	v_fma_f32 v33, v5, s5, -v25
	v_rndne_f32_e32 v34, v25
	v_fmac_f32_e32 v31, 0x32a5705f, v4
	v_sub_f32_e32 v24, v24, v32
	v_add_f32_e32 v23, v23, v29
	v_mul_f32_e32 v27, 0x3fb8aa3b, v11
	v_fma_f32 v35, v10, s5, -v26
	v_rndne_f32_e32 v36, v26
	v_cvt_i32_f32_e32 v30, v30
	v_fmac_f32_e32 v33, 0x32a5705f, v5
	v_sub_f32_e32 v25, v25, v34
	v_add_f32_e32 v24, v24, v31
	v_exp_f32_e32 v23, v23
	v_fma_f32 v37, v11, s5, -v27
	v_rndne_f32_e32 v38, v27
	v_cvt_i32_f32_e32 v32, v32
	v_fmac_f32_e32 v35, 0x32a5705f, v10
	v_sub_f32_e32 v26, v26, v36
	v_add_f32_e32 v25, v25, v33
	v_exp_f32_e32 v24, v24
	v_cvt_i32_f32_e32 v34, v34
	v_fmac_f32_e32 v37, 0x32a5705f, v11
	v_sub_f32_e32 v27, v27, v38
	v_add_f32_e32 v26, v26, v35
	v_exp_f32_e32 v25, v25
	v_cvt_i32_f32_e32 v36, v36
	v_add_f32_e32 v27, v27, v37
	v_exp_f32_e32 v26, v26
	v_cvt_i32_f32_e32 v38, v38
	v_exp_f32_e32 v27, v27
	v_ldexp_f32 v23, v23, v30
	v_cmp_ngt_f32_e32 vcc, s4, v3
	v_ldexp_f32 v24, v24, v32
	v_cndmask_b32_e32 v23, 0, v23, vcc
	v_cmp_ngt_f32_e32 vcc, s4, v4
	v_ldexp_f32 v25, v25, v34
	v_cndmask_b32_e32 v24, 0, v24, vcc
	;; [unrolled: 3-line block ×4, first 2 shown]
	v_cmp_ngt_f32_e32 vcc, s4, v11
	v_cndmask_b32_e32 v27, 0, v27, vcc
	v_cmp_nlt_f32_e32 vcc, s6, v3
	s_waitcnt vmcnt(10)
	v_sub_f32_e32 v12, v12, v9
	v_cndmask_b32_e32 v3, v2, v23, vcc
	v_cmp_nlt_f32_e32 vcc, s6, v4
	v_mul_f32_e32 v28, 0x3fb8aa3b, v12
	v_cndmask_b32_e32 v4, v2, v24, vcc
	v_cmp_nlt_f32_e32 vcc, s6, v5
	v_fma_f32 v39, v12, s5, -v28
	v_cndmask_b32_e32 v5, v2, v25, vcc
	v_add_f32_e32 v3, v3, v4
	v_rndne_f32_e32 v4, v28
	v_fmac_f32_e32 v39, 0x32a5705f, v12
	v_add_f32_e32 v3, v3, v5
	v_sub_f32_e32 v5, v28, v4
	v_add_f32_e32 v5, v5, v39
	v_exp_f32_e32 v5, v5
	v_cvt_i32_f32_e32 v4, v4
	v_cmp_nlt_f32_e32 vcc, s6, v10
	v_cndmask_b32_e32 v10, v2, v26, vcc
	v_cmp_nlt_f32_e32 vcc, s6, v11
	v_add_f32_e32 v3, v3, v10
	v_cndmask_b32_e32 v10, v2, v27, vcc
	v_ldexp_f32 v4, v5, v4
	s_waitcnt vmcnt(9)
	v_sub_f32_e32 v5, v13, v9
	v_add_f32_e32 v3, v3, v10
	v_mul_f32_e32 v10, 0x3fb8aa3b, v5
	v_fma_f32 v11, v5, s5, -v10
	v_rndne_f32_e32 v13, v10
	v_fmac_f32_e32 v11, 0x32a5705f, v5
	v_sub_f32_e32 v10, v10, v13
	v_add_f32_e32 v10, v10, v11
	v_exp_f32_e32 v10, v10
	v_cvt_i32_f32_e32 v11, v13
	v_cmp_ngt_f32_e32 vcc, s4, v12
	v_cndmask_b32_e32 v4, 0, v4, vcc
	v_cmp_nlt_f32_e32 vcc, s6, v12
	v_cndmask_b32_e32 v4, v2, v4, vcc
	v_add_f32_e32 v3, v3, v4
	v_ldexp_f32 v4, v10, v11
	s_waitcnt vmcnt(8)
	v_sub_f32_e32 v10, v14, v9
	v_mul_f32_e32 v11, 0x3fb8aa3b, v10
	v_fma_f32 v12, v10, s5, -v11
	v_rndne_f32_e32 v13, v11
	v_fmac_f32_e32 v12, 0x32a5705f, v10
	v_sub_f32_e32 v11, v11, v13
	v_add_f32_e32 v11, v11, v12
	v_exp_f32_e32 v11, v11
	v_cvt_i32_f32_e32 v12, v13
	v_cmp_ngt_f32_e32 vcc, s4, v5
	v_cndmask_b32_e32 v4, 0, v4, vcc
	v_cmp_nlt_f32_e32 vcc, s6, v5
	v_cndmask_b32_e32 v4, v2, v4, vcc
	s_waitcnt vmcnt(7)
	v_sub_f32_e32 v5, v15, v9
	v_add_f32_e32 v3, v3, v4
	v_ldexp_f32 v4, v11, v12
	v_mul_f32_e32 v11, 0x3fb8aa3b, v5
	v_fma_f32 v12, v5, s5, -v11
	v_rndne_f32_e32 v13, v11
	v_fmac_f32_e32 v12, 0x32a5705f, v5
	v_sub_f32_e32 v11, v11, v13
	v_add_f32_e32 v11, v11, v12
	v_exp_f32_e32 v11, v11
	v_cvt_i32_f32_e32 v12, v13
	v_cmp_ngt_f32_e32 vcc, s4, v10
	v_cndmask_b32_e32 v4, 0, v4, vcc
	v_cmp_nlt_f32_e32 vcc, s6, v10
	v_cndmask_b32_e32 v4, v2, v4, vcc
	s_waitcnt vmcnt(6)
	v_sub_f32_e32 v10, v16, v9
	v_add_f32_e32 v3, v3, v4
	v_ldexp_f32 v4, v11, v12
	;; [unrolled: 16-line block ×4, first 2 shown]
	v_mul_f32_e32 v11, 0x3fb8aa3b, v10
	v_fma_f32 v12, v10, s5, -v11
	v_rndne_f32_e32 v14, v11
	buffer_load_dword v13, off, s[0:3], 0 offset:64
	v_fmac_f32_e32 v12, 0x32a5705f, v10
	v_sub_f32_e32 v11, v11, v14
	v_add_f32_e32 v11, v11, v12
	v_exp_f32_e32 v11, v11
	v_cvt_i32_f32_e32 v12, v14
	v_cmp_ngt_f32_e32 vcc, s4, v5
	v_cndmask_b32_e32 v4, 0, v4, vcc
	v_cmp_nlt_f32_e32 vcc, s6, v5
	v_cndmask_b32_e32 v4, v2, v4, vcc
	s_waitcnt vmcnt(4)
	v_sub_f32_e32 v5, v19, v9
	v_add_f32_e32 v3, v3, v4
	v_ldexp_f32 v4, v11, v12
	buffer_load_dword v12, off, s[0:3], 0 offset:68
	v_mul_f32_e32 v11, 0x3fb8aa3b, v5
	v_fma_f32 v14, v5, s5, -v11
	v_rndne_f32_e32 v15, v11
	v_fmac_f32_e32 v14, 0x32a5705f, v5
	v_sub_f32_e32 v11, v11, v15
	v_add_f32_e32 v11, v11, v14
	v_exp_f32_e32 v11, v11
	v_cvt_i32_f32_e32 v14, v15
	v_cmp_ngt_f32_e32 vcc, s4, v10
	v_cndmask_b32_e32 v4, 0, v4, vcc
	v_cmp_nlt_f32_e32 vcc, s6, v10
	v_cndmask_b32_e32 v4, v2, v4, vcc
	v_add_f32_e32 v3, v3, v4
	v_ldexp_f32 v4, v11, v14
	buffer_load_dword v11, off, s[0:3], 0 offset:72
	s_waitcnt vmcnt(5)
	v_sub_f32_e32 v10, v20, v9
	v_mul_f32_e32 v14, 0x3fb8aa3b, v10
	v_cmp_ngt_f32_e32 vcc, s4, v5
	v_fma_f32 v15, v10, s5, -v14
	v_rndne_f32_e32 v16, v14
	v_cndmask_b32_e32 v4, 0, v4, vcc
	v_fmac_f32_e32 v15, 0x32a5705f, v10
	v_sub_f32_e32 v14, v14, v16
	v_cmp_nlt_f32_e32 vcc, s6, v5
	buffer_load_dword v5, off, s[0:3], 0 offset:76
	v_add_f32_e32 v14, v14, v15
	v_exp_f32_e32 v14, v14
	v_cvt_i32_f32_e32 v15, v16
	v_cndmask_b32_e32 v4, v2, v4, vcc
	v_add_f32_e32 v3, v3, v4
	v_cmp_ngt_f32_e32 vcc, s4, v10
	v_ldexp_f32 v4, v14, v15
	s_waitcnt vmcnt(5)
	v_sub_f32_e32 v14, v21, v9
	v_cndmask_b32_e32 v4, 0, v4, vcc
	v_mul_f32_e32 v15, 0x3fb8aa3b, v14
	v_cmp_nlt_f32_e32 vcc, s6, v10
	buffer_load_dword v10, off, s[0:3], 0 offset:80
	v_fma_f32 v16, v14, s5, -v15
	v_rndne_f32_e32 v17, v15
	v_fmac_f32_e32 v16, 0x32a5705f, v14
	v_sub_f32_e32 v15, v15, v17
	v_add_f32_e32 v15, v15, v16
	v_exp_f32_e32 v15, v15
	v_cvt_i32_f32_e32 v16, v17
	v_cndmask_b32_e32 v4, v2, v4, vcc
	v_add_f32_e32 v3, v3, v4
	v_cmp_ngt_f32_e32 vcc, s4, v14
	v_ldexp_f32 v4, v15, v16
	v_cndmask_b32_e32 v4, 0, v4, vcc
	v_cmp_nlt_f32_e32 vcc, s6, v14
	buffer_load_dword v14, off, s[0:3], 0 offset:84
	s_waitcnt vmcnt(6)
	v_sub_f32_e32 v15, v22, v9
	v_mul_f32_e32 v16, 0x3fb8aa3b, v15
	v_fma_f32 v17, v15, s5, -v16
	v_rndne_f32_e32 v18, v16
	v_fmac_f32_e32 v17, 0x32a5705f, v15
	v_sub_f32_e32 v16, v16, v18
	v_add_f32_e32 v16, v16, v17
	v_exp_f32_e32 v16, v16
	v_cvt_i32_f32_e32 v17, v18
	v_cndmask_b32_e32 v4, v2, v4, vcc
	v_add_f32_e32 v3, v3, v4
	v_cmp_ngt_f32_e32 vcc, s4, v15
	v_ldexp_f32 v4, v16, v17
	buffer_load_dword v16, off, s[0:3], 0 offset:88
	buffer_load_dword v17, off, s[0:3], 0 offset:100
	v_cndmask_b32_e32 v4, 0, v4, vcc
	s_waitcnt vmcnt(7)
	v_sub_f32_e32 v13, v13, v9
	v_mul_f32_e32 v18, 0x3fb8aa3b, v13
	v_fma_f32 v19, v13, s5, -v18
	v_rndne_f32_e32 v20, v18
	v_fmac_f32_e32 v19, 0x32a5705f, v13
	v_sub_f32_e32 v18, v18, v20
	v_add_f32_e32 v18, v18, v19
	v_exp_f32_e32 v18, v18
	v_cvt_i32_f32_e32 v19, v20
	v_cmp_nlt_f32_e32 vcc, s6, v15
	v_cndmask_b32_e32 v4, v2, v4, vcc
	v_add_f32_e32 v3, v3, v4
	v_ldexp_f32 v4, v18, v19
	s_waitcnt vmcnt(6)
	v_sub_f32_e32 v12, v12, v9
	v_mul_f32_e32 v15, 0x3fb8aa3b, v12
	v_fma_f32 v18, v12, s5, -v15
	v_rndne_f32_e32 v19, v15
	v_fmac_f32_e32 v18, 0x32a5705f, v12
	v_sub_f32_e32 v15, v15, v19
	v_add_f32_e32 v15, v15, v18
	v_exp_f32_e32 v15, v15
	v_cvt_i32_f32_e32 v18, v19
	v_cmp_ngt_f32_e32 vcc, s4, v13
	v_cndmask_b32_e32 v4, 0, v4, vcc
	v_cmp_nlt_f32_e32 vcc, s6, v13
	v_cndmask_b32_e32 v4, v2, v4, vcc
	v_add_f32_e32 v3, v3, v4
	v_ldexp_f32 v4, v15, v18
	s_waitcnt vmcnt(5)
	v_sub_f32_e32 v11, v11, v9
	v_mul_f32_e32 v13, 0x3fb8aa3b, v11
	v_fma_f32 v15, v11, s5, -v13
	v_rndne_f32_e32 v18, v13
	v_fmac_f32_e32 v15, 0x32a5705f, v11
	v_sub_f32_e32 v13, v13, v18
	v_add_f32_e32 v13, v13, v15
	v_exp_f32_e32 v13, v13
	v_cvt_i32_f32_e32 v15, v18
	v_cmp_ngt_f32_e32 vcc, s4, v12
	v_cndmask_b32_e32 v4, 0, v4, vcc
	v_cmp_nlt_f32_e32 vcc, s6, v12
	s_waitcnt vmcnt(4)
	v_sub_f32_e32 v5, v5, v9
	v_cndmask_b32_e32 v4, v2, v4, vcc
	v_mul_f32_e32 v12, 0x3fb8aa3b, v5
	v_add_f32_e32 v3, v3, v4
	v_ldexp_f32 v4, v13, v15
	v_fma_f32 v13, v5, s5, -v12
	v_rndne_f32_e32 v15, v12
	v_fmac_f32_e32 v13, 0x32a5705f, v5
	v_sub_f32_e32 v12, v12, v15
	v_add_f32_e32 v12, v12, v13
	v_exp_f32_e32 v12, v12
	v_cvt_i32_f32_e32 v13, v15
	v_cmp_ngt_f32_e32 vcc, s4, v11
	v_cndmask_b32_e32 v4, 0, v4, vcc
	v_cmp_nlt_f32_e32 vcc, s6, v11
	s_waitcnt vmcnt(3)
	v_sub_f32_e32 v10, v10, v9
	v_cndmask_b32_e32 v4, v2, v4, vcc
	v_mul_f32_e32 v11, 0x3fb8aa3b, v10
	v_add_f32_e32 v3, v3, v4
	v_ldexp_f32 v4, v12, v13
	v_fma_f32 v12, v10, s5, -v11
	v_rndne_f32_e32 v13, v11
	v_fmac_f32_e32 v12, 0x32a5705f, v10
	v_sub_f32_e32 v11, v11, v13
	v_add_f32_e32 v11, v11, v12
	v_exp_f32_e32 v11, v11
	v_cvt_i32_f32_e32 v12, v13
	v_cmp_ngt_f32_e32 vcc, s4, v5
	v_cndmask_b32_e32 v4, 0, v4, vcc
	v_cmp_nlt_f32_e32 vcc, s6, v5
	v_cndmask_b32_e32 v4, v2, v4, vcc
	v_add_f32_e32 v3, v3, v4
	v_ldexp_f32 v4, v11, v12
	s_waitcnt vmcnt(2)
	v_sub_f32_e32 v5, v14, v9
	buffer_load_dword v11, off, s[0:3], 0 offset:104
	v_mul_f32_e32 v12, 0x3fb8aa3b, v5
	v_fma_f32 v13, v5, s5, -v12
	v_rndne_f32_e32 v14, v12
	v_fmac_f32_e32 v13, 0x32a5705f, v5
	v_sub_f32_e32 v12, v12, v14
	v_add_f32_e32 v12, v12, v13
	v_exp_f32_e32 v12, v12
	v_cvt_i32_f32_e32 v13, v14
	v_cmp_ngt_f32_e32 vcc, s4, v10
	v_cndmask_b32_e32 v4, 0, v4, vcc
	v_cmp_nlt_f32_e32 vcc, s6, v10
	buffer_load_dword v10, off, s[0:3], 0 offset:108
	v_cndmask_b32_e32 v4, v2, v4, vcc
	v_add_f32_e32 v3, v3, v4
	v_ldexp_f32 v4, v12, v13
	s_waitcnt vmcnt(3)
	v_sub_f32_e32 v12, v16, v9
	v_mul_f32_e32 v13, 0x3fb8aa3b, v12
	v_fma_f32 v14, v12, s5, -v13
	v_rndne_f32_e32 v15, v13
	v_fmac_f32_e32 v14, 0x32a5705f, v12
	v_sub_f32_e32 v13, v13, v15
	v_cmp_ngt_f32_e32 vcc, s4, v5
	v_add_f32_e32 v13, v13, v14
	v_cndmask_b32_e32 v4, 0, v4, vcc
	v_exp_f32_e32 v13, v13
	v_cvt_i32_f32_e32 v14, v15
	v_cmp_nlt_f32_e32 vcc, s6, v5
	buffer_load_dword v5, off, s[0:3], 0 offset:112
	v_cndmask_b32_e32 v4, v2, v4, vcc
	v_add_f32_e32 v3, v3, v4
	v_ldexp_f32 v4, v13, v14
	v_mul_f32_e32 v13, 0x3fb8aa3b, v1
	v_fma_f32 v14, v1, s5, -v13
	v_rndne_f32_e32 v15, v13
	v_fmac_f32_e32 v14, 0x32a5705f, v1
	v_sub_f32_e32 v13, v13, v15
	v_cmp_ngt_f32_e32 vcc, s4, v12
	v_add_f32_e32 v13, v13, v14
	v_cndmask_b32_e32 v4, 0, v4, vcc
	v_exp_f32_e32 v13, v13
	v_cvt_i32_f32_e32 v14, v15
	v_cmp_nlt_f32_e32 vcc, s6, v12
	buffer_load_dword v12, off, s[0:3], 0 offset:116
	v_cndmask_b32_e32 v4, v2, v4, vcc
	v_add_f32_e32 v3, v3, v4
	v_ldexp_f32 v4, v13, v14
	v_cmp_ngt_f32_e32 vcc, s4, v1
	v_cndmask_b32_e32 v4, 0, v4, vcc
	v_mul_f32_e32 v13, 0x3fb8aa3b, v0
	v_cmp_nlt_f32_e32 vcc, s6, v1
	v_fma_f32 v14, v0, s5, -v13
	v_rndne_f32_e32 v15, v13
	v_cndmask_b32_e32 v1, v2, v4, vcc
	v_fmac_f32_e32 v14, 0x32a5705f, v0
	v_sub_f32_e32 v13, v13, v15
	v_add_f32_e32 v1, v3, v1
	buffer_load_dword v3, off, s[0:3], 0 offset:120
	v_add_f32_e32 v13, v13, v14
	v_exp_f32_e32 v13, v13
	v_cvt_i32_f32_e32 v14, v15
	v_cmp_ngt_f32_e32 vcc, s4, v0
	v_ldexp_f32 v4, v13, v14
	v_cndmask_b32_e32 v4, 0, v4, vcc
	v_cmp_nlt_f32_e32 vcc, s6, v0
	v_cndmask_b32_e32 v0, v2, v4, vcc
	buffer_load_dword v4, off, s[0:3], 0 offset:124
	s_waitcnt vmcnt(6)
	v_sub_f32_e32 v13, v17, v9
	v_mul_f32_e32 v14, 0x3fb8aa3b, v13
	v_fma_f32 v15, v13, s5, -v14
	v_rndne_f32_e32 v16, v14
	v_fmac_f32_e32 v15, 0x32a5705f, v13
	v_sub_f32_e32 v14, v14, v16
	v_add_f32_e32 v14, v14, v15
	v_exp_f32_e32 v14, v14
	v_cvt_i32_f32_e32 v15, v16
	v_add_f32_e32 v0, v1, v0
	v_cmp_ngt_f32_e32 vcc, s4, v13
	s_waitcnt vmcnt(5)
	v_sub_f32_e32 v11, v11, v9
	v_ldexp_f32 v1, v14, v15
	v_mul_f32_e32 v14, 0x3fb8aa3b, v11
	v_fma_f32 v15, v11, s5, -v14
	v_rndne_f32_e32 v16, v14
	v_fmac_f32_e32 v15, 0x32a5705f, v11
	v_sub_f32_e32 v14, v14, v16
	v_add_f32_e32 v14, v14, v15
	v_exp_f32_e32 v14, v14
	v_cvt_i32_f32_e32 v15, v16
	v_cndmask_b32_e32 v1, 0, v1, vcc
	v_cmp_nlt_f32_e32 vcc, s6, v13
	s_waitcnt vmcnt(4)
	v_sub_f32_e32 v10, v10, v9
	v_cndmask_b32_e32 v1, v2, v1, vcc
	v_mul_f32_e32 v13, 0x3fb8aa3b, v10
	v_add_f32_e32 v0, v0, v1
	v_ldexp_f32 v1, v14, v15
	v_fma_f32 v14, v10, s5, -v13
	v_rndne_f32_e32 v15, v13
	v_fmac_f32_e32 v14, 0x32a5705f, v10
	v_sub_f32_e32 v13, v13, v15
	v_add_f32_e32 v13, v13, v14
	v_exp_f32_e32 v13, v13
	v_cvt_i32_f32_e32 v14, v15
	v_cmp_ngt_f32_e32 vcc, s4, v11
	v_cndmask_b32_e32 v1, 0, v1, vcc
	v_cmp_nlt_f32_e32 vcc, s6, v11
	v_cndmask_b32_e32 v1, v2, v1, vcc
	s_waitcnt vmcnt(3)
	v_sub_f32_e32 v5, v5, v9
	v_mul_f32_e32 v11, 0x3fb8aa3b, v5
	v_add_f32_e32 v0, v0, v1
	v_ldexp_f32 v1, v13, v14
	v_fma_f32 v13, v5, s5, -v11
	v_rndne_f32_e32 v14, v11
	v_fmac_f32_e32 v13, 0x32a5705f, v5
	v_sub_f32_e32 v11, v11, v14
	v_add_f32_e32 v11, v11, v13
	v_exp_f32_e32 v11, v11
	v_cvt_i32_f32_e32 v13, v14
	v_cmp_ngt_f32_e32 vcc, s4, v10
	v_cndmask_b32_e32 v1, 0, v1, vcc
	v_cmp_nlt_f32_e32 vcc, s6, v10
	v_cndmask_b32_e32 v1, v2, v1, vcc
	s_waitcnt vmcnt(2)
	v_sub_f32_e32 v10, v12, v9
	v_add_f32_e32 v0, v0, v1
	v_ldexp_f32 v1, v11, v13
	v_mul_f32_e32 v11, 0x3fb8aa3b, v10
	v_fma_f32 v12, v10, s5, -v11
	v_rndne_f32_e32 v13, v11
	v_fmac_f32_e32 v12, 0x32a5705f, v10
	v_sub_f32_e32 v11, v11, v13
	v_add_f32_e32 v11, v11, v12
	v_exp_f32_e32 v11, v11
	v_cvt_i32_f32_e32 v12, v13
	v_cmp_ngt_f32_e32 vcc, s4, v5
	v_cndmask_b32_e32 v1, 0, v1, vcc
	v_cmp_nlt_f32_e32 vcc, s6, v5
	s_waitcnt vmcnt(1)
	v_sub_f32_e32 v3, v3, v9
	v_cndmask_b32_e32 v1, v2, v1, vcc
	v_mul_f32_e32 v5, 0x3fb8aa3b, v3
	v_add_f32_e32 v0, v0, v1
	v_ldexp_f32 v1, v11, v12
	v_fma_f32 v11, v3, s5, -v5
	v_rndne_f32_e32 v12, v5
	v_fmac_f32_e32 v11, 0x32a5705f, v3
	v_sub_f32_e32 v5, v5, v12
	v_add_f32_e32 v5, v5, v11
	v_exp_f32_e32 v5, v5
	v_cvt_i32_f32_e32 v11, v12
	v_cmp_ngt_f32_e32 vcc, s4, v10
	v_cndmask_b32_e32 v1, 0, v1, vcc
	v_cmp_nlt_f32_e32 vcc, s6, v10
	v_cndmask_b32_e32 v1, v2, v1, vcc
	s_waitcnt vmcnt(0)
	v_sub_f32_e32 v4, v4, v9
	v_add_f32_e32 v0, v0, v1
	v_ldexp_f32 v1, v5, v11
	v_mul_f32_e32 v5, 0x3fb8aa3b, v4
	v_fma_f32 v9, v4, s5, -v5
	v_rndne_f32_e32 v10, v5
	v_fmac_f32_e32 v9, 0x32a5705f, v4
	v_sub_f32_e32 v5, v5, v10
	v_add_f32_e32 v5, v5, v9
	v_exp_f32_e32 v5, v5
	v_cvt_i32_f32_e32 v9, v10
	v_cmp_ngt_f32_e32 vcc, s4, v3
	v_cndmask_b32_e32 v1, 0, v1, vcc
	v_cmp_nlt_f32_e32 vcc, s6, v3
	v_cndmask_b32_e32 v1, v2, v1, vcc
	v_add_f32_e32 v0, v0, v1
	v_ldexp_f32 v1, v5, v9
	v_cmp_ngt_f32_e32 vcc, s4, v4
	v_cndmask_b32_e32 v1, 0, v1, vcc
	v_cmp_nlt_f32_e32 vcc, s6, v4
	v_cndmask_b32_e32 v1, v2, v1, vcc
	v_add_f32_e32 v0, v0, v1
	v_cmp_eq_u32_e32 vcc, 0, v7
	s_nop 0
	v_mov_b32_dpp v1, v0 quad_perm:[1,0,3,2] row_mask:0xf bank_mask:0xf
	v_add_f32_e32 v0, v0, v1
	s_nop 1
	v_mov_b32_dpp v1, v0 quad_perm:[2,3,0,1] row_mask:0xf bank_mask:0xf
	v_add_f32_e32 v0, v0, v1
	s_nop 1
	v_mov_b32_dpp v1, v0 row_half_mirror row_mask:0xf bank_mask:0xf
	v_add_f32_e32 v0, v0, v1
	s_nop 1
	v_mov_b32_dpp v1, v0 row_mirror row_mask:0xf bank_mask:0xf
	s_and_b64 exec, exec, vcc
	s_cbranch_execz .LBB205_32
; %bb.20:
	v_add_f32_e32 v0, v0, v1
	v_add_f32_e32 v0, v8, v0
	v_cmp_neq_f32_e32 vcc, 0, v0
	s_and_b64 exec, exec, vcc
	s_cbranch_execz .LBB205_32
; %bb.21:
	s_andn2_b64 vcc, exec, s[10:11]
	s_cbranch_vccnz .LBB205_32
; %bb.22:
	v_div_scale_f32 v1, s[4:5], v0, v0, 1.0
	v_rcp_f32_e32 v2, v1
	v_div_scale_f32 v3, vcc, 1.0, v0, 1.0
	s_cmp_gt_u32 s12, 3
	v_fma_f32 v4, -v1, v2, 1.0
	v_fmac_f32_e32 v2, v4, v2
	v_mul_f32_e32 v4, v3, v2
	v_fma_f32 v5, -v1, v4, v3
	v_fmac_f32_e32 v4, v5, v2
	v_fma_f32 v1, -v1, v4, v3
	v_div_fmas_f32 v1, v1, v2, v4
	v_mul_lo_u32 v2, v6, s15
	v_div_fixup_f32 v0, v1, v0, 1.0
	v_ashrrev_i32_e32 v3, 31, v2
	s_cbranch_scc0 .LBB205_26
; %bb.23:
	v_lshlrev_b64 v[4:5], 2, v[2:3]
	v_mov_b32_e32 v6, s21
	v_add_co_u32_e32 v4, vcc, s20, v4
	v_addc_co_u32_e32 v5, vcc, v5, v6, vcc
	s_and_b32 s8, s12, 0x7ffffffc
	v_add_co_u32_e32 v4, vcc, 8, v4
	v_mov_b32_e32 v1, v0
	v_addc_co_u32_e32 v5, vcc, 0, v5, vcc
	s_mov_b32 s4, s8
.LBB205_24:                             ; =>This Inner Loop Header: Depth=1
	global_load_dwordx4 v[6:9], v[4:5], off offset:-8
	s_add_i32 s4, s4, -4
	s_cmp_lg_u32 s4, 0
	s_waitcnt vmcnt(0)
	v_pk_mul_f32 v[6:7], v[0:1], v[6:7]
	v_pk_mul_f32 v[8:9], v[0:1], v[8:9]
	global_store_dwordx4 v[4:5], v[6:9], off offset:-8
	v_add_co_u32_e32 v4, vcc, 16, v4
	v_addc_co_u32_e32 v5, vcc, 0, v5, vcc
	s_cbranch_scc1 .LBB205_24
; %bb.25:
	s_cmp_lg_u32 s8, s12
	s_mov_b64 s[6:7], 0
	s_cselect_b64 s[4:5], -1, 0
	s_branch .LBB205_27
.LBB205_26:
	s_mov_b64 s[6:7], -1
	s_mov_b64 s[4:5], 0
                                        ; implicit-def: $sgpr8
.LBB205_27:
	s_and_b64 vcc, exec, s[6:7]
	s_cbranch_vccz .LBB205_29
; %bb.28:
	s_mov_b64 s[4:5], -1
	s_mov_b32 s8, 0
.LBB205_29:
	s_andn2_b64 vcc, exec, s[4:5]
	s_cbranch_vccnz .LBB205_32
; %bb.30:
	v_add_co_u32_e32 v2, vcc, s8, v2
	v_addc_co_u32_e32 v3, vcc, 0, v3, vcc
	v_lshlrev_b64 v[2:3], 2, v[2:3]
	v_mov_b32_e32 v1, s21
	v_add_co_u32_e32 v2, vcc, s20, v2
	s_sub_i32 s4, s12, s8
	v_addc_co_u32_e32 v3, vcc, v1, v3, vcc
.LBB205_31:                             ; =>This Inner Loop Header: Depth=1
	global_load_dword v1, v[2:3], off
	s_add_i32 s4, s4, -1
	s_cmp_lg_u32 s4, 0
	s_waitcnt vmcnt(0)
	v_mul_f32_e32 v1, v0, v1
	global_store_dword v[2:3], v1, off
	v_add_co_u32_e32 v2, vcc, 4, v2
	v_addc_co_u32_e32 v3, vcc, 0, v3, vcc
	s_cbranch_scc1 .LBB205_31
.LBB205_32:
	s_endpgm
	.section	.rodata,"a",@progbits
	.p2align	6, 0x0
	.amdhsa_kernel _ZN4vllm3moe17topkGatingSoftmaxIDF16_Li32ELi512ELi2ELi64ELb0ELi8ELNS0_23SharedExpertScoringFuncE1EEEvPKT_PKbPfiPiS9_iiiiii
		.amdhsa_group_segment_fixed_size 0
		.amdhsa_private_segment_fixed_size 144
		.amdhsa_kernarg_size 72
		.amdhsa_user_sgpr_count 8
		.amdhsa_user_sgpr_private_segment_buffer 1
		.amdhsa_user_sgpr_dispatch_ptr 0
		.amdhsa_user_sgpr_queue_ptr 0
		.amdhsa_user_sgpr_kernarg_segment_ptr 1
		.amdhsa_user_sgpr_dispatch_id 0
		.amdhsa_user_sgpr_flat_scratch_init 1
		.amdhsa_user_sgpr_kernarg_preload_length 0
		.amdhsa_user_sgpr_kernarg_preload_offset 0
		.amdhsa_user_sgpr_private_segment_size 0
		.amdhsa_uses_dynamic_stack 0
		.amdhsa_system_sgpr_private_segment_wavefront_offset 1
		.amdhsa_system_sgpr_workgroup_id_x 1
		.amdhsa_system_sgpr_workgroup_id_y 0
		.amdhsa_system_sgpr_workgroup_id_z 0
		.amdhsa_system_sgpr_workgroup_info 0
		.amdhsa_system_vgpr_workitem_id 1
		.amdhsa_next_free_vgpr 61
		.amdhsa_next_free_sgpr 29
		.amdhsa_accum_offset 64
		.amdhsa_reserve_vcc 1
		.amdhsa_reserve_flat_scratch 0
		.amdhsa_float_round_mode_32 0
		.amdhsa_float_round_mode_16_64 0
		.amdhsa_float_denorm_mode_32 3
		.amdhsa_float_denorm_mode_16_64 3
		.amdhsa_dx10_clamp 1
		.amdhsa_ieee_mode 1
		.amdhsa_fp16_overflow 0
		.amdhsa_tg_split 0
		.amdhsa_exception_fp_ieee_invalid_op 0
		.amdhsa_exception_fp_denorm_src 0
		.amdhsa_exception_fp_ieee_div_zero 0
		.amdhsa_exception_fp_ieee_overflow 0
		.amdhsa_exception_fp_ieee_underflow 0
		.amdhsa_exception_fp_ieee_inexact 0
		.amdhsa_exception_int_div_zero 0
	.end_amdhsa_kernel
	.section	.text._ZN4vllm3moe17topkGatingSoftmaxIDF16_Li32ELi512ELi2ELi64ELb0ELi8ELNS0_23SharedExpertScoringFuncE1EEEvPKT_PKbPfiPiS9_iiiiii,"axG",@progbits,_ZN4vllm3moe17topkGatingSoftmaxIDF16_Li32ELi512ELi2ELi64ELb0ELi8ELNS0_23SharedExpertScoringFuncE1EEEvPKT_PKbPfiPiS9_iiiiii,comdat
.Lfunc_end205:
	.size	_ZN4vllm3moe17topkGatingSoftmaxIDF16_Li32ELi512ELi2ELi64ELb0ELi8ELNS0_23SharedExpertScoringFuncE1EEEvPKT_PKbPfiPiS9_iiiiii, .Lfunc_end205-_ZN4vllm3moe17topkGatingSoftmaxIDF16_Li32ELi512ELi2ELi64ELb0ELi8ELNS0_23SharedExpertScoringFuncE1EEEvPKT_PKbPfiPiS9_iiiiii
                                        ; -- End function
	.section	.AMDGPU.csdata,"",@progbits
; Kernel info:
; codeLenInByte = 7472
; NumSgprs: 33
; NumVgprs: 61
; NumAgprs: 0
; TotalNumVgprs: 61
; ScratchSize: 144
; MemoryBound: 0
; FloatMode: 240
; IeeeMode: 1
; LDSByteSize: 0 bytes/workgroup (compile time only)
; SGPRBlocks: 4
; VGPRBlocks: 7
; NumSGPRsForWavesPerEU: 33
; NumVGPRsForWavesPerEU: 61
; AccumOffset: 64
; Occupancy: 8
; WaveLimiterHint : 0
; COMPUTE_PGM_RSRC2:SCRATCH_EN: 1
; COMPUTE_PGM_RSRC2:USER_SGPR: 8
; COMPUTE_PGM_RSRC2:TRAP_HANDLER: 0
; COMPUTE_PGM_RSRC2:TGID_X_EN: 1
; COMPUTE_PGM_RSRC2:TGID_Y_EN: 0
; COMPUTE_PGM_RSRC2:TGID_Z_EN: 0
; COMPUTE_PGM_RSRC2:TIDIG_COMP_CNT: 1
; COMPUTE_PGM_RSRC3_GFX90A:ACCUM_OFFSET: 15
; COMPUTE_PGM_RSRC3_GFX90A:TG_SPLIT: 0
	.section	.text._ZN4vllm3moe10moeSoftmaxIDF16_Li256EEEvPKT_PKbPfi,"axG",@progbits,_ZN4vllm3moe10moeSoftmaxIDF16_Li256EEEvPKT_PKbPfi,comdat
	.protected	_ZN4vllm3moe10moeSoftmaxIDF16_Li256EEEvPKT_PKbPfi ; -- Begin function _ZN4vllm3moe10moeSoftmaxIDF16_Li256EEEvPKT_PKbPfi
	.globl	_ZN4vllm3moe10moeSoftmaxIDF16_Li256EEEvPKT_PKbPfi
	.p2align	8
	.type	_ZN4vllm3moe10moeSoftmaxIDF16_Li256EEEvPKT_PKbPfi,@function
_ZN4vllm3moe10moeSoftmaxIDF16_Li256EEEvPKT_PKbPfi: ; @_ZN4vllm3moe10moeSoftmaxIDF16_Li256EEEvPKT_PKbPfi
; %bb.0:
	s_load_dwordx4 s[8:11], s[4:5], 0x0
	s_waitcnt lgkmcnt(0)
	s_cmp_eq_u64 s[10:11], 0
	s_cselect_b64 s[0:1], -1, 0
	s_and_b64 vcc, exec, s[0:1]
	s_cbranch_vccnz .LBB206_2
; %bb.1:
	v_mov_b32_e32 v1, s6
	global_load_ubyte v1, v1, s[10:11]
	s_waitcnt vmcnt(0)
	v_and_b32_e32 v1, 1, v1
	v_cmp_eq_u32_e32 vcc, 1, v1
	s_xor_b64 s[0:1], vcc, -1
.LBB206_2:
	s_andn2_b64 vcc, exec, s[0:1]
	s_cbranch_vccnz .LBB206_31
; %bb.3:
	s_load_dword s16, s[4:5], 0x18
	s_load_dwordx2 s[10:11], s[4:5], 0x10
	v_mov_b32_e32 v6, 0xff7fffff
	s_waitcnt lgkmcnt(0)
	s_mul_i32 s17, s6, s16
	v_add_u32_e32 v2, s17, v0
	v_cmp_gt_i32_e64 s[0:1], s16, v0
	v_ashrrev_i32_e32 v3, 31, v2
	s_and_saveexec_b64 s[2:3], s[0:1]
	s_cbranch_execz .LBB206_7
; %bb.4:
	v_lshlrev_b64 v[4:5], 1, v[2:3]
	v_mov_b32_e32 v1, s9
	v_add_co_u32_e32 v4, vcc, s8, v4
	v_addc_co_u32_e32 v5, vcc, v1, v5, vcc
	s_mov_b64 s[4:5], 0
	v_mov_b32_e32 v6, 0xff7fffff
	v_mov_b32_e32 v1, v0
.LBB206_5:                              ; =>This Inner Loop Header: Depth=1
	global_load_ushort v7, v[4:5], off
	v_add_co_u32_e32 v4, vcc, 0x200, v4
	v_add_u32_e32 v1, 0x100, v1
	v_addc_co_u32_e32 v5, vcc, 0, v5, vcc
	v_max_f32_e32 v6, v6, v6
	v_cmp_le_i32_e32 vcc, s16, v1
	s_or_b64 s[4:5], vcc, s[4:5]
	s_waitcnt vmcnt(0)
	v_cvt_f32_f16_e32 v7, v7
	v_max_f32_e32 v6, v7, v6
	s_andn2_b64 exec, exec, s[4:5]
	s_cbranch_execnz .LBB206_5
; %bb.6:
	s_or_b64 exec, exec, s[4:5]
.LBB206_7:
	s_or_b64 exec, exec, s[2:3]
	v_mov_b32_dpp v4, v6 quad_perm:[1,0,3,2] row_mask:0xf bank_mask:0xf
	v_cmp_gt_f32_e32 vcc, v6, v4
	v_cndmask_b32_e32 v4, v4, v6, vcc
	v_mbcnt_lo_u32_b32 v1, -1, 0
	v_mbcnt_hi_u32_b32 v1, -1, v1
	v_mov_b32_dpp v5, v4 quad_perm:[2,3,0,1] row_mask:0xf bank_mask:0xf
	v_cmp_gt_f32_e32 vcc, v4, v5
	v_cndmask_b32_e32 v4, v5, v4, vcc
	v_cmp_eq_u32_e64 s[2:3], 0, v1
	s_nop 0
	v_mov_b32_dpp v5, v4 row_ror:4 row_mask:0xf bank_mask:0xf
	v_cmp_gt_f32_e32 vcc, v4, v5
	v_cndmask_b32_e32 v4, v5, v4, vcc
	s_nop 1
	v_mov_b32_dpp v5, v4 row_ror:8 row_mask:0xf bank_mask:0xf
	v_cmp_gt_f32_e32 vcc, v4, v5
	v_cndmask_b32_e32 v4, v5, v4, vcc
	s_nop 1
	v_mov_b32_dpp v5, v4 row_bcast:15 row_mask:0xf bank_mask:0xf
	v_cmp_gt_f32_e32 vcc, v4, v5
	v_cndmask_b32_e32 v4, v5, v4, vcc
	s_nop 1
	v_mov_b32_dpp v5, v4 row_bcast:31 row_mask:0xf bank_mask:0xf
	v_cmp_gt_f32_e32 vcc, v4, v5
	v_cndmask_b32_e32 v4, v5, v4, vcc
	v_bfrev_b32_e32 v5, 0.5
	v_lshl_or_b32 v6, v1, 2, v5
	ds_bpermute_b32 v7, v6, v4
	v_lshrrev_b32_e32 v5, 4, v0
	s_and_saveexec_b64 s[4:5], s[2:3]
	s_cbranch_execz .LBB206_9
; %bb.8:
	v_and_b32_e32 v4, 12, v5
	s_waitcnt lgkmcnt(0)
	ds_write_b32 v4, v7
.LBB206_9:
	s_or_b64 exec, exec, s[4:5]
	v_cmp_gt_u32_e64 s[4:5], 64, v0
	v_and_b32_e32 v4, 3, v1
	s_waitcnt lgkmcnt(0)
	s_barrier
	s_and_saveexec_b64 s[6:7], s[4:5]
	s_cbranch_execz .LBB206_11
; %bb.10:
	v_lshlrev_b32_e32 v7, 2, v4
	ds_read_b32 v7, v7
	v_cmp_ne_u32_e32 vcc, 3, v4
	v_addc_co_u32_e32 v8, vcc, 0, v1, vcc
	v_lshlrev_b32_e32 v8, 2, v8
	s_waitcnt lgkmcnt(0)
	ds_bpermute_b32 v8, v8, v7
	v_cmp_gt_u32_e32 vcc, 2, v4
	v_cndmask_b32_e64 v9, 0, 1, vcc
	v_lshlrev_b32_e32 v9, 1, v9
	s_waitcnt lgkmcnt(0)
	v_cmp_lt_f32_e32 vcc, v7, v8
	v_cndmask_b32_e32 v7, v7, v8, vcc
	v_add_lshl_u32 v8, v9, v1, 2
	ds_bpermute_b32 v8, v8, v7
	s_waitcnt lgkmcnt(0)
	v_cmp_lt_f32_e32 vcc, v7, v8
	v_cndmask_b32_e32 v7, v7, v8, vcc
.LBB206_11:
	s_or_b64 exec, exec, s[6:7]
	v_cmp_eq_u32_e64 s[6:7], 0, v0
	s_and_saveexec_b64 s[12:13], s[6:7]
	s_cbranch_execz .LBB206_13
; %bb.12:
	v_mov_b32_e32 v8, 0
	ds_write_b32 v8, v7 offset:20
.LBB206_13:
	s_or_b64 exec, exec, s[12:13]
	v_mov_b32_e32 v7, 0
	s_waitcnt lgkmcnt(0)
	s_barrier
	s_and_saveexec_b64 s[12:13], s[0:1]
	s_cbranch_execz .LBB206_17
; %bb.14:
	v_mov_b32_e32 v7, 0
	ds_read_b32 v8, v7 offset:20
	v_lshlrev_b64 v[2:3], 1, v[2:3]
	v_mov_b32_e32 v9, s9
	v_add_co_u32_e32 v2, vcc, s8, v2
	v_addc_co_u32_e32 v3, vcc, v9, v3, vcc
	s_mov_b64 s[14:15], 0
	s_mov_b32 s18, 0x3fb8aa3b
	s_mov_b32 s19, 0xc2ce8ed0
	;; [unrolled: 1-line block ×3, first 2 shown]
	v_mov_b32_e32 v9, 0x7f800000
	v_mov_b32_e32 v10, v0
.LBB206_15:                             ; =>This Inner Loop Header: Depth=1
	global_load_ushort v11, v[2:3], off
	v_add_co_u32_e32 v2, vcc, 0x200, v2
	v_add_u32_e32 v10, 0x100, v10
	v_addc_co_u32_e32 v3, vcc, 0, v3, vcc
	v_cmp_le_i32_e32 vcc, s16, v10
	s_or_b64 s[14:15], vcc, s[14:15]
	s_waitcnt vmcnt(0)
	v_cvt_f32_f16_e32 v11, v11
	s_waitcnt lgkmcnt(0)
	v_sub_f32_e32 v11, v11, v8
	v_mul_f32_e32 v12, 0x3fb8aa3b, v11
	v_fma_f32 v13, v11, s18, -v12
	v_rndne_f32_e32 v14, v12
	v_fmac_f32_e32 v13, 0x32a5705f, v11
	v_sub_f32_e32 v12, v12, v14
	v_add_f32_e32 v12, v12, v13
	v_cvt_i32_f32_e32 v14, v14
	v_exp_f32_e32 v12, v12
	v_cmp_ngt_f32_e32 vcc, s19, v11
	v_ldexp_f32 v12, v12, v14
	v_cndmask_b32_e32 v12, 0, v12, vcc
	v_cmp_nlt_f32_e32 vcc, s20, v11
	v_cndmask_b32_e32 v11, v9, v12, vcc
	v_add_f32_e32 v7, v7, v11
	s_andn2_b64 exec, exec, s[14:15]
	s_cbranch_execnz .LBB206_15
; %bb.16:
	s_or_b64 exec, exec, s[14:15]
.LBB206_17:
	s_or_b64 exec, exec, s[12:13]
	v_mov_b32_dpp v2, v7 quad_perm:[1,0,3,2] row_mask:0xf bank_mask:0xf
	v_add_f32_e32 v2, v7, v2
	s_nop 1
	v_mov_b32_dpp v3, v2 quad_perm:[2,3,0,1] row_mask:0xf bank_mask:0xf
	v_add_f32_e32 v2, v2, v3
	s_nop 1
	v_mov_b32_dpp v3, v2 row_ror:4 row_mask:0xf bank_mask:0xf
	v_add_f32_e32 v2, v2, v3
	s_nop 1
	v_mov_b32_dpp v3, v2 row_ror:8 row_mask:0xf bank_mask:0xf
	v_add_f32_e32 v2, v2, v3
	s_nop 1
	v_mov_b32_dpp v3, v2 row_bcast:15 row_mask:0xf bank_mask:0xf
	v_add_f32_e32 v2, v2, v3
	s_nop 1
	v_mov_b32_dpp v3, v2 row_bcast:31 row_mask:0xf bank_mask:0xf
	v_add_f32_e32 v2, v2, v3
	ds_bpermute_b32 v2, v6, v2
	s_and_saveexec_b64 s[12:13], s[2:3]
	s_cbranch_execz .LBB206_19
; %bb.18:
	v_and_b32_e32 v3, 12, v5
	s_waitcnt lgkmcnt(0)
	ds_write_b32 v3, v2
.LBB206_19:
	s_or_b64 exec, exec, s[12:13]
	s_waitcnt lgkmcnt(0)
	s_barrier
	s_and_saveexec_b64 s[2:3], s[4:5]
	s_cbranch_execz .LBB206_21
; %bb.20:
	v_lshlrev_b32_e32 v2, 2, v4
	ds_read_b32 v2, v2
	v_cmp_ne_u32_e32 vcc, 3, v4
	v_addc_co_u32_e32 v3, vcc, 0, v1, vcc
	v_lshlrev_b32_e32 v3, 2, v3
	s_waitcnt lgkmcnt(0)
	ds_bpermute_b32 v3, v3, v2
	v_cmp_gt_u32_e32 vcc, 2, v4
	v_cndmask_b32_e64 v4, 0, 1, vcc
	v_lshlrev_b32_e32 v4, 1, v4
	v_add_lshl_u32 v1, v4, v1, 2
	s_waitcnt lgkmcnt(0)
	v_add_f32_e32 v2, v2, v3
	ds_bpermute_b32 v1, v1, v2
	s_waitcnt lgkmcnt(0)
	v_add_f32_e32 v2, v2, v1
.LBB206_21:
	s_or_b64 exec, exec, s[2:3]
	s_and_saveexec_b64 s[2:3], s[6:7]
	s_cbranch_execz .LBB206_23
; %bb.22:
	v_div_scale_f32 v1, s[4:5], v2, v2, 1.0
	v_rcp_f32_e32 v3, v1
	v_div_scale_f32 v4, vcc, 1.0, v2, 1.0
	v_fma_f32 v5, -v1, v3, 1.0
	v_fmac_f32_e32 v3, v5, v3
	v_mul_f32_e32 v5, v4, v3
	v_fma_f32 v6, -v1, v5, v4
	v_fmac_f32_e32 v5, v6, v3
	v_fma_f32 v1, -v1, v5, v4
	v_div_fmas_f32 v1, v1, v3, v5
	v_div_fixup_f32 v1, v1, v2, 1.0
	v_mov_b32_e32 v2, 0
	ds_write_b32 v2, v1 offset:16
.LBB206_23:
	s_or_b64 exec, exec, s[2:3]
	s_waitcnt lgkmcnt(0)
	s_barrier
	s_and_saveexec_b64 s[2:3], s[0:1]
	s_cbranch_execz .LBB206_31
; %bb.24:
	v_mov_b32_e32 v1, 0
	ds_read_b64 v[2:3], v1 offset:16
	v_xad_u32 v1, v0, -1, s16
	s_movk_i32 s0, 0xff
	v_cmp_lt_u32_e32 vcc, s0, v1
	s_mov_b64 s[0:1], -1
	s_and_saveexec_b64 s[2:3], vcc
	s_cbranch_execz .LBB206_28
; %bb.25:
	v_lshrrev_b32_e32 v1, 8, v1
	v_add_u32_e32 v10, 1, v1
	v_and_b32_e32 v11, 0x1fffffe, v10
	v_or_b32_e32 v1, 0x100, v0
	s_mov_b32 s6, s17
	s_waitcnt lgkmcnt(0)
	v_mov_b32_e32 v4, v3
	v_mov_b32_e32 v5, v3
	;; [unrolled: 1-line block ×4, first 2 shown]
	s_mov_b64 s[4:5], 0
	v_mov_b32_e32 v12, s9
	s_mov_b32 s7, 0x3fb8aa3b
	s_mov_b32 s12, 0xc2ce8ed0
	;; [unrolled: 1-line block ×3, first 2 shown]
	v_mov_b32_e32 v13, 0x7f800000
	v_mov_b32_e32 v14, s11
	;; [unrolled: 1-line block ×3, first 2 shown]
	v_pk_mov_b32 v[8:9], v[0:1], v[0:1] op_sel:[0,1]
.LBB206_26:                             ; =>This Inner Loop Header: Depth=1
	v_add_u32_e32 v16, s17, v8
	v_ashrrev_i32_e32 v17, 31, v16
	v_add_u32_e32 v18, s6, v9
	v_lshlrev_b64 v[20:21], 1, v[16:17]
	v_ashrrev_i32_e32 v19, 31, v18
	v_add_co_u32_e32 v20, vcc, s8, v20
	v_lshlrev_b64 v[22:23], 1, v[18:19]
	v_addc_co_u32_e32 v21, vcc, v12, v21, vcc
	v_add_co_u32_e32 v22, vcc, s8, v22
	v_addc_co_u32_e32 v23, vcc, v12, v23, vcc
	global_load_ushort v1, v[22:23], off
	global_load_ushort v24, v[20:21], off
	v_add_u32_e32 v15, -2, v15
	v_cmp_eq_u32_e32 vcc, 0, v15
	v_lshlrev_b64 v[16:17], 2, v[16:17]
	s_or_b64 s[4:5], vcc, s[4:5]
	v_add_co_u32_e32 v16, vcc, s10, v16
	v_lshlrev_b64 v[18:19], 2, v[18:19]
	v_addc_co_u32_e32 v17, vcc, v14, v17, vcc
	v_add_co_u32_e32 v18, vcc, s10, v18
	v_addc_co_u32_e32 v19, vcc, v14, v19, vcc
	v_add_u32_e32 v9, 0x200, v9
	v_add_u32_e32 v8, 0x200, v8
	s_waitcnt vmcnt(1)
	v_cvt_f32_f16_e32 v21, v1
	s_waitcnt vmcnt(0)
	v_cvt_f32_f16_e32 v20, v24
	v_pk_add_f32 v[20:21], v[20:21], v[4:5] neg_lo:[0,1] neg_hi:[0,1]
	v_mul_f32_e32 v1, 0x3fb8aa3b, v21
	v_mul_f32_e32 v22, 0x3fb8aa3b, v20
	v_fma_f32 v23, v21, s7, -v1
	v_rndne_f32_e32 v24, v1
	v_fma_f32 v25, v20, s7, -v22
	v_rndne_f32_e32 v26, v22
	v_fmac_f32_e32 v23, 0x32a5705f, v21
	v_sub_f32_e32 v1, v1, v24
	v_fmac_f32_e32 v25, 0x32a5705f, v20
	v_sub_f32_e32 v22, v22, v26
	v_add_f32_e32 v1, v1, v23
	v_add_f32_e32 v22, v22, v25
	v_cvt_i32_f32_e32 v24, v24
	v_cvt_i32_f32_e32 v26, v26
	v_exp_f32_e32 v1, v1
	v_exp_f32_e32 v22, v22
	v_cmp_ngt_f32_e32 vcc, s12, v20
	v_cmp_ngt_f32_e64 s[0:1], s12, v21
	v_ldexp_f32 v1, v1, v24
	v_ldexp_f32 v22, v22, v26
	v_cndmask_b32_e64 v1, 0, v1, s[0:1]
	v_cndmask_b32_e32 v22, 0, v22, vcc
	v_cmp_nlt_f32_e32 vcc, s13, v20
	v_cmp_nlt_f32_e64 s[0:1], s13, v21
	v_cndmask_b32_e64 v21, v13, v1, s[0:1]
	v_cndmask_b32_e32 v20, v13, v22, vcc
	v_pk_mul_f32 v[20:21], v[6:7], v[20:21]
	global_store_dword v[16:17], v20, off
	global_store_dword v[18:19], v21, off
	s_andn2_b64 exec, exec, s[4:5]
	s_cbranch_execnz .LBB206_26
; %bb.27:
	s_or_b64 exec, exec, s[4:5]
	v_cmp_ne_u32_e32 vcc, v10, v11
	v_lshl_or_b32 v0, v11, 8, v0
	s_orn2_b64 s[0:1], vcc, exec
.LBB206_28:
	s_or_b64 exec, exec, s[2:3]
	s_and_b64 exec, exec, s[0:1]
	s_cbranch_execz .LBB206_31
; %bb.29:
	s_ashr_i32 s0, s17, 31
	v_ashrrev_i32_e32 v1, 31, v0
	v_mov_b32_e32 v4, s0
	v_add_co_u32_e32 v6, vcc, s17, v0
	v_addc_co_u32_e32 v7, vcc, v1, v4, vcc
	v_lshlrev_b64 v[4:5], 1, v[6:7]
	v_mov_b32_e32 v1, s9
	v_add_co_u32_e32 v4, vcc, s8, v4
	v_addc_co_u32_e32 v5, vcc, v1, v5, vcc
	v_lshlrev_b64 v[6:7], 2, v[6:7]
	v_mov_b32_e32 v1, s11
	v_add_co_u32_e32 v6, vcc, s10, v6
	v_addc_co_u32_e32 v7, vcc, v1, v7, vcc
	s_mov_b64 s[0:1], 0
	s_mov_b32 s2, 0x3fb8aa3b
	s_mov_b32 s3, 0xc2ce8ed0
	;; [unrolled: 1-line block ×3, first 2 shown]
	v_mov_b32_e32 v1, 0x7f800000
.LBB206_30:                             ; =>This Inner Loop Header: Depth=1
	global_load_ushort v8, v[4:5], off
	v_add_co_u32_e32 v4, vcc, 0x200, v4
	v_add_u32_e32 v0, 0x100, v0
	v_addc_co_u32_e32 v5, vcc, 0, v5, vcc
	v_cmp_le_i32_e32 vcc, s16, v0
	s_or_b64 s[0:1], vcc, s[0:1]
	s_waitcnt vmcnt(0)
	v_cvt_f32_f16_e32 v8, v8
	s_waitcnt lgkmcnt(0)
	v_sub_f32_e32 v8, v8, v3
	v_mul_f32_e32 v9, 0x3fb8aa3b, v8
	v_fma_f32 v10, v8, s2, -v9
	v_rndne_f32_e32 v11, v9
	v_fmac_f32_e32 v10, 0x32a5705f, v8
	v_sub_f32_e32 v9, v9, v11
	v_add_f32_e32 v9, v9, v10
	v_cvt_i32_f32_e32 v11, v11
	v_exp_f32_e32 v9, v9
	v_cmp_ngt_f32_e32 vcc, s3, v8
	v_ldexp_f32 v9, v9, v11
	v_cndmask_b32_e32 v9, 0, v9, vcc
	v_cmp_nlt_f32_e32 vcc, s4, v8
	v_cndmask_b32_e32 v8, v1, v9, vcc
	v_mul_f32_e32 v8, v2, v8
	global_store_dword v[6:7], v8, off
	v_add_co_u32_e32 v6, vcc, 0x400, v6
	v_addc_co_u32_e32 v7, vcc, 0, v7, vcc
	s_andn2_b64 exec, exec, s[0:1]
	s_cbranch_execnz .LBB206_30
.LBB206_31:
	s_endpgm
	.section	.rodata,"a",@progbits
	.p2align	6, 0x0
	.amdhsa_kernel _ZN4vllm3moe10moeSoftmaxIDF16_Li256EEEvPKT_PKbPfi
		.amdhsa_group_segment_fixed_size 24
		.amdhsa_private_segment_fixed_size 0
		.amdhsa_kernarg_size 28
		.amdhsa_user_sgpr_count 6
		.amdhsa_user_sgpr_private_segment_buffer 1
		.amdhsa_user_sgpr_dispatch_ptr 0
		.amdhsa_user_sgpr_queue_ptr 0
		.amdhsa_user_sgpr_kernarg_segment_ptr 1
		.amdhsa_user_sgpr_dispatch_id 0
		.amdhsa_user_sgpr_flat_scratch_init 0
		.amdhsa_user_sgpr_kernarg_preload_length 0
		.amdhsa_user_sgpr_kernarg_preload_offset 0
		.amdhsa_user_sgpr_private_segment_size 0
		.amdhsa_uses_dynamic_stack 0
		.amdhsa_system_sgpr_private_segment_wavefront_offset 0
		.amdhsa_system_sgpr_workgroup_id_x 1
		.amdhsa_system_sgpr_workgroup_id_y 0
		.amdhsa_system_sgpr_workgroup_id_z 0
		.amdhsa_system_sgpr_workgroup_info 0
		.amdhsa_system_vgpr_workitem_id 0
		.amdhsa_next_free_vgpr 27
		.amdhsa_next_free_sgpr 21
		.amdhsa_accum_offset 28
		.amdhsa_reserve_vcc 1
		.amdhsa_reserve_flat_scratch 0
		.amdhsa_float_round_mode_32 0
		.amdhsa_float_round_mode_16_64 0
		.amdhsa_float_denorm_mode_32 3
		.amdhsa_float_denorm_mode_16_64 3
		.amdhsa_dx10_clamp 1
		.amdhsa_ieee_mode 1
		.amdhsa_fp16_overflow 0
		.amdhsa_tg_split 0
		.amdhsa_exception_fp_ieee_invalid_op 0
		.amdhsa_exception_fp_denorm_src 0
		.amdhsa_exception_fp_ieee_div_zero 0
		.amdhsa_exception_fp_ieee_overflow 0
		.amdhsa_exception_fp_ieee_underflow 0
		.amdhsa_exception_fp_ieee_inexact 0
		.amdhsa_exception_int_div_zero 0
	.end_amdhsa_kernel
	.section	.text._ZN4vllm3moe10moeSoftmaxIDF16_Li256EEEvPKT_PKbPfi,"axG",@progbits,_ZN4vllm3moe10moeSoftmaxIDF16_Li256EEEvPKT_PKbPfi,comdat
.Lfunc_end206:
	.size	_ZN4vllm3moe10moeSoftmaxIDF16_Li256EEEvPKT_PKbPfi, .Lfunc_end206-_ZN4vllm3moe10moeSoftmaxIDF16_Li256EEEvPKT_PKbPfi
                                        ; -- End function
	.section	.AMDGPU.csdata,"",@progbits
; Kernel info:
; codeLenInByte = 1904
; NumSgprs: 25
; NumVgprs: 27
; NumAgprs: 0
; TotalNumVgprs: 27
; ScratchSize: 0
; MemoryBound: 0
; FloatMode: 240
; IeeeMode: 1
; LDSByteSize: 24 bytes/workgroup (compile time only)
; SGPRBlocks: 3
; VGPRBlocks: 3
; NumSGPRsForWavesPerEU: 25
; NumVGPRsForWavesPerEU: 27
; AccumOffset: 28
; Occupancy: 8
; WaveLimiterHint : 0
; COMPUTE_PGM_RSRC2:SCRATCH_EN: 0
; COMPUTE_PGM_RSRC2:USER_SGPR: 6
; COMPUTE_PGM_RSRC2:TRAP_HANDLER: 0
; COMPUTE_PGM_RSRC2:TGID_X_EN: 1
; COMPUTE_PGM_RSRC2:TGID_Y_EN: 0
; COMPUTE_PGM_RSRC2:TGID_Z_EN: 0
; COMPUTE_PGM_RSRC2:TIDIG_COMP_CNT: 0
; COMPUTE_PGM_RSRC3_GFX90A:ACCUM_OFFSET: 6
; COMPUTE_PGM_RSRC3_GFX90A:TG_SPLIT: 0
	.section	.text._ZN4vllm3moe24applySharedExpertSigmoidIDF16_Li256EEEvPKT_Pfiiiii,"axG",@progbits,_ZN4vllm3moe24applySharedExpertSigmoidIDF16_Li256EEEvPKT_Pfiiiii,comdat
	.protected	_ZN4vllm3moe24applySharedExpertSigmoidIDF16_Li256EEEvPKT_Pfiiiii ; -- Begin function _ZN4vllm3moe24applySharedExpertSigmoidIDF16_Li256EEEvPKT_Pfiiiii
	.globl	_ZN4vllm3moe24applySharedExpertSigmoidIDF16_Li256EEEvPKT_Pfiiiii
	.p2align	8
	.type	_ZN4vllm3moe24applySharedExpertSigmoidIDF16_Li256EEEvPKT_Pfiiiii,@function
_ZN4vllm3moe24applySharedExpertSigmoidIDF16_Li256EEEvPKT_Pfiiiii: ; @_ZN4vllm3moe24applySharedExpertSigmoidIDF16_Li256EEEvPKT_Pfiiiii
; %bb.0:
	s_load_dwordx4 s[8:11], s[4:5], 0x10
	s_waitcnt lgkmcnt(0)
	s_cmp_ge_i32 s6, s8
	s_cbranch_scc1 .LBB207_11
; %bb.1:
	s_load_dword s0, s[4:5], 0x20
	v_cmp_gt_i32_e32 vcc, s9, v0
	s_and_saveexec_b64 s[2:3], vcc
	s_cbranch_execz .LBB207_11
; %bb.2:
	s_load_dwordx4 s[12:15], s[4:5], 0x0
	s_mul_i32 s1, s6, s10
	s_waitcnt lgkmcnt(0)
	s_add_i32 s8, s1, s0
	v_xad_u32 v1, v0, -1, s9
	s_movk_i32 s0, 0x900
	v_cmp_gt_u32_e64 s[2:3], s0, v1
	s_movk_i32 s0, 0x8ff
	s_mul_i32 s16, s6, s11
	v_cmp_lt_u32_e32 vcc, s0, v1
	s_and_saveexec_b64 s[4:5], vcc
	s_cbranch_execz .LBB207_8
; %bb.3:
	v_and_b32_e32 v2, 0xffffff00, v1
	v_add_u32_e32 v3, s8, v0
	v_add_u32_e32 v2, v3, v2
	v_cmp_ge_i32_e32 vcc, v2, v3
	s_mov_b64 s[0:1], -1
	s_and_saveexec_b64 s[6:7], vcc
	s_cbranch_execz .LBB207_7
; %bb.4:
	v_lshrrev_b32_e32 v1, 8, v1
	v_add_u32_e32 v4, 1, v1
	v_and_b32_e32 v5, 0x1fffffe, v4
	v_or_b32_e32 v1, 0x100, v0
	s_mov_b32 s17, s8
	s_mov_b32 s18, s16
	s_mov_b64 s[10:11], 0
	v_mov_b32_e32 v6, s13
	s_mov_b32 s19, 0x3fb8aa3b
	s_mov_b32 s20, 0x32a5705f
	s_mov_b32 s21, 0xc2ce8ed0
	s_mov_b32 s22, 0x42b17218
	v_mov_b32_e32 v7, 0x7f800000
	v_mov_b32_e32 v8, s15
	;; [unrolled: 1-line block ×3, first 2 shown]
	v_pk_mov_b32 v[2:3], v[0:1], v[0:1] op_sel:[0,1]
.LBB207_5:                              ; =>This Inner Loop Header: Depth=1
	v_add_u32_e32 v10, s8, v2
	v_ashrrev_i32_e32 v11, 31, v10
	v_add_u32_e32 v12, s17, v3
	v_lshlrev_b64 v[10:11], 1, v[10:11]
	v_ashrrev_i32_e32 v13, 31, v12
	v_add_co_u32_e32 v10, vcc, s12, v10
	v_lshlrev_b64 v[12:13], 1, v[12:13]
	v_addc_co_u32_e32 v11, vcc, v6, v11, vcc
	v_add_co_u32_e32 v12, vcc, s12, v12
	v_addc_co_u32_e32 v13, vcc, v6, v13, vcc
	global_load_ushort v1, v[12:13], off
	global_load_ushort v14, v[10:11], off
	v_add_u32_e32 v10, s16, v2
	v_add_u32_e32 v9, -2, v9
	v_ashrrev_i32_e32 v11, 31, v10
	v_add_u32_e32 v12, s18, v3
	v_cmp_eq_u32_e32 vcc, 0, v9
	v_lshlrev_b64 v[10:11], 2, v[10:11]
	v_ashrrev_i32_e32 v13, 31, v12
	s_or_b64 s[10:11], vcc, s[10:11]
	v_add_co_u32_e32 v10, vcc, s14, v10
	v_lshlrev_b64 v[12:13], 2, v[12:13]
	v_addc_co_u32_e32 v11, vcc, v8, v11, vcc
	v_add_co_u32_e32 v12, vcc, s14, v12
	v_addc_co_u32_e32 v13, vcc, v8, v13, vcc
	v_add_u32_e32 v3, 0x200, v3
	v_add_u32_e32 v2, 0x200, v2
	s_waitcnt vmcnt(1)
	v_cvt_f32_f16_e64 v15, -v1
	s_waitcnt vmcnt(0)
	v_cvt_f32_f16_e64 v16, -v14
	v_mul_f32_e32 v17, 0x3fb8aa3b, v15
	v_mul_f32_e32 v18, 0x3fb8aa3b, v16
	v_fma_mix_f32 v19, -v1, s19, -v17 op_sel_hi:[1,0,0]
	v_rndne_f32_e32 v20, v17
	v_fma_mix_f32 v21, -v14, s19, -v18 op_sel_hi:[1,0,0]
	v_rndne_f32_e32 v22, v18
	v_fma_mix_f32 v1, -v1, s20, v19 op_sel_hi:[1,0,0]
	v_sub_f32_e32 v17, v17, v20
	v_fma_mix_f32 v14, -v14, s20, v21 op_sel_hi:[1,0,0]
	v_sub_f32_e32 v18, v18, v22
	v_add_f32_e32 v1, v17, v1
	v_add_f32_e32 v14, v18, v14
	v_cvt_i32_f32_e32 v19, v20
	v_cvt_i32_f32_e32 v20, v22
	v_exp_f32_e32 v1, v1
	v_exp_f32_e32 v14, v14
	v_cmp_ngt_f32_e32 vcc, s21, v16
	v_cmp_ngt_f32_e64 s[0:1], s21, v15
	v_ldexp_f32 v1, v1, v19
	v_ldexp_f32 v14, v14, v20
	v_cndmask_b32_e64 v1, 0, v1, s[0:1]
	v_cndmask_b32_e32 v14, 0, v14, vcc
	v_cmp_nlt_f32_e32 vcc, s22, v16
	v_cmp_nlt_f32_e64 s[0:1], s22, v15
	v_cndmask_b32_e64 v15, v7, v1, s[0:1]
	v_cndmask_b32_e32 v14, v7, v14, vcc
	v_pk_add_f32 v[14:15], v[14:15], 1.0 op_sel_hi:[1,0]
	v_div_scale_f32 v1, s[0:1], v15, v15, 1.0
	v_div_scale_f32 v17, s[0:1], v14, v14, 1.0
	v_rcp_f32_e32 v19, v1
	v_rcp_f32_e32 v20, v17
	v_div_scale_f32 v16, vcc, 1.0, v15, 1.0
	v_fma_f32 v21, -v1, v19, 1.0
	v_fma_f32 v22, -v17, v20, 1.0
	v_fmac_f32_e32 v19, v21, v19
	v_div_scale_f32 v18, s[0:1], 1.0, v14, 1.0
	v_fmac_f32_e32 v20, v22, v20
	v_mul_f32_e32 v21, v16, v19
	v_mul_f32_e32 v22, v18, v20
	v_fma_f32 v23, -v1, v21, v16
	v_fma_f32 v24, -v17, v22, v18
	v_fmac_f32_e32 v21, v23, v19
	v_fmac_f32_e32 v22, v24, v20
	v_fma_f32 v1, -v1, v21, v16
	v_fma_f32 v16, -v17, v22, v18
	v_div_fmas_f32 v1, v1, v19, v21
	s_mov_b64 vcc, s[0:1]
	v_div_fixup_f32 v1, v1, v15, 1.0
	v_div_fmas_f32 v15, v16, v20, v22
	v_div_fixup_f32 v14, v15, v14, 1.0
	global_store_dword v[10:11], v14, off
	global_store_dword v[12:13], v1, off
	s_andn2_b64 exec, exec, s[10:11]
	s_cbranch_execnz .LBB207_5
; %bb.6:
	s_or_b64 exec, exec, s[10:11]
	v_cmp_ne_u32_e32 vcc, v4, v5
	v_lshl_or_b32 v0, v5, 8, v0
	s_orn2_b64 s[0:1], vcc, exec
.LBB207_7:
	s_or_b64 exec, exec, s[6:7]
	s_andn2_b64 s[2:3], s[2:3], exec
	s_and_b64 s[0:1], s[0:1], exec
	s_or_b64 s[2:3], s[2:3], s[0:1]
.LBB207_8:
	s_or_b64 exec, exec, s[4:5]
	s_and_b64 exec, exec, s[2:3]
	s_cbranch_execz .LBB207_11
; %bb.9:
	s_ashr_i32 s0, s16, 31
	v_ashrrev_i32_e32 v1, 31, v0
	v_mov_b32_e32 v3, s0
	v_add_co_u32_e32 v2, vcc, s16, v0
	v_addc_co_u32_e32 v3, vcc, v1, v3, vcc
	v_lshlrev_b64 v[2:3], 2, v[2:3]
	v_mov_b32_e32 v1, s15
	v_add_co_u32_e32 v2, vcc, s14, v2
	v_addc_co_u32_e32 v3, vcc, v1, v3, vcc
	s_mov_b64 s[0:1], 0
	v_mov_b32_e32 v1, s13
	s_mov_b32 s2, 0x3fb8aa3b
	s_mov_b32 s3, 0x32a5705f
	;; [unrolled: 1-line block ×4, first 2 shown]
	v_mov_b32_e32 v4, 0x7f800000
.LBB207_10:                             ; =>This Inner Loop Header: Depth=1
	v_add_u32_e32 v6, s8, v0
	v_ashrrev_i32_e32 v7, 31, v6
	v_lshlrev_b64 v[6:7], 1, v[6:7]
	v_add_co_u32_e32 v6, vcc, s12, v6
	v_addc_co_u32_e32 v7, vcc, v1, v7, vcc
	global_load_ushort v5, v[6:7], off
	v_add_u32_e32 v0, 0x100, v0
	v_cmp_le_i32_e32 vcc, s9, v0
	s_or_b64 s[0:1], vcc, s[0:1]
	s_waitcnt vmcnt(0)
	v_cvt_f32_f16_e64 v6, -v5
	v_mul_f32_e32 v7, 0x3fb8aa3b, v6
	v_fma_mix_f32 v8, -v5, s2, -v7 op_sel_hi:[1,0,0]
	v_rndne_f32_e32 v9, v7
	v_fma_mix_f32 v5, -v5, s3, v8 op_sel_hi:[1,0,0]
	v_sub_f32_e32 v7, v7, v9
	v_add_f32_e32 v5, v7, v5
	v_cvt_i32_f32_e32 v8, v9
	v_exp_f32_e32 v5, v5
	v_cmp_ngt_f32_e32 vcc, s4, v6
	v_ldexp_f32 v5, v5, v8
	v_cndmask_b32_e32 v5, 0, v5, vcc
	v_cmp_nlt_f32_e32 vcc, s5, v6
	v_cndmask_b32_e32 v5, v4, v5, vcc
	v_add_f32_e32 v5, 1.0, v5
	v_div_scale_f32 v6, s[6:7], v5, v5, 1.0
	v_rcp_f32_e32 v8, v6
	v_div_scale_f32 v7, vcc, 1.0, v5, 1.0
	v_fma_f32 v9, -v6, v8, 1.0
	v_fmac_f32_e32 v8, v9, v8
	v_mul_f32_e32 v9, v7, v8
	v_fma_f32 v10, -v6, v9, v7
	v_fmac_f32_e32 v9, v10, v8
	v_fma_f32 v6, -v6, v9, v7
	v_div_fmas_f32 v6, v6, v8, v9
	v_div_fixup_f32 v5, v6, v5, 1.0
	global_store_dword v[2:3], v5, off
	v_add_co_u32_e32 v2, vcc, 0x400, v2
	v_addc_co_u32_e32 v3, vcc, 0, v3, vcc
	s_andn2_b64 exec, exec, s[0:1]
	s_cbranch_execnz .LBB207_10
.LBB207_11:
	s_endpgm
	.section	.rodata,"a",@progbits
	.p2align	6, 0x0
	.amdhsa_kernel _ZN4vllm3moe24applySharedExpertSigmoidIDF16_Li256EEEvPKT_Pfiiiii
		.amdhsa_group_segment_fixed_size 0
		.amdhsa_private_segment_fixed_size 0
		.amdhsa_kernarg_size 36
		.amdhsa_user_sgpr_count 6
		.amdhsa_user_sgpr_private_segment_buffer 1
		.amdhsa_user_sgpr_dispatch_ptr 0
		.amdhsa_user_sgpr_queue_ptr 0
		.amdhsa_user_sgpr_kernarg_segment_ptr 1
		.amdhsa_user_sgpr_dispatch_id 0
		.amdhsa_user_sgpr_flat_scratch_init 0
		.amdhsa_user_sgpr_kernarg_preload_length 0
		.amdhsa_user_sgpr_kernarg_preload_offset 0
		.amdhsa_user_sgpr_private_segment_size 0
		.amdhsa_uses_dynamic_stack 0
		.amdhsa_system_sgpr_private_segment_wavefront_offset 0
		.amdhsa_system_sgpr_workgroup_id_x 1
		.amdhsa_system_sgpr_workgroup_id_y 0
		.amdhsa_system_sgpr_workgroup_id_z 0
		.amdhsa_system_sgpr_workgroup_info 0
		.amdhsa_system_vgpr_workitem_id 0
		.amdhsa_next_free_vgpr 25
		.amdhsa_next_free_sgpr 23
		.amdhsa_accum_offset 28
		.amdhsa_reserve_vcc 1
		.amdhsa_reserve_flat_scratch 0
		.amdhsa_float_round_mode_32 0
		.amdhsa_float_round_mode_16_64 0
		.amdhsa_float_denorm_mode_32 3
		.amdhsa_float_denorm_mode_16_64 3
		.amdhsa_dx10_clamp 1
		.amdhsa_ieee_mode 1
		.amdhsa_fp16_overflow 0
		.amdhsa_tg_split 0
		.amdhsa_exception_fp_ieee_invalid_op 0
		.amdhsa_exception_fp_denorm_src 0
		.amdhsa_exception_fp_ieee_div_zero 0
		.amdhsa_exception_fp_ieee_overflow 0
		.amdhsa_exception_fp_ieee_underflow 0
		.amdhsa_exception_fp_ieee_inexact 0
		.amdhsa_exception_int_div_zero 0
	.end_amdhsa_kernel
	.section	.text._ZN4vllm3moe24applySharedExpertSigmoidIDF16_Li256EEEvPKT_Pfiiiii,"axG",@progbits,_ZN4vllm3moe24applySharedExpertSigmoidIDF16_Li256EEEvPKT_Pfiiiii,comdat
.Lfunc_end207:
	.size	_ZN4vllm3moe24applySharedExpertSigmoidIDF16_Li256EEEvPKT_Pfiiiii, .Lfunc_end207-_ZN4vllm3moe24applySharedExpertSigmoidIDF16_Li256EEEvPKT_Pfiiiii
                                        ; -- End function
	.section	.AMDGPU.csdata,"",@progbits
; Kernel info:
; codeLenInByte = 1096
; NumSgprs: 27
; NumVgprs: 25
; NumAgprs: 0
; TotalNumVgprs: 25
; ScratchSize: 0
; MemoryBound: 0
; FloatMode: 240
; IeeeMode: 1
; LDSByteSize: 0 bytes/workgroup (compile time only)
; SGPRBlocks: 3
; VGPRBlocks: 3
; NumSGPRsForWavesPerEU: 27
; NumVGPRsForWavesPerEU: 25
; AccumOffset: 28
; Occupancy: 8
; WaveLimiterHint : 0
; COMPUTE_PGM_RSRC2:SCRATCH_EN: 0
; COMPUTE_PGM_RSRC2:USER_SGPR: 6
; COMPUTE_PGM_RSRC2:TRAP_HANDLER: 0
; COMPUTE_PGM_RSRC2:TGID_X_EN: 1
; COMPUTE_PGM_RSRC2:TGID_Y_EN: 0
; COMPUTE_PGM_RSRC2:TGID_Z_EN: 0
; COMPUTE_PGM_RSRC2:TIDIG_COMP_CNT: 0
; COMPUTE_PGM_RSRC3_GFX90A:ACCUM_OFFSET: 6
; COMPUTE_PGM_RSRC3_GFX90A:TG_SPLIT: 0
	.section	.text._ZN4vllm3moe17topkGatingSoftmaxItLi1ELi1ELi8ELi2ELb1ELi0ELNS0_23SharedExpertScoringFuncE0EEEvPKT_PKbPfiPiS9_iiiiii,"axG",@progbits,_ZN4vllm3moe17topkGatingSoftmaxItLi1ELi1ELi8ELi2ELb1ELi0ELNS0_23SharedExpertScoringFuncE0EEEvPKT_PKbPfiPiS9_iiiiii,comdat
	.protected	_ZN4vllm3moe17topkGatingSoftmaxItLi1ELi1ELi8ELi2ELb1ELi0ELNS0_23SharedExpertScoringFuncE0EEEvPKT_PKbPfiPiS9_iiiiii ; -- Begin function _ZN4vllm3moe17topkGatingSoftmaxItLi1ELi1ELi8ELi2ELb1ELi0ELNS0_23SharedExpertScoringFuncE0EEEvPKT_PKbPfiPiS9_iiiiii
	.globl	_ZN4vllm3moe17topkGatingSoftmaxItLi1ELi1ELi8ELi2ELb1ELi0ELNS0_23SharedExpertScoringFuncE0EEEvPKT_PKbPfiPiS9_iiiiii
	.p2align	8
	.type	_ZN4vllm3moe17topkGatingSoftmaxItLi1ELi1ELi8ELi2ELb1ELi0ELNS0_23SharedExpertScoringFuncE0EEEvPKT_PKbPfiPiS9_iiiiii,@function
_ZN4vllm3moe17topkGatingSoftmaxItLi1ELi1ELi8ELi2ELb1ELi0ELNS0_23SharedExpertScoringFuncE0EEEvPKT_PKbPfiPiS9_iiiiii: ; @_ZN4vllm3moe17topkGatingSoftmaxItLi1ELi1ELi8ELi2ELb1ELi0ELNS0_23SharedExpertScoringFuncE0EEEvPKT_PKbPfiPiS9_iiiiii
; %bb.0:
	s_load_dword s16, s[4:5], 0x18
	v_bfe_u32 v1, v0, 10, 10
	s_lshl_b32 s17, s6, 9
	v_lshlrev_b32_e32 v9, 6, v1
	v_and_b32_e32 v10, 0x3ff, v0
	v_add3_u32 v8, v9, v10, s17
	s_waitcnt lgkmcnt(0)
	v_cmp_gt_i32_e32 vcc, s16, v8
	s_and_saveexec_b64 s[0:1], vcc
	s_cbranch_execz .LBB208_20
; %bb.1:
	s_load_dwordx4 s[0:3], s[4:5], 0x0
	s_load_dwordx2 s[12:13], s[4:5], 0x10
	s_waitcnt lgkmcnt(0)
	s_cmp_eq_u64 s[2:3], 0
	s_cbranch_scc1 .LBB208_3
; %bb.2:
	v_ashrrev_i32_e32 v1, 31, v8
	v_mov_b32_e32 v2, s3
	v_add_co_u32_e32 v0, vcc, s2, v8
	v_addc_co_u32_e32 v1, vcc, v2, v1, vcc
	global_load_ubyte v0, v[0:1], off
	s_waitcnt vmcnt(0)
	v_and_b32_e32 v0, 1, v0
	v_cmp_eq_u32_e32 vcc, 1, v0
	s_xor_b64 s[2:3], vcc, -1
	s_orn2_b64 s[14:15], s[2:3], exec
	s_branch .LBB208_4
.LBB208_3:
	s_mov_b64 s[14:15], -1
.LBB208_4:
	s_load_dwordx4 s[8:11], s[4:5], 0x30
	s_waitcnt lgkmcnt(0)
	s_cmp_gt_i32 s8, 0
	s_cselect_b64 s[2:3], -1, 0
	s_cmp_lt_i32 s8, 1
	s_cbranch_scc1 .LBB208_9
; %bb.5:
	s_load_dwordx2 s[22:23], s[4:5], 0x40
	v_mov_b32_e32 v2, s1
	s_cmp_lt_i32 s9, 1
	v_mov_b32_e32 v6, s13
	s_load_dwordx4 s[4:7], s[4:5], 0x20
	s_waitcnt lgkmcnt(0)
	v_mul_lo_u32 v0, v8, s23
	v_ashrrev_i32_e32 v1, 31, v0
	v_lshlrev_b64 v[0:1], 1, v[0:1]
	v_add_co_u32_e32 v0, vcc, s0, v0
	v_addc_co_u32_e32 v1, vcc, v2, v1, vcc
	global_load_ushort v11, v[0:1], off
	v_mul_lo_u32 v0, v8, s11
	v_mul_lo_u32 v2, v8, s8
	v_ashrrev_i32_e32 v1, 31, v0
	s_cselect_b64 s[0:1], -1, 0
	s_cmp_gt_i32 s10, 0
	v_ashrrev_i32_e32 v3, 31, v2
	v_lshlrev_b64 v[0:1], 2, v[0:1]
	s_cselect_b64 s[24:25], -1, 0
	v_lshlrev_b64 v[4:5], 2, v[2:3]
	v_add_co_u32_e32 v2, vcc, s12, v0
	s_sub_i32 s9, 0, s9
	s_and_b64 s[24:25], s[0:1], s[24:25]
	v_addc_co_u32_e64 v3, s[0:1], v6, v1, vcc
	v_mov_b32_e32 v0, s9
	s_and_b64 s[0:1], s[14:15], s[24:25]
	v_cndmask_b32_e64 v12, 1, v0, s[0:1]
	s_mov_b32 s18, 0x3fb8aa3b
	v_mul_lo_u32 v6, v8, s22
	v_mov_b32_e32 v15, s7
	v_ashrrev_i32_e32 v7, 31, v6
	v_add_co_u32_e64 v14, s[0:1], s6, v4
	v_addc_co_u32_e64 v15, s[0:1], v15, v5, s[0:1]
	v_lshlrev_b64 v[6:7], 2, v[6:7]
	v_mov_b32_e32 v17, s5
	s_mov_b32 s19, 0xc2ce8ed0
	s_mov_b32 s20, 0x42b17218
	v_mov_b32_e32 v13, 0x7f800000
	s_cmp_eq_u32 s8, 1
	s_waitcnt vmcnt(0)
	v_cvt_f32_u32_e32 v0, v11
	v_sub_f32_e32 v11, v0, v0
	v_mul_f32_e32 v16, 0x3fb8aa3b, v11
	v_fma_f32 v18, v11, s18, -v16
	v_rndne_f32_e32 v19, v16
	v_fmac_f32_e32 v18, 0x32a5705f, v11
	v_sub_f32_e32 v16, v16, v19
	v_add_f32_e32 v16, v16, v18
	v_cvt_i32_f32_e32 v19, v19
	v_exp_f32_e32 v18, v16
	v_add_co_u32_e64 v16, s[0:1], s4, v6
	v_addc_co_u32_e64 v17, s[0:1], v17, v7, s[0:1]
	global_store_dword v[16:17], v12, off
	v_ldexp_f32 v16, v18, v19
	v_cmp_ngt_f32_e64 s[0:1], s19, v11
	v_cndmask_b32_e64 v16, 0, v16, s[0:1]
	v_cmp_nlt_f32_e64 s[0:1], s20, v11
	v_cndmask_b32_e64 v11, v13, v16, s[0:1]
	global_store_dword v[2:3], v11, off
	global_store_dword v[14:15], v8, off
	s_cbranch_scc1 .LBB208_8
; %bb.6:
	v_sub_f32_e32 v0, 0xff800000, v0
	v_mul_f32_e32 v3, 0x3fb8aa3b, v0
	v_fma_f32 v14, v0, s18, -v3
	v_rndne_f32_e32 v15, v3
	v_fmac_f32_e32 v14, 0x32a5705f, v0
	v_sub_f32_e32 v3, v3, v15
	v_add_f32_e32 v3, v3, v14
	v_cvt_i32_f32_e32 v14, v15
	v_exp_f32_e32 v3, v3
	v_cmp_ngt_f32_e64 s[0:1], s19, v0
	s_add_i32 s17, s17, s16
	v_ldexp_f32 v3, v3, v14
	v_cndmask_b32_e64 v3, 0, v3, s[0:1]
	v_cmp_nlt_f32_e64 s[0:1], s20, v0
	v_cndmask_b32_e64 v3, v13, v3, s[0:1]
	v_mov_b32_e32 v0, s7
	v_add_co_u32_e64 v4, s[0:1], s6, v4
	v_addc_co_u32_e64 v0, s[0:1], v5, v0, s[0:1]
	v_add_co_u32_e64 v4, s[0:1], 4, v4
	v_addc_co_u32_e64 v5, s[0:1], 0, v0, s[0:1]
	v_mov_b32_e32 v0, s5
	v_add_co_u32_e64 v6, s[0:1], s4, v6
	v_addc_co_u32_e64 v0, s[0:1], v7, v0, s[0:1]
	v_add_co_u32_e64 v6, s[0:1], 4, v6
	v_addc_co_u32_e64 v7, s[0:1], 0, v0, s[0:1]
	v_mov_b32_e32 v0, s13
	v_addc_co_u32_e32 v1, vcc, v1, v0, vcc
	v_add_co_u32_e32 v0, vcc, 4, v2
	v_addc_co_u32_e32 v1, vcc, 0, v1, vcc
	s_add_i32 s0, s8, -1
	v_add3_u32 v2, s17, v10, v9
.LBB208_7:                              ; =>This Inner Loop Header: Depth=1
	global_store_dword v[0:1], v3, off
	global_store_dword v[6:7], v12, off
	;; [unrolled: 1-line block ×3, first 2 shown]
	v_add_co_u32_e32 v4, vcc, 4, v4
	v_addc_co_u32_e32 v5, vcc, 0, v5, vcc
	v_add_co_u32_e32 v6, vcc, 4, v6
	v_addc_co_u32_e32 v7, vcc, 0, v7, vcc
	v_add_co_u32_e32 v0, vcc, 4, v0
	s_add_i32 s0, s0, -1
	v_add_f32_e32 v11, v11, v3
	v_addc_co_u32_e32 v1, vcc, 0, v1, vcc
	s_cmp_eq_u32 s0, 0
	v_add_u32_e32 v2, s16, v2
	s_cbranch_scc0 .LBB208_7
.LBB208_8:
	v_cmp_neq_f32_e32 vcc, 0, v11
	s_and_b64 exec, exec, vcc
	s_cbranch_execnz .LBB208_10
	s_branch .LBB208_20
.LBB208_9:
	v_mov_b32_e32 v11, 0
	v_cmp_neq_f32_e32 vcc, 0, v11
	s_and_b64 exec, exec, vcc
	s_cbranch_execz .LBB208_20
.LBB208_10:
	s_andn2_b64 vcc, exec, s[2:3]
	s_cbranch_vccnz .LBB208_20
; %bb.11:
	v_div_scale_f32 v0, s[0:1], v11, v11, 1.0
	v_rcp_f32_e32 v1, v0
	v_div_scale_f32 v2, vcc, 1.0, v11, 1.0
	s_cmp_gt_u32 s8, 3
	v_fma_f32 v3, -v0, v1, 1.0
	v_fmac_f32_e32 v1, v3, v1
	v_mul_f32_e32 v3, v2, v1
	v_fma_f32 v4, -v0, v3, v2
	v_fmac_f32_e32 v3, v4, v1
	v_fma_f32 v0, -v0, v3, v2
	v_div_fmas_f32 v0, v0, v1, v3
	v_mul_lo_u32 v2, v8, s11
	v_div_fixup_f32 v0, v0, v11, 1.0
	v_ashrrev_i32_e32 v3, 31, v2
	s_cbranch_scc0 .LBB208_15
; %bb.12:
	v_lshlrev_b64 v[4:5], 2, v[2:3]
	v_mov_b32_e32 v6, s13
	v_add_co_u32_e32 v4, vcc, s12, v4
	v_addc_co_u32_e32 v5, vcc, v5, v6, vcc
	s_and_b32 s4, s8, 0x7ffffffc
	v_add_co_u32_e32 v4, vcc, 8, v4
	v_mov_b32_e32 v1, v0
	v_addc_co_u32_e32 v5, vcc, 0, v5, vcc
	s_mov_b32 s0, s4
.LBB208_13:                             ; =>This Inner Loop Header: Depth=1
	global_load_dwordx4 v[6:9], v[4:5], off offset:-8
	s_add_i32 s0, s0, -4
	s_cmp_lg_u32 s0, 0
	s_waitcnt vmcnt(0)
	v_pk_mul_f32 v[6:7], v[0:1], v[6:7]
	v_pk_mul_f32 v[8:9], v[0:1], v[8:9]
	global_store_dwordx4 v[4:5], v[6:9], off offset:-8
	v_add_co_u32_e32 v4, vcc, 16, v4
	v_addc_co_u32_e32 v5, vcc, 0, v5, vcc
	s_cbranch_scc1 .LBB208_13
; %bb.14:
	s_cmp_lg_u32 s4, s8
	s_cselect_b64 s[0:1], -1, 0
	s_branch .LBB208_17
.LBB208_15:
	s_mov_b64 s[0:1], 0
                                        ; implicit-def: $sgpr4
	s_cbranch_execz .LBB208_17
; %bb.16:
	s_mov_b64 s[0:1], -1
	s_mov_b32 s4, 0
.LBB208_17:
	s_andn2_b64 vcc, exec, s[0:1]
	s_cbranch_vccnz .LBB208_20
; %bb.18:
	v_add_co_u32_e32 v2, vcc, s4, v2
	v_addc_co_u32_e32 v3, vcc, 0, v3, vcc
	v_lshlrev_b64 v[2:3], 2, v[2:3]
	v_mov_b32_e32 v1, s13
	v_add_co_u32_e32 v2, vcc, s12, v2
	s_sub_i32 s0, s8, s4
	v_addc_co_u32_e32 v3, vcc, v1, v3, vcc
.LBB208_19:                             ; =>This Inner Loop Header: Depth=1
	global_load_dword v1, v[2:3], off
	s_add_i32 s0, s0, -1
	s_cmp_lg_u32 s0, 0
	s_waitcnt vmcnt(0)
	v_mul_f32_e32 v1, v0, v1
	global_store_dword v[2:3], v1, off
	v_add_co_u32_e32 v2, vcc, 4, v2
	v_addc_co_u32_e32 v3, vcc, 0, v3, vcc
	s_cbranch_scc1 .LBB208_19
.LBB208_20:
	s_endpgm
	.section	.rodata,"a",@progbits
	.p2align	6, 0x0
	.amdhsa_kernel _ZN4vllm3moe17topkGatingSoftmaxItLi1ELi1ELi8ELi2ELb1ELi0ELNS0_23SharedExpertScoringFuncE0EEEvPKT_PKbPfiPiS9_iiiiii
		.amdhsa_group_segment_fixed_size 0
		.amdhsa_private_segment_fixed_size 0
		.amdhsa_kernarg_size 72
		.amdhsa_user_sgpr_count 6
		.amdhsa_user_sgpr_private_segment_buffer 1
		.amdhsa_user_sgpr_dispatch_ptr 0
		.amdhsa_user_sgpr_queue_ptr 0
		.amdhsa_user_sgpr_kernarg_segment_ptr 1
		.amdhsa_user_sgpr_dispatch_id 0
		.amdhsa_user_sgpr_flat_scratch_init 0
		.amdhsa_user_sgpr_kernarg_preload_length 0
		.amdhsa_user_sgpr_kernarg_preload_offset 0
		.amdhsa_user_sgpr_private_segment_size 0
		.amdhsa_uses_dynamic_stack 0
		.amdhsa_system_sgpr_private_segment_wavefront_offset 0
		.amdhsa_system_sgpr_workgroup_id_x 1
		.amdhsa_system_sgpr_workgroup_id_y 0
		.amdhsa_system_sgpr_workgroup_id_z 0
		.amdhsa_system_sgpr_workgroup_info 0
		.amdhsa_system_vgpr_workitem_id 1
		.amdhsa_next_free_vgpr 20
		.amdhsa_next_free_sgpr 26
		.amdhsa_accum_offset 20
		.amdhsa_reserve_vcc 1
		.amdhsa_reserve_flat_scratch 0
		.amdhsa_float_round_mode_32 0
		.amdhsa_float_round_mode_16_64 0
		.amdhsa_float_denorm_mode_32 3
		.amdhsa_float_denorm_mode_16_64 3
		.amdhsa_dx10_clamp 1
		.amdhsa_ieee_mode 1
		.amdhsa_fp16_overflow 0
		.amdhsa_tg_split 0
		.amdhsa_exception_fp_ieee_invalid_op 0
		.amdhsa_exception_fp_denorm_src 0
		.amdhsa_exception_fp_ieee_div_zero 0
		.amdhsa_exception_fp_ieee_overflow 0
		.amdhsa_exception_fp_ieee_underflow 0
		.amdhsa_exception_fp_ieee_inexact 0
		.amdhsa_exception_int_div_zero 0
	.end_amdhsa_kernel
	.section	.text._ZN4vllm3moe17topkGatingSoftmaxItLi1ELi1ELi8ELi2ELb1ELi0ELNS0_23SharedExpertScoringFuncE0EEEvPKT_PKbPfiPiS9_iiiiii,"axG",@progbits,_ZN4vllm3moe17topkGatingSoftmaxItLi1ELi1ELi8ELi2ELb1ELi0ELNS0_23SharedExpertScoringFuncE0EEEvPKT_PKbPfiPiS9_iiiiii,comdat
.Lfunc_end208:
	.size	_ZN4vllm3moe17topkGatingSoftmaxItLi1ELi1ELi8ELi2ELb1ELi0ELNS0_23SharedExpertScoringFuncE0EEEvPKT_PKbPfiPiS9_iiiiii, .Lfunc_end208-_ZN4vllm3moe17topkGatingSoftmaxItLi1ELi1ELi8ELi2ELb1ELi0ELNS0_23SharedExpertScoringFuncE0EEEvPKT_PKbPfiPiS9_iiiiii
                                        ; -- End function
	.section	.AMDGPU.csdata,"",@progbits
; Kernel info:
; codeLenInByte = 1152
; NumSgprs: 30
; NumVgprs: 20
; NumAgprs: 0
; TotalNumVgprs: 20
; ScratchSize: 0
; MemoryBound: 0
; FloatMode: 240
; IeeeMode: 1
; LDSByteSize: 0 bytes/workgroup (compile time only)
; SGPRBlocks: 3
; VGPRBlocks: 2
; NumSGPRsForWavesPerEU: 30
; NumVGPRsForWavesPerEU: 20
; AccumOffset: 20
; Occupancy: 8
; WaveLimiterHint : 0
; COMPUTE_PGM_RSRC2:SCRATCH_EN: 0
; COMPUTE_PGM_RSRC2:USER_SGPR: 6
; COMPUTE_PGM_RSRC2:TRAP_HANDLER: 0
; COMPUTE_PGM_RSRC2:TGID_X_EN: 1
; COMPUTE_PGM_RSRC2:TGID_Y_EN: 0
; COMPUTE_PGM_RSRC2:TGID_Z_EN: 0
; COMPUTE_PGM_RSRC2:TIDIG_COMP_CNT: 1
; COMPUTE_PGM_RSRC3_GFX90A:ACCUM_OFFSET: 4
; COMPUTE_PGM_RSRC3_GFX90A:TG_SPLIT: 0
	.section	.text._ZN4vllm3moe17topkGatingSoftmaxItLi1ELi1ELi8ELi2ELb0ELi0ELNS0_23SharedExpertScoringFuncE0EEEvPKT_PKbPfiPiS9_iiiiii,"axG",@progbits,_ZN4vllm3moe17topkGatingSoftmaxItLi1ELi1ELi8ELi2ELb0ELi0ELNS0_23SharedExpertScoringFuncE0EEEvPKT_PKbPfiPiS9_iiiiii,comdat
	.protected	_ZN4vllm3moe17topkGatingSoftmaxItLi1ELi1ELi8ELi2ELb0ELi0ELNS0_23SharedExpertScoringFuncE0EEEvPKT_PKbPfiPiS9_iiiiii ; -- Begin function _ZN4vllm3moe17topkGatingSoftmaxItLi1ELi1ELi8ELi2ELb0ELi0ELNS0_23SharedExpertScoringFuncE0EEEvPKT_PKbPfiPiS9_iiiiii
	.globl	_ZN4vllm3moe17topkGatingSoftmaxItLi1ELi1ELi8ELi2ELb0ELi0ELNS0_23SharedExpertScoringFuncE0EEEvPKT_PKbPfiPiS9_iiiiii
	.p2align	8
	.type	_ZN4vllm3moe17topkGatingSoftmaxItLi1ELi1ELi8ELi2ELb0ELi0ELNS0_23SharedExpertScoringFuncE0EEEvPKT_PKbPfiPiS9_iiiiii,@function
_ZN4vllm3moe17topkGatingSoftmaxItLi1ELi1ELi8ELi2ELb0ELi0ELNS0_23SharedExpertScoringFuncE0EEEvPKT_PKbPfiPiS9_iiiiii: ; @_ZN4vllm3moe17topkGatingSoftmaxItLi1ELi1ELi8ELi2ELb0ELi0ELNS0_23SharedExpertScoringFuncE0EEEvPKT_PKbPfiPiS9_iiiiii
; %bb.0:
	s_load_dword s18, s[4:5], 0x18
	v_bfe_u32 v1, v0, 10, 10
	s_lshl_b32 s19, s6, 9
	v_lshlrev_b32_e32 v10, 6, v1
	v_and_b32_e32 v11, 0x3ff, v0
	v_add3_u32 v8, v10, v11, s19
	s_waitcnt lgkmcnt(0)
	v_cmp_gt_i32_e32 vcc, s18, v8
	s_and_saveexec_b64 s[0:1], vcc
	s_cbranch_execz .LBB209_21
; %bb.1:
	s_load_dwordx4 s[0:3], s[4:5], 0x0
	s_load_dwordx2 s[12:13], s[4:5], 0x10
	s_waitcnt lgkmcnt(0)
	s_cmp_eq_u64 s[2:3], 0
	s_cbranch_scc1 .LBB209_3
; %bb.2:
	v_ashrrev_i32_e32 v1, 31, v8
	v_mov_b32_e32 v2, s3
	v_add_co_u32_e32 v0, vcc, s2, v8
	v_addc_co_u32_e32 v1, vcc, v2, v1, vcc
	global_load_ubyte v0, v[0:1], off
	s_waitcnt vmcnt(0)
	v_and_b32_e32 v0, 1, v0
	v_cmp_eq_u32_e32 vcc, 1, v0
	s_xor_b64 s[2:3], vcc, -1
	s_orn2_b64 s[14:15], s[2:3], exec
	s_branch .LBB209_4
.LBB209_3:
	s_mov_b64 s[14:15], -1
.LBB209_4:
	s_load_dwordx2 s[16:17], s[4:5], 0x40
	s_load_dwordx4 s[8:11], s[4:5], 0x30
	v_mov_b32_e32 v2, s1
	s_waitcnt lgkmcnt(0)
	v_mul_lo_u32 v0, v8, s17
	v_ashrrev_i32_e32 v1, 31, v0
	v_lshlrev_b64 v[0:1], 1, v[0:1]
	v_add_co_u32_e32 v0, vcc, s0, v0
	v_addc_co_u32_e32 v1, vcc, v2, v1, vcc
	global_load_ushort v0, v[0:1], off
	s_cmp_gt_i32 s8, 0
	s_cselect_b64 s[2:3], -1, 0
	s_cmp_lt_i32 s8, 1
	s_waitcnt vmcnt(0)
	v_cvt_f32_u32_e32 v9, v0
	s_cbranch_scc1 .LBB209_9
; %bb.5:
	v_sub_f32_e32 v1, v9, v9
	v_mul_f32_e32 v2, 0x3fb8aa3b, v1
	v_mul_lo_u32 v4, v8, s16
	s_mov_b32 s16, 0x3fb8aa3b
	v_rndne_f32_e32 v3, v2
	v_sub_f32_e32 v5, v2, v3
	v_fma_f32 v2, v1, s16, -v2
	v_fmac_f32_e32 v2, 0x32a5705f, v1
	v_add_f32_e32 v2, v5, v2
	v_exp_f32_e32 v2, v2
	v_cvt_i32_f32_e32 v3, v3
	s_cmp_lt_i32 s9, 1
	s_cselect_b64 s[0:1], -1, 0
	s_cmp_gt_i32 s10, 0
	s_mov_b32 s10, 0xc2ce8ed0
	v_mul_lo_u32 v0, v8, s11
	v_ldexp_f32 v2, v2, v3
	v_cmp_ngt_f32_e32 vcc, s10, v1
	s_mov_b32 s17, 0x42b17218
	v_cndmask_b32_e32 v2, 0, v2, vcc
	v_cmp_nlt_f32_e32 vcc, s17, v1
	v_ashrrev_i32_e32 v1, 31, v0
	s_load_dwordx4 s[4:7], s[4:5], 0x20
	v_mov_b32_e32 v13, 0x7f800000
	v_lshlrev_b64 v[0:1], 2, v[0:1]
	s_cselect_b64 s[20:21], -1, 0
	v_cndmask_b32_e32 v12, v13, v2, vcc
	v_mov_b32_e32 v3, s13
	v_add_co_u32_e32 v2, vcc, s12, v0
	s_and_b64 s[20:21], s[0:1], s[20:21]
	v_addc_co_u32_e64 v3, s[0:1], v3, v1, vcc
	s_sub_i32 s0, 0, s9
	v_ashrrev_i32_e32 v5, 31, v4
	v_mov_b32_e32 v0, s0
	s_and_b64 s[0:1], s[14:15], s[20:21]
	v_lshlrev_b64 v[6:7], 2, v[4:5]
	v_mul_lo_u32 v14, v8, s8
	global_store_dword v[2:3], v12, off
	v_cndmask_b32_e64 v3, 1, v0, s[0:1]
	s_waitcnt lgkmcnt(0)
	v_mov_b32_e32 v0, s5
	v_add_co_u32_e64 v4, s[0:1], s4, v6
	v_addc_co_u32_e64 v5, s[0:1], v0, v7, s[0:1]
	v_ashrrev_i32_e32 v15, 31, v14
	global_store_dword v[4:5], v3, off
	v_lshlrev_b64 v[4:5], 2, v[14:15]
	v_mov_b32_e32 v0, s7
	v_add_co_u32_e64 v14, s[0:1], s6, v4
	v_addc_co_u32_e64 v15, s[0:1], v0, v5, s[0:1]
	s_cmp_eq_u32 s8, 1
	global_store_dword v[14:15], v8, off
	s_cbranch_scc1 .LBB209_8
; %bb.6:
	v_sub_f32_e32 v0, 0xff800000, v9
	v_mul_f32_e32 v14, 0x3fb8aa3b, v0
	v_fma_f32 v15, v0, s16, -v14
	v_rndne_f32_e32 v16, v14
	v_fmac_f32_e32 v15, 0x32a5705f, v0
	v_sub_f32_e32 v14, v14, v16
	v_add_f32_e32 v14, v14, v15
	v_cvt_i32_f32_e32 v15, v16
	v_exp_f32_e32 v14, v14
	v_cmp_ngt_f32_e64 s[0:1], s10, v0
	s_add_i32 s19, s19, s18
	v_ldexp_f32 v14, v14, v15
	v_cndmask_b32_e64 v14, 0, v14, s[0:1]
	v_cmp_nlt_f32_e64 s[0:1], s17, v0
	v_cndmask_b32_e64 v13, v13, v14, s[0:1]
	v_mov_b32_e32 v0, s7
	v_add_co_u32_e64 v4, s[0:1], s6, v4
	v_addc_co_u32_e64 v0, s[0:1], v5, v0, s[0:1]
	v_add_co_u32_e64 v4, s[0:1], 4, v4
	v_addc_co_u32_e64 v5, s[0:1], 0, v0, s[0:1]
	v_mov_b32_e32 v0, s5
	v_add_co_u32_e64 v6, s[0:1], s4, v6
	v_addc_co_u32_e64 v0, s[0:1], v7, v0, s[0:1]
	v_add_co_u32_e64 v6, s[0:1], 4, v6
	v_addc_co_u32_e64 v7, s[0:1], 0, v0, s[0:1]
	v_mov_b32_e32 v0, s13
	v_addc_co_u32_e32 v1, vcc, v1, v0, vcc
	v_add_co_u32_e32 v0, vcc, 4, v2
	v_addc_co_u32_e32 v1, vcc, 0, v1, vcc
	s_add_i32 s0, s8, -1
	v_add3_u32 v2, s19, v11, v10
.LBB209_7:                              ; =>This Inner Loop Header: Depth=1
	global_store_dword v[0:1], v13, off
	global_store_dword v[6:7], v3, off
	;; [unrolled: 1-line block ×3, first 2 shown]
	v_add_co_u32_e32 v4, vcc, 4, v4
	v_addc_co_u32_e32 v5, vcc, 0, v5, vcc
	v_add_co_u32_e32 v6, vcc, 4, v6
	v_addc_co_u32_e32 v7, vcc, 0, v7, vcc
	v_add_co_u32_e32 v0, vcc, 4, v0
	s_add_i32 s0, s0, -1
	v_add_f32_e32 v12, v12, v13
	v_addc_co_u32_e32 v1, vcc, 0, v1, vcc
	s_cmp_eq_u32 s0, 0
	v_add_u32_e32 v2, s18, v2
	s_cbranch_scc0 .LBB209_7
.LBB209_8:
	v_mov_b32_e32 v0, 0xff800000
	s_branch .LBB209_10
.LBB209_9:
	v_mov_b32_e32 v12, 0
	v_mov_b32_e32 v0, v9
.LBB209_10:
	v_sub_f32_e32 v0, v0, v9
	s_mov_b32 s0, 0x3fb8aa3b
	v_mul_f32_e32 v1, 0x3fb8aa3b, v0
	v_fma_f32 v2, v0, s0, -v1
	v_rndne_f32_e32 v3, v1
	v_fmac_f32_e32 v2, 0x32a5705f, v0
	v_sub_f32_e32 v1, v1, v3
	v_add_f32_e32 v1, v1, v2
	v_exp_f32_e32 v1, v1
	v_cvt_i32_f32_e32 v2, v3
	s_mov_b32 s0, 0xc2ce8ed0
	v_cmp_ngt_f32_e32 vcc, s0, v0
	s_mov_b32 s0, 0x42b17218
	v_ldexp_f32 v1, v1, v2
	v_cndmask_b32_e32 v1, 0, v1, vcc
	v_mov_b32_e32 v2, 0x7f800000
	v_cmp_nlt_f32_e32 vcc, s0, v0
	v_cndmask_b32_e32 v0, v2, v1, vcc
	v_add_f32_e32 v0, v12, v0
	v_cmp_neq_f32_e32 vcc, 0, v0
	s_and_b64 exec, exec, vcc
	s_cbranch_execz .LBB209_21
; %bb.11:
	s_andn2_b64 vcc, exec, s[2:3]
	s_cbranch_vccnz .LBB209_21
; %bb.12:
	v_div_scale_f32 v1, s[0:1], v0, v0, 1.0
	v_rcp_f32_e32 v2, v1
	v_div_scale_f32 v3, vcc, 1.0, v0, 1.0
	s_cmp_gt_u32 s8, 3
	v_fma_f32 v4, -v1, v2, 1.0
	v_fmac_f32_e32 v2, v4, v2
	v_mul_f32_e32 v4, v3, v2
	v_fma_f32 v5, -v1, v4, v3
	v_fmac_f32_e32 v4, v5, v2
	v_fma_f32 v1, -v1, v4, v3
	v_div_fmas_f32 v1, v1, v2, v4
	v_mul_lo_u32 v2, v8, s11
	v_div_fixup_f32 v0, v1, v0, 1.0
	v_ashrrev_i32_e32 v3, 31, v2
	s_cbranch_scc0 .LBB209_16
; %bb.13:
	v_lshlrev_b64 v[4:5], 2, v[2:3]
	v_mov_b32_e32 v6, s13
	v_add_co_u32_e32 v4, vcc, s12, v4
	v_addc_co_u32_e32 v5, vcc, v5, v6, vcc
	s_and_b32 s4, s8, 0x7ffffffc
	v_add_co_u32_e32 v4, vcc, 8, v4
	v_mov_b32_e32 v1, v0
	v_addc_co_u32_e32 v5, vcc, 0, v5, vcc
	s_mov_b32 s0, s4
.LBB209_14:                             ; =>This Inner Loop Header: Depth=1
	global_load_dwordx4 v[6:9], v[4:5], off offset:-8
	s_add_i32 s0, s0, -4
	s_cmp_lg_u32 s0, 0
	s_waitcnt vmcnt(0)
	v_pk_mul_f32 v[6:7], v[0:1], v[6:7]
	v_pk_mul_f32 v[8:9], v[0:1], v[8:9]
	global_store_dwordx4 v[4:5], v[6:9], off offset:-8
	v_add_co_u32_e32 v4, vcc, 16, v4
	v_addc_co_u32_e32 v5, vcc, 0, v5, vcc
	s_cbranch_scc1 .LBB209_14
; %bb.15:
	s_cmp_lg_u32 s4, s8
	s_cselect_b64 s[0:1], -1, 0
	s_branch .LBB209_18
.LBB209_16:
	s_mov_b64 s[0:1], 0
                                        ; implicit-def: $sgpr4
	s_cbranch_execz .LBB209_18
; %bb.17:
	s_mov_b64 s[0:1], -1
	s_mov_b32 s4, 0
.LBB209_18:
	s_andn2_b64 vcc, exec, s[0:1]
	s_cbranch_vccnz .LBB209_21
; %bb.19:
	v_add_co_u32_e32 v2, vcc, s4, v2
	v_addc_co_u32_e32 v3, vcc, 0, v3, vcc
	v_lshlrev_b64 v[2:3], 2, v[2:3]
	v_mov_b32_e32 v1, s13
	v_add_co_u32_e32 v2, vcc, s12, v2
	s_sub_i32 s0, s8, s4
	v_addc_co_u32_e32 v3, vcc, v1, v3, vcc
.LBB209_20:                             ; =>This Inner Loop Header: Depth=1
	global_load_dword v1, v[2:3], off
	s_add_i32 s0, s0, -1
	s_cmp_lg_u32 s0, 0
	s_waitcnt vmcnt(0)
	v_mul_f32_e32 v1, v0, v1
	global_store_dword v[2:3], v1, off
	v_add_co_u32_e32 v2, vcc, 4, v2
	v_addc_co_u32_e32 v3, vcc, 0, v3, vcc
	s_cbranch_scc1 .LBB209_20
.LBB209_21:
	s_endpgm
	.section	.rodata,"a",@progbits
	.p2align	6, 0x0
	.amdhsa_kernel _ZN4vllm3moe17topkGatingSoftmaxItLi1ELi1ELi8ELi2ELb0ELi0ELNS0_23SharedExpertScoringFuncE0EEEvPKT_PKbPfiPiS9_iiiiii
		.amdhsa_group_segment_fixed_size 0
		.amdhsa_private_segment_fixed_size 0
		.amdhsa_kernarg_size 72
		.amdhsa_user_sgpr_count 6
		.amdhsa_user_sgpr_private_segment_buffer 1
		.amdhsa_user_sgpr_dispatch_ptr 0
		.amdhsa_user_sgpr_queue_ptr 0
		.amdhsa_user_sgpr_kernarg_segment_ptr 1
		.amdhsa_user_sgpr_dispatch_id 0
		.amdhsa_user_sgpr_flat_scratch_init 0
		.amdhsa_user_sgpr_kernarg_preload_length 0
		.amdhsa_user_sgpr_kernarg_preload_offset 0
		.amdhsa_user_sgpr_private_segment_size 0
		.amdhsa_uses_dynamic_stack 0
		.amdhsa_system_sgpr_private_segment_wavefront_offset 0
		.amdhsa_system_sgpr_workgroup_id_x 1
		.amdhsa_system_sgpr_workgroup_id_y 0
		.amdhsa_system_sgpr_workgroup_id_z 0
		.amdhsa_system_sgpr_workgroup_info 0
		.amdhsa_system_vgpr_workitem_id 1
		.amdhsa_next_free_vgpr 17
		.amdhsa_next_free_sgpr 22
		.amdhsa_accum_offset 20
		.amdhsa_reserve_vcc 1
		.amdhsa_reserve_flat_scratch 0
		.amdhsa_float_round_mode_32 0
		.amdhsa_float_round_mode_16_64 0
		.amdhsa_float_denorm_mode_32 3
		.amdhsa_float_denorm_mode_16_64 3
		.amdhsa_dx10_clamp 1
		.amdhsa_ieee_mode 1
		.amdhsa_fp16_overflow 0
		.amdhsa_tg_split 0
		.amdhsa_exception_fp_ieee_invalid_op 0
		.amdhsa_exception_fp_denorm_src 0
		.amdhsa_exception_fp_ieee_div_zero 0
		.amdhsa_exception_fp_ieee_overflow 0
		.amdhsa_exception_fp_ieee_underflow 0
		.amdhsa_exception_fp_ieee_inexact 0
		.amdhsa_exception_int_div_zero 0
	.end_amdhsa_kernel
	.section	.text._ZN4vllm3moe17topkGatingSoftmaxItLi1ELi1ELi8ELi2ELb0ELi0ELNS0_23SharedExpertScoringFuncE0EEEvPKT_PKbPfiPiS9_iiiiii,"axG",@progbits,_ZN4vllm3moe17topkGatingSoftmaxItLi1ELi1ELi8ELi2ELb0ELi0ELNS0_23SharedExpertScoringFuncE0EEEvPKT_PKbPfiPiS9_iiiiii,comdat
.Lfunc_end209:
	.size	_ZN4vllm3moe17topkGatingSoftmaxItLi1ELi1ELi8ELi2ELb0ELi0ELNS0_23SharedExpertScoringFuncE0EEEvPKT_PKbPfiPiS9_iiiiii, .Lfunc_end209-_ZN4vllm3moe17topkGatingSoftmaxItLi1ELi1ELi8ELi2ELb0ELi0ELNS0_23SharedExpertScoringFuncE0EEEvPKT_PKbPfiPiS9_iiiiii
                                        ; -- End function
	.section	.AMDGPU.csdata,"",@progbits
; Kernel info:
; codeLenInByte = 1244
; NumSgprs: 26
; NumVgprs: 17
; NumAgprs: 0
; TotalNumVgprs: 17
; ScratchSize: 0
; MemoryBound: 0
; FloatMode: 240
; IeeeMode: 1
; LDSByteSize: 0 bytes/workgroup (compile time only)
; SGPRBlocks: 3
; VGPRBlocks: 2
; NumSGPRsForWavesPerEU: 26
; NumVGPRsForWavesPerEU: 17
; AccumOffset: 20
; Occupancy: 8
; WaveLimiterHint : 0
; COMPUTE_PGM_RSRC2:SCRATCH_EN: 0
; COMPUTE_PGM_RSRC2:USER_SGPR: 6
; COMPUTE_PGM_RSRC2:TRAP_HANDLER: 0
; COMPUTE_PGM_RSRC2:TGID_X_EN: 1
; COMPUTE_PGM_RSRC2:TGID_Y_EN: 0
; COMPUTE_PGM_RSRC2:TGID_Z_EN: 0
; COMPUTE_PGM_RSRC2:TIDIG_COMP_CNT: 1
; COMPUTE_PGM_RSRC3_GFX90A:ACCUM_OFFSET: 4
; COMPUTE_PGM_RSRC3_GFX90A:TG_SPLIT: 0
	.section	.text._ZN4vllm3moe17topkGatingSoftmaxItLi1ELi1ELi8ELi2ELb1ELi1ELNS0_23SharedExpertScoringFuncE1EEEvPKT_PKbPfiPiS9_iiiiii,"axG",@progbits,_ZN4vllm3moe17topkGatingSoftmaxItLi1ELi1ELi8ELi2ELb1ELi1ELNS0_23SharedExpertScoringFuncE1EEEvPKT_PKbPfiPiS9_iiiiii,comdat
	.protected	_ZN4vllm3moe17topkGatingSoftmaxItLi1ELi1ELi8ELi2ELb1ELi1ELNS0_23SharedExpertScoringFuncE1EEEvPKT_PKbPfiPiS9_iiiiii ; -- Begin function _ZN4vllm3moe17topkGatingSoftmaxItLi1ELi1ELi8ELi2ELb1ELi1ELNS0_23SharedExpertScoringFuncE1EEEvPKT_PKbPfiPiS9_iiiiii
	.globl	_ZN4vllm3moe17topkGatingSoftmaxItLi1ELi1ELi8ELi2ELb1ELi1ELNS0_23SharedExpertScoringFuncE1EEEvPKT_PKbPfiPiS9_iiiiii
	.p2align	8
	.type	_ZN4vllm3moe17topkGatingSoftmaxItLi1ELi1ELi8ELi2ELb1ELi1ELNS0_23SharedExpertScoringFuncE1EEEvPKT_PKbPfiPiS9_iiiiii,@function
_ZN4vllm3moe17topkGatingSoftmaxItLi1ELi1ELi8ELi2ELb1ELi1ELNS0_23SharedExpertScoringFuncE1EEEvPKT_PKbPfiPiS9_iiiiii: ; @_ZN4vllm3moe17topkGatingSoftmaxItLi1ELi1ELi8ELi2ELb1ELi1ELNS0_23SharedExpertScoringFuncE1EEEvPKT_PKbPfiPiS9_iiiiii
; %bb.0:
	s_load_dword s18, s[4:5], 0x18
	v_bfe_u32 v1, v0, 10, 10
	s_lshl_b32 s19, s6, 9
	v_lshlrev_b32_e32 v10, 6, v1
	v_and_b32_e32 v11, 0x3ff, v0
	v_add3_u32 v13, v10, v11, s19
	s_waitcnt lgkmcnt(0)
	v_cmp_gt_i32_e32 vcc, s18, v13
	s_and_saveexec_b64 s[0:1], vcc
	s_cbranch_execz .LBB210_19
; %bb.1:
	s_load_dwordx4 s[0:3], s[4:5], 0x0
	s_load_dwordx2 s[12:13], s[4:5], 0x10
	s_waitcnt lgkmcnt(0)
	s_cmp_eq_u64 s[2:3], 0
	s_cbranch_scc1 .LBB210_3
; %bb.2:
	v_ashrrev_i32_e32 v1, 31, v13
	v_mov_b32_e32 v2, s3
	v_add_co_u32_e32 v0, vcc, s2, v13
	v_addc_co_u32_e32 v1, vcc, v2, v1, vcc
	global_load_ubyte v0, v[0:1], off
	s_waitcnt vmcnt(0)
	v_and_b32_e32 v0, 1, v0
	v_cmp_eq_u32_e32 vcc, 1, v0
	s_xor_b64 s[2:3], vcc, -1
	s_orn2_b64 s[14:15], s[2:3], exec
	s_branch .LBB210_4
.LBB210_3:
	s_mov_b64 s[14:15], -1
.LBB210_4:
	s_load_dwordx2 s[16:17], s[4:5], 0x40
	s_load_dwordx4 s[8:11], s[4:5], 0x30
	v_mov_b32_e32 v2, s1
	s_mov_b32 s1, 0x42ce8ed0
	s_mov_b32 s6, 0xc2b17218
	s_waitcnt lgkmcnt(0)
	v_mul_lo_u32 v0, v13, s17
	v_ashrrev_i32_e32 v1, 31, v0
	v_lshlrev_b64 v[0:1], 1, v[0:1]
	v_add_co_u32_e32 v0, vcc, s0, v0
	v_addc_co_u32_e32 v1, vcc, v2, v1, vcc
	global_load_dword v2, v[0:1], off
	s_mov_b32 s0, 0xbfb8aa3b
	v_mov_b32_e32 v1, 0x7f800000
	v_mul_lo_u32 v0, v13, s11
	v_add_u32_e32 v4, s8, v0
	v_mov_b32_e32 v3, s13
	s_cmp_gt_i32 s8, 0
	v_mov_b32_e32 v12, 0
	s_cselect_b64 s[2:3], -1, 0
	s_cmp_lt_i32 s8, 1
	s_waitcnt vmcnt(0)
	v_cvt_f32_u32_sdwa v6, v2 dst_sel:DWORD dst_unused:UNUSED_PAD src0_sel:WORD_1
	v_mul_f32_e32 v5, 0xbfb8aa3b, v6
	v_fma_f32 v7, v6, s0, -v5
	v_rndne_f32_e32 v8, v5
	v_fmac_f32_e32 v7, 0xb2a5705f, v6
	v_sub_f32_e32 v5, v5, v8
	v_add_f32_e32 v5, v5, v7
	v_cvt_i32_f32_e32 v8, v8
	v_exp_f32_e32 v7, v5
	v_cmp_nlt_f32_e32 vcc, s1, v6
	v_ashrrev_i32_e32 v5, 31, v4
	v_lshlrev_b64 v[4:5], 2, v[4:5]
	v_ldexp_f32 v7, v7, v8
	v_cndmask_b32_e32 v7, 0, v7, vcc
	v_cmp_ngt_f32_e32 vcc, s6, v6
	v_cndmask_b32_e32 v6, v1, v7, vcc
	v_add_f32_e32 v6, 1.0, v6
	v_div_scale_f32 v7, s[0:1], v6, v6, 1.0
	v_rcp_f32_e32 v8, v7
	v_add_co_u32_e32 v4, vcc, s12, v4
	v_addc_co_u32_e32 v5, vcc, v3, v5, vcc
	v_fma_f32 v9, -v7, v8, 1.0
	v_div_scale_f32 v3, vcc, 1.0, v6, 1.0
	v_fmac_f32_e32 v8, v9, v8
	v_mul_f32_e32 v9, v3, v8
	v_fma_f32 v14, -v7, v9, v3
	v_fmac_f32_e32 v9, v14, v8
	v_fma_f32 v3, -v7, v9, v3
	v_div_fmas_f32 v3, v3, v8, v9
	v_div_fixup_f32 v3, v3, v6, 1.0
	global_store_dword v[4:5], v3, off
	s_cbranch_scc1 .LBB210_8
; %bb.5:
	v_cvt_f32_u32_sdwa v14, v2 dst_sel:DWORD dst_unused:UNUSED_PAD src0_sel:WORD_0
	s_mov_b32 s11, 0x3fb8aa3b
	s_cmp_lt_i32 s9, 1
	s_cselect_b64 s[0:1], -1, 0
	v_sub_f32_e32 v2, v14, v14
	v_mul_f32_e32 v3, 0x3fb8aa3b, v2
	v_fma_f32 v4, v2, s11, -v3
	v_rndne_f32_e32 v5, v3
	v_fmac_f32_e32 v4, 0x32a5705f, v2
	v_sub_f32_e32 v3, v3, v5
	v_add_f32_e32 v3, v3, v4
	v_exp_f32_e32 v3, v3
	v_cvt_i32_f32_e32 v4, v5
	s_cmp_gt_i32 s10, 0
	v_mul_lo_u32 v6, v13, s16
	s_cselect_b64 s[16:17], -1, 0
	s_and_b64 s[20:21], s[0:1], s[16:17]
	s_mov_b32 s16, 0xc2ce8ed0
	v_ldexp_f32 v3, v3, v4
	v_cmp_ngt_f32_e32 vcc, s16, v2
	s_mov_b32 s10, 0x42b17218
	v_cndmask_b32_e32 v3, 0, v3, vcc
	v_cmp_nlt_f32_e32 vcc, s10, v2
	v_cndmask_b32_e32 v12, v1, v3, vcc
	v_ashrrev_i32_e32 v1, 31, v0
	s_load_dwordx4 s[4:7], s[4:5], 0x20
	v_lshlrev_b64 v[2:3], 2, v[0:1]
	v_mov_b32_e32 v1, s13
	v_add_co_u32_e32 v4, vcc, s12, v2
	v_addc_co_u32_e64 v5, s[0:1], v1, v3, vcc
	s_sub_i32 s0, 0, s9
	v_ashrrev_i32_e32 v7, 31, v6
	v_mov_b32_e32 v1, s0
	s_and_b64 s[0:1], s[14:15], s[20:21]
	v_lshlrev_b64 v[8:9], 2, v[6:7]
	v_mul_lo_u32 v16, v13, s8
	v_cndmask_b32_e64 v1, 1, v1, s[0:1]
	s_waitcnt lgkmcnt(0)
	v_mov_b32_e32 v2, s5
	v_add_co_u32_e64 v6, s[0:1], s4, v8
	v_addc_co_u32_e64 v7, s[0:1], v2, v9, s[0:1]
	v_ashrrev_i32_e32 v17, 31, v16
	global_store_dword v[6:7], v1, off
	v_lshlrev_b64 v[6:7], 2, v[16:17]
	v_mov_b32_e32 v2, s7
	v_add_co_u32_e64 v16, s[0:1], s6, v6
	v_addc_co_u32_e64 v17, s[0:1], v2, v7, s[0:1]
	s_cmp_eq_u32 s8, 1
	global_store_dword v[4:5], v12, off
	global_store_dword v[16:17], v13, off
	s_cbranch_scc1 .LBB210_8
; %bb.6:
	v_sub_f32_e32 v2, 0xff800000, v14
	v_mul_f32_e32 v5, 0x3fb8aa3b, v2
	v_fma_f32 v13, v2, s11, -v5
	v_rndne_f32_e32 v14, v5
	v_fmac_f32_e32 v13, 0x32a5705f, v2
	v_sub_f32_e32 v5, v5, v14
	v_add_f32_e32 v5, v5, v13
	v_cvt_i32_f32_e32 v13, v14
	v_exp_f32_e32 v5, v5
	v_cmp_ngt_f32_e64 s[0:1], s16, v2
	s_add_i32 s19, s19, s18
	v_ldexp_f32 v5, v5, v13
	v_cndmask_b32_e64 v5, 0, v5, s[0:1]
	v_mov_b32_e32 v13, 0x7f800000
	v_cmp_nlt_f32_e64 s[0:1], s10, v2
	v_cndmask_b32_e64 v5, v13, v5, s[0:1]
	v_mov_b32_e32 v2, s7
	v_add_co_u32_e64 v6, s[0:1], s6, v6
	v_addc_co_u32_e64 v2, s[0:1], v7, v2, s[0:1]
	v_add_co_u32_e64 v6, s[0:1], 4, v6
	v_addc_co_u32_e64 v7, s[0:1], 0, v2, s[0:1]
	v_mov_b32_e32 v2, s5
	v_add_co_u32_e64 v8, s[0:1], s4, v8
	v_addc_co_u32_e64 v2, s[0:1], v9, v2, s[0:1]
	v_add_co_u32_e64 v8, s[0:1], 4, v8
	v_addc_co_u32_e64 v9, s[0:1], 0, v2, s[0:1]
	v_mov_b32_e32 v2, s13
	v_addc_co_u32_e32 v3, vcc, v3, v2, vcc
	v_add_co_u32_e32 v2, vcc, 4, v4
	v_addc_co_u32_e32 v3, vcc, 0, v3, vcc
	s_add_i32 s0, s8, -1
	v_add3_u32 v4, s19, v11, v10
.LBB210_7:                              ; =>This Inner Loop Header: Depth=1
	global_store_dword v[2:3], v5, off
	global_store_dword v[8:9], v1, off
	;; [unrolled: 1-line block ×3, first 2 shown]
	v_add_co_u32_e32 v6, vcc, 4, v6
	v_addc_co_u32_e32 v7, vcc, 0, v7, vcc
	v_add_co_u32_e32 v8, vcc, 4, v8
	v_addc_co_u32_e32 v9, vcc, 0, v9, vcc
	v_add_co_u32_e32 v2, vcc, 4, v2
	s_add_i32 s0, s0, -1
	v_add_f32_e32 v12, v12, v5
	v_addc_co_u32_e32 v3, vcc, 0, v3, vcc
	s_cmp_eq_u32 s0, 0
	v_add_u32_e32 v4, s18, v4
	s_cbranch_scc0 .LBB210_7
.LBB210_8:
	v_cmp_neq_f32_e32 vcc, 0, v12
	s_and_b64 exec, exec, vcc
	s_cbranch_execz .LBB210_19
; %bb.9:
	s_andn2_b64 vcc, exec, s[2:3]
	s_cbranch_vccnz .LBB210_19
; %bb.10:
	v_div_scale_f32 v1, s[0:1], v12, v12, 1.0
	v_rcp_f32_e32 v2, v1
	v_div_scale_f32 v3, vcc, 1.0, v12, 1.0
	s_cmp_gt_u32 s8, 3
	v_fma_f32 v4, -v1, v2, 1.0
	v_fmac_f32_e32 v2, v4, v2
	v_mul_f32_e32 v4, v3, v2
	v_fma_f32 v5, -v1, v4, v3
	v_fmac_f32_e32 v4, v5, v2
	v_fma_f32 v1, -v1, v4, v3
	v_div_fmas_f32 v1, v1, v2, v4
	v_div_fixup_f32 v2, v1, v12, 1.0
	v_ashrrev_i32_e32 v1, 31, v0
	s_cbranch_scc0 .LBB210_14
; %bb.11:
	v_lshlrev_b64 v[4:5], 2, v[0:1]
	v_mov_b32_e32 v6, s13
	v_add_co_u32_e32 v4, vcc, s12, v4
	v_addc_co_u32_e32 v5, vcc, v5, v6, vcc
	s_and_b32 s4, s8, 0x7ffffffc
	v_add_co_u32_e32 v4, vcc, 8, v4
	v_mov_b32_e32 v3, v2
	v_addc_co_u32_e32 v5, vcc, 0, v5, vcc
	s_mov_b32 s0, s4
.LBB210_12:                             ; =>This Inner Loop Header: Depth=1
	global_load_dwordx4 v[6:9], v[4:5], off offset:-8
	s_add_i32 s0, s0, -4
	s_cmp_lg_u32 s0, 0
	s_waitcnt vmcnt(0)
	v_pk_mul_f32 v[6:7], v[2:3], v[6:7]
	v_pk_mul_f32 v[8:9], v[2:3], v[8:9]
	global_store_dwordx4 v[4:5], v[6:9], off offset:-8
	v_add_co_u32_e32 v4, vcc, 16, v4
	v_addc_co_u32_e32 v5, vcc, 0, v5, vcc
	s_cbranch_scc1 .LBB210_12
; %bb.13:
	s_cmp_lg_u32 s4, s8
	s_cselect_b64 s[0:1], -1, 0
	s_branch .LBB210_16
.LBB210_14:
	s_mov_b64 s[0:1], 0
                                        ; implicit-def: $sgpr4
	s_cbranch_execz .LBB210_16
; %bb.15:
	s_mov_b64 s[0:1], -1
	s_mov_b32 s4, 0
.LBB210_16:
	s_andn2_b64 vcc, exec, s[0:1]
	s_cbranch_vccnz .LBB210_19
; %bb.17:
	v_add_co_u32_e32 v0, vcc, s4, v0
	v_addc_co_u32_e32 v1, vcc, 0, v1, vcc
	v_lshlrev_b64 v[0:1], 2, v[0:1]
	v_mov_b32_e32 v3, s13
	v_add_co_u32_e32 v0, vcc, s12, v0
	s_sub_i32 s0, s8, s4
	v_addc_co_u32_e32 v1, vcc, v3, v1, vcc
.LBB210_18:                             ; =>This Inner Loop Header: Depth=1
	global_load_dword v3, v[0:1], off
	s_add_i32 s0, s0, -1
	s_cmp_lg_u32 s0, 0
	s_waitcnt vmcnt(0)
	v_mul_f32_e32 v3, v2, v3
	global_store_dword v[0:1], v3, off
	v_add_co_u32_e32 v0, vcc, 4, v0
	v_addc_co_u32_e32 v1, vcc, 0, v1, vcc
	s_cbranch_scc1 .LBB210_18
.LBB210_19:
	s_endpgm
	.section	.rodata,"a",@progbits
	.p2align	6, 0x0
	.amdhsa_kernel _ZN4vllm3moe17topkGatingSoftmaxItLi1ELi1ELi8ELi2ELb1ELi1ELNS0_23SharedExpertScoringFuncE1EEEvPKT_PKbPfiPiS9_iiiiii
		.amdhsa_group_segment_fixed_size 0
		.amdhsa_private_segment_fixed_size 0
		.amdhsa_kernarg_size 72
		.amdhsa_user_sgpr_count 6
		.amdhsa_user_sgpr_private_segment_buffer 1
		.amdhsa_user_sgpr_dispatch_ptr 0
		.amdhsa_user_sgpr_queue_ptr 0
		.amdhsa_user_sgpr_kernarg_segment_ptr 1
		.amdhsa_user_sgpr_dispatch_id 0
		.amdhsa_user_sgpr_flat_scratch_init 0
		.amdhsa_user_sgpr_kernarg_preload_length 0
		.amdhsa_user_sgpr_kernarg_preload_offset 0
		.amdhsa_user_sgpr_private_segment_size 0
		.amdhsa_uses_dynamic_stack 0
		.amdhsa_system_sgpr_private_segment_wavefront_offset 0
		.amdhsa_system_sgpr_workgroup_id_x 1
		.amdhsa_system_sgpr_workgroup_id_y 0
		.amdhsa_system_sgpr_workgroup_id_z 0
		.amdhsa_system_sgpr_workgroup_info 0
		.amdhsa_system_vgpr_workitem_id 1
		.amdhsa_next_free_vgpr 18
		.amdhsa_next_free_sgpr 22
		.amdhsa_accum_offset 20
		.amdhsa_reserve_vcc 1
		.amdhsa_reserve_flat_scratch 0
		.amdhsa_float_round_mode_32 0
		.amdhsa_float_round_mode_16_64 0
		.amdhsa_float_denorm_mode_32 3
		.amdhsa_float_denorm_mode_16_64 3
		.amdhsa_dx10_clamp 1
		.amdhsa_ieee_mode 1
		.amdhsa_fp16_overflow 0
		.amdhsa_tg_split 0
		.amdhsa_exception_fp_ieee_invalid_op 0
		.amdhsa_exception_fp_denorm_src 0
		.amdhsa_exception_fp_ieee_div_zero 0
		.amdhsa_exception_fp_ieee_overflow 0
		.amdhsa_exception_fp_ieee_underflow 0
		.amdhsa_exception_fp_ieee_inexact 0
		.amdhsa_exception_int_div_zero 0
	.end_amdhsa_kernel
	.section	.text._ZN4vllm3moe17topkGatingSoftmaxItLi1ELi1ELi8ELi2ELb1ELi1ELNS0_23SharedExpertScoringFuncE1EEEvPKT_PKbPfiPiS9_iiiiii,"axG",@progbits,_ZN4vllm3moe17topkGatingSoftmaxItLi1ELi1ELi8ELi2ELb1ELi1ELNS0_23SharedExpertScoringFuncE1EEEvPKT_PKbPfiPiS9_iiiiii,comdat
.Lfunc_end210:
	.size	_ZN4vllm3moe17topkGatingSoftmaxItLi1ELi1ELi8ELi2ELb1ELi1ELNS0_23SharedExpertScoringFuncE1EEEvPKT_PKbPfiPiS9_iiiiii, .Lfunc_end210-_ZN4vllm3moe17topkGatingSoftmaxItLi1ELi1ELi8ELi2ELb1ELi1ELNS0_23SharedExpertScoringFuncE1EEEvPKT_PKbPfiPiS9_iiiiii
                                        ; -- End function
	.section	.AMDGPU.csdata,"",@progbits
; Kernel info:
; codeLenInByte = 1336
; NumSgprs: 26
; NumVgprs: 18
; NumAgprs: 0
; TotalNumVgprs: 18
; ScratchSize: 0
; MemoryBound: 0
; FloatMode: 240
; IeeeMode: 1
; LDSByteSize: 0 bytes/workgroup (compile time only)
; SGPRBlocks: 3
; VGPRBlocks: 2
; NumSGPRsForWavesPerEU: 26
; NumVGPRsForWavesPerEU: 18
; AccumOffset: 20
; Occupancy: 8
; WaveLimiterHint : 0
; COMPUTE_PGM_RSRC2:SCRATCH_EN: 0
; COMPUTE_PGM_RSRC2:USER_SGPR: 6
; COMPUTE_PGM_RSRC2:TRAP_HANDLER: 0
; COMPUTE_PGM_RSRC2:TGID_X_EN: 1
; COMPUTE_PGM_RSRC2:TGID_Y_EN: 0
; COMPUTE_PGM_RSRC2:TGID_Z_EN: 0
; COMPUTE_PGM_RSRC2:TIDIG_COMP_CNT: 1
; COMPUTE_PGM_RSRC3_GFX90A:ACCUM_OFFSET: 4
; COMPUTE_PGM_RSRC3_GFX90A:TG_SPLIT: 0
	.section	.text._ZN4vllm3moe17topkGatingSoftmaxItLi1ELi1ELi8ELi2ELb0ELi1ELNS0_23SharedExpertScoringFuncE1EEEvPKT_PKbPfiPiS9_iiiiii,"axG",@progbits,_ZN4vllm3moe17topkGatingSoftmaxItLi1ELi1ELi8ELi2ELb0ELi1ELNS0_23SharedExpertScoringFuncE1EEEvPKT_PKbPfiPiS9_iiiiii,comdat
	.protected	_ZN4vllm3moe17topkGatingSoftmaxItLi1ELi1ELi8ELi2ELb0ELi1ELNS0_23SharedExpertScoringFuncE1EEEvPKT_PKbPfiPiS9_iiiiii ; -- Begin function _ZN4vllm3moe17topkGatingSoftmaxItLi1ELi1ELi8ELi2ELb0ELi1ELNS0_23SharedExpertScoringFuncE1EEEvPKT_PKbPfiPiS9_iiiiii
	.globl	_ZN4vllm3moe17topkGatingSoftmaxItLi1ELi1ELi8ELi2ELb0ELi1ELNS0_23SharedExpertScoringFuncE1EEEvPKT_PKbPfiPiS9_iiiiii
	.p2align	8
	.type	_ZN4vllm3moe17topkGatingSoftmaxItLi1ELi1ELi8ELi2ELb0ELi1ELNS0_23SharedExpertScoringFuncE1EEEvPKT_PKbPfiPiS9_iiiiii,@function
_ZN4vllm3moe17topkGatingSoftmaxItLi1ELi1ELi8ELi2ELb0ELi1ELNS0_23SharedExpertScoringFuncE1EEEvPKT_PKbPfiPiS9_iiiiii: ; @_ZN4vllm3moe17topkGatingSoftmaxItLi1ELi1ELi8ELi2ELb0ELi1ELNS0_23SharedExpertScoringFuncE1EEEvPKT_PKbPfiPiS9_iiiiii
; %bb.0:
	s_load_dword s18, s[4:5], 0x18
	v_bfe_u32 v1, v0, 10, 10
	s_lshl_b32 s19, s6, 9
	v_lshlrev_b32_e32 v10, 6, v1
	v_and_b32_e32 v11, 0x3ff, v0
	v_add3_u32 v14, v10, v11, s19
	s_waitcnt lgkmcnt(0)
	v_cmp_gt_i32_e32 vcc, s18, v14
	s_and_saveexec_b64 s[0:1], vcc
	s_cbranch_execz .LBB211_20
; %bb.1:
	s_load_dwordx4 s[0:3], s[4:5], 0x0
	s_load_dwordx2 s[12:13], s[4:5], 0x10
	s_waitcnt lgkmcnt(0)
	s_cmp_eq_u64 s[2:3], 0
	s_cbranch_scc1 .LBB211_3
; %bb.2:
	v_ashrrev_i32_e32 v1, 31, v14
	v_mov_b32_e32 v2, s3
	v_add_co_u32_e32 v0, vcc, s2, v14
	v_addc_co_u32_e32 v1, vcc, v2, v1, vcc
	global_load_ubyte v0, v[0:1], off
	s_waitcnt vmcnt(0)
	v_and_b32_e32 v0, 1, v0
	v_cmp_eq_u32_e32 vcc, 1, v0
	s_xor_b64 s[2:3], vcc, -1
	s_orn2_b64 s[14:15], s[2:3], exec
	s_branch .LBB211_4
.LBB211_3:
	s_mov_b64 s[14:15], -1
.LBB211_4:
	s_load_dwordx2 s[16:17], s[4:5], 0x40
	s_load_dwordx4 s[8:11], s[4:5], 0x30
	v_mov_b32_e32 v2, s1
	v_mov_b32_e32 v4, s13
	s_mov_b32 s1, 0x42ce8ed0
	s_waitcnt lgkmcnt(0)
	v_mul_lo_u32 v0, v14, s17
	v_ashrrev_i32_e32 v1, 31, v0
	v_lshlrev_b64 v[0:1], 1, v[0:1]
	v_add_co_u32_e32 v0, vcc, s0, v0
	v_addc_co_u32_e32 v1, vcc, v2, v1, vcc
	global_load_dword v1, v[0:1], off
	s_mov_b32 s0, 0xbfb8aa3b
	v_mul_lo_u32 v0, v14, s11
	v_add_u32_e32 v2, s8, v0
	v_ashrrev_i32_e32 v3, 31, v2
	v_lshlrev_b64 v[2:3], 2, v[2:3]
	v_add_co_u32_e32 v2, vcc, s12, v2
	v_addc_co_u32_e32 v3, vcc, v4, v3, vcc
	s_mov_b32 s6, 0xc2b17218
	v_mov_b32_e32 v12, 0x7f800000
	s_cmp_gt_i32 s8, 0
	v_mov_b32_e32 v13, 0
	s_cselect_b64 s[2:3], -1, 0
	s_cmp_lt_i32 s8, 1
	s_waitcnt vmcnt(0)
	v_cvt_f32_u32_sdwa v5, v1 dst_sel:DWORD dst_unused:UNUSED_PAD src0_sel:WORD_1
	v_cvt_f32_u32_sdwa v15, v1 dst_sel:DWORD dst_unused:UNUSED_PAD src0_sel:WORD_0
	v_mul_f32_e32 v6, 0xbfb8aa3b, v5
	v_fma_f32 v7, v5, s0, -v6
	v_rndne_f32_e32 v8, v6
	v_fmac_f32_e32 v7, 0xb2a5705f, v5
	v_sub_f32_e32 v6, v6, v8
	v_add_f32_e32 v6, v6, v7
	v_cvt_i32_f32_e32 v8, v8
	v_exp_f32_e32 v6, v6
	v_cmp_nlt_f32_e32 vcc, s1, v5
	v_ldexp_f32 v4, v6, v8
	v_cndmask_b32_e32 v4, 0, v4, vcc
	v_cmp_ngt_f32_e32 vcc, s6, v5
	v_cndmask_b32_e32 v4, v12, v4, vcc
	v_add_f32_e32 v4, 1.0, v4
	v_div_scale_f32 v5, s[0:1], v4, v4, 1.0
	v_rcp_f32_e32 v6, v5
	v_div_scale_f32 v1, vcc, 1.0, v4, 1.0
	v_fma_f32 v7, -v5, v6, 1.0
	v_fmac_f32_e32 v6, v7, v6
	v_mul_f32_e32 v7, v1, v6
	v_fma_f32 v8, -v5, v7, v1
	v_fmac_f32_e32 v7, v8, v6
	v_fma_f32 v1, -v5, v7, v1
	v_div_fmas_f32 v1, v1, v6, v7
	v_div_fixup_f32 v1, v1, v4, 1.0
	global_store_dword v[2:3], v1, off
	v_mov_b32_e32 v1, v15
	s_cbranch_scc1 .LBB211_9
; %bb.5:
	v_sub_f32_e32 v1, v15, v15
	v_mul_f32_e32 v2, 0x3fb8aa3b, v1
	s_mov_b32 s11, 0x3fb8aa3b
	v_rndne_f32_e32 v3, v2
	v_sub_f32_e32 v4, v2, v3
	v_fma_f32 v2, v1, s11, -v2
	v_fmac_f32_e32 v2, 0x32a5705f, v1
	v_add_f32_e32 v2, v4, v2
	s_cmp_lt_i32 s9, 1
	v_exp_f32_e32 v2, v2
	v_cvt_i32_f32_e32 v3, v3
	s_cselect_b64 s[0:1], -1, 0
	s_cmp_gt_i32 s10, 0
	v_mul_lo_u32 v6, v14, s16
	s_cselect_b64 s[16:17], -1, 0
	s_and_b64 s[20:21], s[0:1], s[16:17]
	s_mov_b32 s16, 0xc2ce8ed0
	v_ldexp_f32 v2, v2, v3
	v_cmp_ngt_f32_e32 vcc, s16, v1
	s_mov_b32 s10, 0x42b17218
	v_cndmask_b32_e32 v2, 0, v2, vcc
	v_cmp_nlt_f32_e32 vcc, s10, v1
	v_ashrrev_i32_e32 v1, 31, v0
	s_load_dwordx4 s[4:7], s[4:5], 0x20
	v_cndmask_b32_e32 v13, v12, v2, vcc
	v_lshlrev_b64 v[2:3], 2, v[0:1]
	v_mov_b32_e32 v1, s13
	v_add_co_u32_e32 v4, vcc, s12, v2
	v_addc_co_u32_e64 v5, s[0:1], v1, v3, vcc
	s_sub_i32 s0, 0, s9
	v_ashrrev_i32_e32 v7, 31, v6
	v_mov_b32_e32 v1, s0
	s_and_b64 s[0:1], s[14:15], s[20:21]
	v_lshlrev_b64 v[8:9], 2, v[6:7]
	v_mul_lo_u32 v16, v14, s8
	v_cndmask_b32_e64 v1, 1, v1, s[0:1]
	s_waitcnt lgkmcnt(0)
	v_mov_b32_e32 v2, s5
	v_add_co_u32_e64 v6, s[0:1], s4, v8
	v_addc_co_u32_e64 v7, s[0:1], v2, v9, s[0:1]
	v_ashrrev_i32_e32 v17, 31, v16
	global_store_dword v[6:7], v1, off
	v_lshlrev_b64 v[6:7], 2, v[16:17]
	v_mov_b32_e32 v2, s7
	v_add_co_u32_e64 v16, s[0:1], s6, v6
	v_addc_co_u32_e64 v17, s[0:1], v2, v7, s[0:1]
	s_cmp_eq_u32 s8, 1
	global_store_dword v[4:5], v13, off
	global_store_dword v[16:17], v14, off
	s_cbranch_scc1 .LBB211_8
; %bb.6:
	v_sub_f32_e32 v2, 0xff800000, v15
	v_mul_f32_e32 v5, 0x3fb8aa3b, v2
	v_fma_f32 v14, v2, s11, -v5
	v_rndne_f32_e32 v16, v5
	v_fmac_f32_e32 v14, 0x32a5705f, v2
	v_sub_f32_e32 v5, v5, v16
	v_add_f32_e32 v5, v5, v14
	v_cvt_i32_f32_e32 v14, v16
	v_exp_f32_e32 v5, v5
	v_cmp_ngt_f32_e64 s[0:1], s16, v2
	s_add_i32 s19, s19, s18
	v_ldexp_f32 v5, v5, v14
	v_cndmask_b32_e64 v5, 0, v5, s[0:1]
	v_mov_b32_e32 v14, 0x7f800000
	v_cmp_nlt_f32_e64 s[0:1], s10, v2
	v_cndmask_b32_e64 v5, v14, v5, s[0:1]
	v_mov_b32_e32 v2, s7
	v_add_co_u32_e64 v6, s[0:1], s6, v6
	v_addc_co_u32_e64 v2, s[0:1], v7, v2, s[0:1]
	v_add_co_u32_e64 v6, s[0:1], 4, v6
	v_addc_co_u32_e64 v7, s[0:1], 0, v2, s[0:1]
	v_mov_b32_e32 v2, s5
	v_add_co_u32_e64 v8, s[0:1], s4, v8
	v_addc_co_u32_e64 v2, s[0:1], v9, v2, s[0:1]
	v_add_co_u32_e64 v8, s[0:1], 4, v8
	v_addc_co_u32_e64 v9, s[0:1], 0, v2, s[0:1]
	v_mov_b32_e32 v2, s13
	v_addc_co_u32_e32 v3, vcc, v3, v2, vcc
	v_add_co_u32_e32 v2, vcc, 4, v4
	v_addc_co_u32_e32 v3, vcc, 0, v3, vcc
	s_add_i32 s0, s8, -1
	v_add3_u32 v4, s19, v11, v10
.LBB211_7:                              ; =>This Inner Loop Header: Depth=1
	global_store_dword v[2:3], v5, off
	global_store_dword v[8:9], v1, off
	;; [unrolled: 1-line block ×3, first 2 shown]
	v_add_co_u32_e32 v6, vcc, 4, v6
	v_addc_co_u32_e32 v7, vcc, 0, v7, vcc
	v_add_co_u32_e32 v8, vcc, 4, v8
	v_addc_co_u32_e32 v9, vcc, 0, v9, vcc
	v_add_co_u32_e32 v2, vcc, 4, v2
	s_add_i32 s0, s0, -1
	v_add_f32_e32 v13, v13, v5
	v_addc_co_u32_e32 v3, vcc, 0, v3, vcc
	s_cmp_eq_u32 s0, 0
	v_add_u32_e32 v4, s18, v4
	s_cbranch_scc0 .LBB211_7
.LBB211_8:
	v_mov_b32_e32 v1, 0xff800000
.LBB211_9:
	v_sub_f32_e32 v1, v1, v15
	s_mov_b32 s0, 0x3fb8aa3b
	v_mul_f32_e32 v2, 0x3fb8aa3b, v1
	v_fma_f32 v3, v1, s0, -v2
	v_rndne_f32_e32 v4, v2
	v_fmac_f32_e32 v3, 0x32a5705f, v1
	v_sub_f32_e32 v2, v2, v4
	v_add_f32_e32 v2, v2, v3
	v_exp_f32_e32 v2, v2
	v_cvt_i32_f32_e32 v3, v4
	s_mov_b32 s0, 0xc2ce8ed0
	v_cmp_ngt_f32_e32 vcc, s0, v1
	s_mov_b32 s0, 0x42b17218
	v_ldexp_f32 v2, v2, v3
	v_cndmask_b32_e32 v2, 0, v2, vcc
	v_cmp_nlt_f32_e32 vcc, s0, v1
	v_cndmask_b32_e32 v1, v12, v2, vcc
	v_add_f32_e32 v1, v13, v1
	v_cmp_neq_f32_e32 vcc, 0, v1
	s_and_b64 exec, exec, vcc
	s_cbranch_execz .LBB211_20
; %bb.10:
	s_andn2_b64 vcc, exec, s[2:3]
	s_cbranch_vccnz .LBB211_20
; %bb.11:
	v_div_scale_f32 v2, s[0:1], v1, v1, 1.0
	v_rcp_f32_e32 v3, v2
	v_div_scale_f32 v4, vcc, 1.0, v1, 1.0
	s_cmp_gt_u32 s8, 3
	v_fma_f32 v5, -v2, v3, 1.0
	v_fmac_f32_e32 v3, v5, v3
	v_mul_f32_e32 v5, v4, v3
	v_fma_f32 v6, -v2, v5, v4
	v_fmac_f32_e32 v5, v6, v3
	v_fma_f32 v2, -v2, v5, v4
	v_div_fmas_f32 v2, v2, v3, v5
	v_div_fixup_f32 v2, v2, v1, 1.0
	v_ashrrev_i32_e32 v1, 31, v0
	s_cbranch_scc0 .LBB211_15
; %bb.12:
	v_lshlrev_b64 v[4:5], 2, v[0:1]
	v_mov_b32_e32 v6, s13
	v_add_co_u32_e32 v4, vcc, s12, v4
	v_addc_co_u32_e32 v5, vcc, v5, v6, vcc
	s_and_b32 s4, s8, 0x7ffffffc
	v_add_co_u32_e32 v4, vcc, 8, v4
	v_mov_b32_e32 v3, v2
	v_addc_co_u32_e32 v5, vcc, 0, v5, vcc
	s_mov_b32 s0, s4
.LBB211_13:                             ; =>This Inner Loop Header: Depth=1
	global_load_dwordx4 v[6:9], v[4:5], off offset:-8
	s_add_i32 s0, s0, -4
	s_cmp_lg_u32 s0, 0
	s_waitcnt vmcnt(0)
	v_pk_mul_f32 v[6:7], v[2:3], v[6:7]
	v_pk_mul_f32 v[8:9], v[2:3], v[8:9]
	global_store_dwordx4 v[4:5], v[6:9], off offset:-8
	v_add_co_u32_e32 v4, vcc, 16, v4
	v_addc_co_u32_e32 v5, vcc, 0, v5, vcc
	s_cbranch_scc1 .LBB211_13
; %bb.14:
	s_cmp_lg_u32 s4, s8
	s_cselect_b64 s[0:1], -1, 0
	s_branch .LBB211_17
.LBB211_15:
	s_mov_b64 s[0:1], 0
                                        ; implicit-def: $sgpr4
	s_cbranch_execz .LBB211_17
; %bb.16:
	s_mov_b64 s[0:1], -1
	s_mov_b32 s4, 0
.LBB211_17:
	s_andn2_b64 vcc, exec, s[0:1]
	s_cbranch_vccnz .LBB211_20
; %bb.18:
	v_add_co_u32_e32 v0, vcc, s4, v0
	v_addc_co_u32_e32 v1, vcc, 0, v1, vcc
	v_lshlrev_b64 v[0:1], 2, v[0:1]
	v_mov_b32_e32 v3, s13
	v_add_co_u32_e32 v0, vcc, s12, v0
	s_sub_i32 s0, s8, s4
	v_addc_co_u32_e32 v1, vcc, v3, v1, vcc
.LBB211_19:                             ; =>This Inner Loop Header: Depth=1
	global_load_dword v3, v[0:1], off
	s_add_i32 s0, s0, -1
	s_cmp_lg_u32 s0, 0
	s_waitcnt vmcnt(0)
	v_mul_f32_e32 v3, v2, v3
	global_store_dword v[0:1], v3, off
	v_add_co_u32_e32 v0, vcc, 4, v0
	v_addc_co_u32_e32 v1, vcc, 0, v1, vcc
	s_cbranch_scc1 .LBB211_19
.LBB211_20:
	s_endpgm
	.section	.rodata,"a",@progbits
	.p2align	6, 0x0
	.amdhsa_kernel _ZN4vllm3moe17topkGatingSoftmaxItLi1ELi1ELi8ELi2ELb0ELi1ELNS0_23SharedExpertScoringFuncE1EEEvPKT_PKbPfiPiS9_iiiiii
		.amdhsa_group_segment_fixed_size 0
		.amdhsa_private_segment_fixed_size 0
		.amdhsa_kernarg_size 72
		.amdhsa_user_sgpr_count 6
		.amdhsa_user_sgpr_private_segment_buffer 1
		.amdhsa_user_sgpr_dispatch_ptr 0
		.amdhsa_user_sgpr_queue_ptr 0
		.amdhsa_user_sgpr_kernarg_segment_ptr 1
		.amdhsa_user_sgpr_dispatch_id 0
		.amdhsa_user_sgpr_flat_scratch_init 0
		.amdhsa_user_sgpr_kernarg_preload_length 0
		.amdhsa_user_sgpr_kernarg_preload_offset 0
		.amdhsa_user_sgpr_private_segment_size 0
		.amdhsa_uses_dynamic_stack 0
		.amdhsa_system_sgpr_private_segment_wavefront_offset 0
		.amdhsa_system_sgpr_workgroup_id_x 1
		.amdhsa_system_sgpr_workgroup_id_y 0
		.amdhsa_system_sgpr_workgroup_id_z 0
		.amdhsa_system_sgpr_workgroup_info 0
		.amdhsa_system_vgpr_workitem_id 1
		.amdhsa_next_free_vgpr 18
		.amdhsa_next_free_sgpr 22
		.amdhsa_accum_offset 20
		.amdhsa_reserve_vcc 1
		.amdhsa_reserve_flat_scratch 0
		.amdhsa_float_round_mode_32 0
		.amdhsa_float_round_mode_16_64 0
		.amdhsa_float_denorm_mode_32 3
		.amdhsa_float_denorm_mode_16_64 3
		.amdhsa_dx10_clamp 1
		.amdhsa_ieee_mode 1
		.amdhsa_fp16_overflow 0
		.amdhsa_tg_split 0
		.amdhsa_exception_fp_ieee_invalid_op 0
		.amdhsa_exception_fp_denorm_src 0
		.amdhsa_exception_fp_ieee_div_zero 0
		.amdhsa_exception_fp_ieee_overflow 0
		.amdhsa_exception_fp_ieee_underflow 0
		.amdhsa_exception_fp_ieee_inexact 0
		.amdhsa_exception_int_div_zero 0
	.end_amdhsa_kernel
	.section	.text._ZN4vllm3moe17topkGatingSoftmaxItLi1ELi1ELi8ELi2ELb0ELi1ELNS0_23SharedExpertScoringFuncE1EEEvPKT_PKbPfiPiS9_iiiiii,"axG",@progbits,_ZN4vllm3moe17topkGatingSoftmaxItLi1ELi1ELi8ELi2ELb0ELi1ELNS0_23SharedExpertScoringFuncE1EEEvPKT_PKbPfiPiS9_iiiiii,comdat
.Lfunc_end211:
	.size	_ZN4vllm3moe17topkGatingSoftmaxItLi1ELi1ELi8ELi2ELb0ELi1ELNS0_23SharedExpertScoringFuncE1EEEvPKT_PKbPfiPiS9_iiiiii, .Lfunc_end211-_ZN4vllm3moe17topkGatingSoftmaxItLi1ELi1ELi8ELi2ELb0ELi1ELNS0_23SharedExpertScoringFuncE1EEEvPKT_PKbPfiPiS9_iiiiii
                                        ; -- End function
	.section	.AMDGPU.csdata,"",@progbits
; Kernel info:
; codeLenInByte = 1448
; NumSgprs: 26
; NumVgprs: 18
; NumAgprs: 0
; TotalNumVgprs: 18
; ScratchSize: 0
; MemoryBound: 0
; FloatMode: 240
; IeeeMode: 1
; LDSByteSize: 0 bytes/workgroup (compile time only)
; SGPRBlocks: 3
; VGPRBlocks: 2
; NumSGPRsForWavesPerEU: 26
; NumVGPRsForWavesPerEU: 18
; AccumOffset: 20
; Occupancy: 8
; WaveLimiterHint : 0
; COMPUTE_PGM_RSRC2:SCRATCH_EN: 0
; COMPUTE_PGM_RSRC2:USER_SGPR: 6
; COMPUTE_PGM_RSRC2:TRAP_HANDLER: 0
; COMPUTE_PGM_RSRC2:TGID_X_EN: 1
; COMPUTE_PGM_RSRC2:TGID_Y_EN: 0
; COMPUTE_PGM_RSRC2:TGID_Z_EN: 0
; COMPUTE_PGM_RSRC2:TIDIG_COMP_CNT: 1
; COMPUTE_PGM_RSRC3_GFX90A:ACCUM_OFFSET: 4
; COMPUTE_PGM_RSRC3_GFX90A:TG_SPLIT: 0
	.section	.text._ZN4vllm3moe17topkGatingSoftmaxItLi1ELi1ELi8ELi2ELb1ELi2ELNS0_23SharedExpertScoringFuncE1EEEvPKT_PKbPfiPiS9_iiiiii,"axG",@progbits,_ZN4vllm3moe17topkGatingSoftmaxItLi1ELi1ELi8ELi2ELb1ELi2ELNS0_23SharedExpertScoringFuncE1EEEvPKT_PKbPfiPiS9_iiiiii,comdat
	.protected	_ZN4vllm3moe17topkGatingSoftmaxItLi1ELi1ELi8ELi2ELb1ELi2ELNS0_23SharedExpertScoringFuncE1EEEvPKT_PKbPfiPiS9_iiiiii ; -- Begin function _ZN4vllm3moe17topkGatingSoftmaxItLi1ELi1ELi8ELi2ELb1ELi2ELNS0_23SharedExpertScoringFuncE1EEEvPKT_PKbPfiPiS9_iiiiii
	.globl	_ZN4vllm3moe17topkGatingSoftmaxItLi1ELi1ELi8ELi2ELb1ELi2ELNS0_23SharedExpertScoringFuncE1EEEvPKT_PKbPfiPiS9_iiiiii
	.p2align	8
	.type	_ZN4vllm3moe17topkGatingSoftmaxItLi1ELi1ELi8ELi2ELb1ELi2ELNS0_23SharedExpertScoringFuncE1EEEvPKT_PKbPfiPiS9_iiiiii,@function
_ZN4vllm3moe17topkGatingSoftmaxItLi1ELi1ELi8ELi2ELb1ELi2ELNS0_23SharedExpertScoringFuncE1EEEvPKT_PKbPfiPiS9_iiiiii: ; @_ZN4vllm3moe17topkGatingSoftmaxItLi1ELi1ELi8ELi2ELb1ELi2ELNS0_23SharedExpertScoringFuncE1EEEvPKT_PKbPfiPiS9_iiiiii
; %bb.0:
	s_load_dword s18, s[4:5], 0x18
	v_bfe_u32 v1, v0, 10, 10
	s_lshl_b32 s19, s6, 9
	v_lshlrev_b32_e32 v10, 6, v1
	v_and_b32_e32 v11, 0x3ff, v0
	v_add3_u32 v13, v10, v11, s19
	s_waitcnt lgkmcnt(0)
	v_cmp_gt_i32_e32 vcc, s18, v13
	s_and_saveexec_b64 s[0:1], vcc
	s_cbranch_execz .LBB212_19
; %bb.1:
	s_load_dwordx4 s[0:3], s[4:5], 0x0
	s_load_dwordx2 s[12:13], s[4:5], 0x10
	s_waitcnt lgkmcnt(0)
	s_cmp_eq_u64 s[2:3], 0
	s_cbranch_scc1 .LBB212_3
; %bb.2:
	v_ashrrev_i32_e32 v1, 31, v13
	v_mov_b32_e32 v2, s3
	v_add_co_u32_e32 v0, vcc, s2, v13
	v_addc_co_u32_e32 v1, vcc, v2, v1, vcc
	global_load_ubyte v0, v[0:1], off
	s_waitcnt vmcnt(0)
	v_and_b32_e32 v0, 1, v0
	v_cmp_eq_u32_e32 vcc, 1, v0
	s_xor_b64 s[2:3], vcc, -1
	s_orn2_b64 s[14:15], s[2:3], exec
	s_branch .LBB212_4
.LBB212_3:
	s_mov_b64 s[14:15], -1
.LBB212_4:
	s_load_dwordx2 s[16:17], s[4:5], 0x40
	s_load_dwordx4 s[8:11], s[4:5], 0x30
	v_mov_b32_e32 v2, s1
	v_mov_b32_e32 v6, s13
	s_mov_b32 s1, 0x42ce8ed0
	s_waitcnt lgkmcnt(0)
	v_mul_lo_u32 v0, v13, s17
	v_ashrrev_i32_e32 v1, 31, v0
	v_lshlrev_b64 v[0:1], 1, v[0:1]
	v_add_co_u32_e32 v0, vcc, s0, v0
	v_addc_co_u32_e32 v1, vcc, v2, v1, vcc
	global_load_ushort v3, v[0:1], off offset:4
	global_load_dword v2, v[0:1], off
	s_mov_b32 s0, 0xbfb8aa3b
	v_mul_lo_u32 v0, v13, s11
	v_add_u32_e32 v4, s8, v0
	v_ashrrev_i32_e32 v5, 31, v4
	v_lshlrev_b64 v[4:5], 2, v[4:5]
	v_add_co_u32_e32 v4, vcc, s12, v4
	v_addc_co_u32_e32 v5, vcc, v6, v5, vcc
	s_mov_b32 s6, 0xc2b17218
	v_mov_b32_e32 v1, 0x7f800000
	s_cmp_gt_i32 s8, 0
	v_mov_b32_e32 v12, 0
	s_cselect_b64 s[2:3], -1, 0
	s_cmp_lt_i32 s8, 1
	s_waitcnt vmcnt(1)
	v_cvt_f32_u32_sdwa v3, v3 dst_sel:DWORD dst_unused:UNUSED_PAD src0_sel:WORD_0
	s_waitcnt vmcnt(0)
	v_cvt_f32_u32_sdwa v8, v2 dst_sel:DWORD dst_unused:UNUSED_PAD src0_sel:WORD_1
	v_mul_f32_e32 v7, 0xbfb8aa3b, v3
	v_mul_f32_e32 v9, 0xbfb8aa3b, v8
	v_fma_f32 v14, v3, s0, -v7
	v_rndne_f32_e32 v15, v7
	v_fma_f32 v16, v8, s0, -v9
	v_rndne_f32_e32 v17, v9
	v_fmac_f32_e32 v14, 0xb2a5705f, v3
	v_sub_f32_e32 v7, v7, v15
	v_fmac_f32_e32 v16, 0xb2a5705f, v8
	v_sub_f32_e32 v9, v9, v17
	v_add_f32_e32 v7, v7, v14
	v_cvt_i32_f32_e32 v15, v15
	v_add_f32_e32 v9, v9, v16
	v_exp_f32_e32 v7, v7
	v_cvt_i32_f32_e32 v17, v17
	v_exp_f32_e32 v9, v9
	v_cmp_nlt_f32_e32 vcc, s1, v3
	v_ldexp_f32 v6, v7, v15
	v_cndmask_b32_e32 v6, 0, v6, vcc
	v_ldexp_f32 v7, v9, v17
	v_cmp_nlt_f32_e32 vcc, s1, v8
	v_cndmask_b32_e32 v9, 0, v7, vcc
	v_cmp_ngt_f32_e32 vcc, s6, v3
	v_cndmask_b32_e32 v7, v1, v6, vcc
	v_cmp_ngt_f32_e32 vcc, s6, v8
	v_cndmask_b32_e32 v6, v1, v9, vcc
	v_pk_add_f32 v[6:7], v[6:7], 1.0 op_sel_hi:[1,0]
	v_div_scale_f32 v3, s[0:1], v7, v7, 1.0
	v_div_scale_f32 v9, s[0:1], v6, v6, 1.0
	v_rcp_f32_e32 v14, v3
	v_rcp_f32_e32 v15, v9
	v_div_scale_f32 v8, vcc, 1.0, v7, 1.0
	v_fma_f32 v17, -v3, v14, 1.0
	v_fma_f32 v18, -v9, v15, 1.0
	v_fmac_f32_e32 v14, v17, v14
	v_div_scale_f32 v16, s[0:1], 1.0, v6, 1.0
	v_fmac_f32_e32 v15, v18, v15
	v_mul_f32_e32 v17, v8, v14
	v_mul_f32_e32 v18, v16, v15
	v_fma_f32 v19, -v3, v17, v8
	v_fma_f32 v20, -v9, v18, v16
	v_fmac_f32_e32 v17, v19, v14
	v_fmac_f32_e32 v18, v20, v15
	v_fma_f32 v3, -v3, v17, v8
	v_fma_f32 v8, -v9, v18, v16
	v_div_fmas_f32 v3, v3, v14, v17
	s_mov_b64 vcc, s[0:1]
	v_div_fixup_f32 v7, v3, v7, 1.0
	v_div_fmas_f32 v3, v8, v15, v18
	v_div_fixup_f32 v6, v3, v6, 1.0
	global_store_dwordx2 v[4:5], v[6:7], off
	s_cbranch_scc1 .LBB212_8
; %bb.5:
	v_cvt_f32_u32_sdwa v14, v2 dst_sel:DWORD dst_unused:UNUSED_PAD src0_sel:WORD_0
	s_mov_b32 s11, 0x3fb8aa3b
	s_cmp_lt_i32 s9, 1
	s_cselect_b64 s[0:1], -1, 0
	v_sub_f32_e32 v2, v14, v14
	v_mul_f32_e32 v3, 0x3fb8aa3b, v2
	v_fma_f32 v4, v2, s11, -v3
	v_rndne_f32_e32 v5, v3
	v_fmac_f32_e32 v4, 0x32a5705f, v2
	v_sub_f32_e32 v3, v3, v5
	v_add_f32_e32 v3, v3, v4
	v_exp_f32_e32 v3, v3
	v_cvt_i32_f32_e32 v4, v5
	s_cmp_gt_i32 s10, 0
	v_mul_lo_u32 v6, v13, s16
	s_cselect_b64 s[16:17], -1, 0
	s_and_b64 s[20:21], s[0:1], s[16:17]
	s_mov_b32 s16, 0xc2ce8ed0
	v_ldexp_f32 v3, v3, v4
	v_cmp_ngt_f32_e32 vcc, s16, v2
	s_mov_b32 s10, 0x42b17218
	v_cndmask_b32_e32 v3, 0, v3, vcc
	v_cmp_nlt_f32_e32 vcc, s10, v2
	v_cndmask_b32_e32 v12, v1, v3, vcc
	v_ashrrev_i32_e32 v1, 31, v0
	s_load_dwordx4 s[4:7], s[4:5], 0x20
	v_lshlrev_b64 v[2:3], 2, v[0:1]
	v_mov_b32_e32 v1, s13
	v_add_co_u32_e32 v4, vcc, s12, v2
	v_addc_co_u32_e64 v5, s[0:1], v1, v3, vcc
	s_sub_i32 s0, 0, s9
	v_ashrrev_i32_e32 v7, 31, v6
	v_mov_b32_e32 v1, s0
	s_and_b64 s[0:1], s[14:15], s[20:21]
	v_lshlrev_b64 v[8:9], 2, v[6:7]
	v_mul_lo_u32 v16, v13, s8
	v_cndmask_b32_e64 v1, 1, v1, s[0:1]
	s_waitcnt lgkmcnt(0)
	v_mov_b32_e32 v2, s5
	v_add_co_u32_e64 v6, s[0:1], s4, v8
	v_addc_co_u32_e64 v7, s[0:1], v2, v9, s[0:1]
	v_ashrrev_i32_e32 v17, 31, v16
	global_store_dword v[6:7], v1, off
	v_lshlrev_b64 v[6:7], 2, v[16:17]
	v_mov_b32_e32 v2, s7
	v_add_co_u32_e64 v16, s[0:1], s6, v6
	v_addc_co_u32_e64 v17, s[0:1], v2, v7, s[0:1]
	s_cmp_eq_u32 s8, 1
	global_store_dword v[4:5], v12, off
	global_store_dword v[16:17], v13, off
	s_cbranch_scc1 .LBB212_8
; %bb.6:
	v_sub_f32_e32 v2, 0xff800000, v14
	v_mul_f32_e32 v5, 0x3fb8aa3b, v2
	v_fma_f32 v13, v2, s11, -v5
	v_rndne_f32_e32 v14, v5
	v_fmac_f32_e32 v13, 0x32a5705f, v2
	v_sub_f32_e32 v5, v5, v14
	v_add_f32_e32 v5, v5, v13
	v_cvt_i32_f32_e32 v13, v14
	v_exp_f32_e32 v5, v5
	v_cmp_ngt_f32_e64 s[0:1], s16, v2
	s_add_i32 s19, s19, s18
	v_ldexp_f32 v5, v5, v13
	v_cndmask_b32_e64 v5, 0, v5, s[0:1]
	v_mov_b32_e32 v13, 0x7f800000
	v_cmp_nlt_f32_e64 s[0:1], s10, v2
	v_cndmask_b32_e64 v5, v13, v5, s[0:1]
	v_mov_b32_e32 v2, s7
	v_add_co_u32_e64 v6, s[0:1], s6, v6
	v_addc_co_u32_e64 v2, s[0:1], v7, v2, s[0:1]
	v_add_co_u32_e64 v6, s[0:1], 4, v6
	v_addc_co_u32_e64 v7, s[0:1], 0, v2, s[0:1]
	v_mov_b32_e32 v2, s5
	v_add_co_u32_e64 v8, s[0:1], s4, v8
	v_addc_co_u32_e64 v2, s[0:1], v9, v2, s[0:1]
	v_add_co_u32_e64 v8, s[0:1], 4, v8
	v_addc_co_u32_e64 v9, s[0:1], 0, v2, s[0:1]
	v_mov_b32_e32 v2, s13
	v_addc_co_u32_e32 v3, vcc, v3, v2, vcc
	v_add_co_u32_e32 v2, vcc, 4, v4
	v_addc_co_u32_e32 v3, vcc, 0, v3, vcc
	s_add_i32 s0, s8, -1
	v_add3_u32 v4, s19, v11, v10
.LBB212_7:                              ; =>This Inner Loop Header: Depth=1
	global_store_dword v[2:3], v5, off
	global_store_dword v[8:9], v1, off
	;; [unrolled: 1-line block ×3, first 2 shown]
	v_add_co_u32_e32 v6, vcc, 4, v6
	v_addc_co_u32_e32 v7, vcc, 0, v7, vcc
	v_add_co_u32_e32 v8, vcc, 4, v8
	v_addc_co_u32_e32 v9, vcc, 0, v9, vcc
	v_add_co_u32_e32 v2, vcc, 4, v2
	s_add_i32 s0, s0, -1
	v_add_f32_e32 v12, v12, v5
	v_addc_co_u32_e32 v3, vcc, 0, v3, vcc
	s_cmp_eq_u32 s0, 0
	v_add_u32_e32 v4, s18, v4
	s_cbranch_scc0 .LBB212_7
.LBB212_8:
	v_cmp_neq_f32_e32 vcc, 0, v12
	s_and_b64 exec, exec, vcc
	s_cbranch_execz .LBB212_19
; %bb.9:
	s_andn2_b64 vcc, exec, s[2:3]
	s_cbranch_vccnz .LBB212_19
; %bb.10:
	v_div_scale_f32 v1, s[0:1], v12, v12, 1.0
	v_rcp_f32_e32 v2, v1
	v_div_scale_f32 v3, vcc, 1.0, v12, 1.0
	s_cmp_gt_u32 s8, 3
	v_fma_f32 v4, -v1, v2, 1.0
	v_fmac_f32_e32 v2, v4, v2
	v_mul_f32_e32 v4, v3, v2
	v_fma_f32 v5, -v1, v4, v3
	v_fmac_f32_e32 v4, v5, v2
	v_fma_f32 v1, -v1, v4, v3
	v_div_fmas_f32 v1, v1, v2, v4
	v_div_fixup_f32 v2, v1, v12, 1.0
	v_ashrrev_i32_e32 v1, 31, v0
	s_cbranch_scc0 .LBB212_14
; %bb.11:
	v_lshlrev_b64 v[4:5], 2, v[0:1]
	v_mov_b32_e32 v6, s13
	v_add_co_u32_e32 v4, vcc, s12, v4
	v_addc_co_u32_e32 v5, vcc, v5, v6, vcc
	s_and_b32 s4, s8, 0x7ffffffc
	v_add_co_u32_e32 v4, vcc, 8, v4
	v_mov_b32_e32 v3, v2
	v_addc_co_u32_e32 v5, vcc, 0, v5, vcc
	s_mov_b32 s0, s4
.LBB212_12:                             ; =>This Inner Loop Header: Depth=1
	global_load_dwordx4 v[6:9], v[4:5], off offset:-8
	s_add_i32 s0, s0, -4
	s_cmp_lg_u32 s0, 0
	s_waitcnt vmcnt(0)
	v_pk_mul_f32 v[6:7], v[2:3], v[6:7]
	v_pk_mul_f32 v[8:9], v[2:3], v[8:9]
	global_store_dwordx4 v[4:5], v[6:9], off offset:-8
	v_add_co_u32_e32 v4, vcc, 16, v4
	v_addc_co_u32_e32 v5, vcc, 0, v5, vcc
	s_cbranch_scc1 .LBB212_12
; %bb.13:
	s_cmp_lg_u32 s4, s8
	s_cselect_b64 s[0:1], -1, 0
	s_branch .LBB212_16
.LBB212_14:
	s_mov_b64 s[0:1], 0
                                        ; implicit-def: $sgpr4
	s_cbranch_execz .LBB212_16
; %bb.15:
	s_mov_b64 s[0:1], -1
	s_mov_b32 s4, 0
.LBB212_16:
	s_andn2_b64 vcc, exec, s[0:1]
	s_cbranch_vccnz .LBB212_19
; %bb.17:
	v_add_co_u32_e32 v0, vcc, s4, v0
	v_addc_co_u32_e32 v1, vcc, 0, v1, vcc
	v_lshlrev_b64 v[0:1], 2, v[0:1]
	v_mov_b32_e32 v3, s13
	v_add_co_u32_e32 v0, vcc, s12, v0
	s_sub_i32 s0, s8, s4
	v_addc_co_u32_e32 v1, vcc, v3, v1, vcc
.LBB212_18:                             ; =>This Inner Loop Header: Depth=1
	global_load_dword v3, v[0:1], off
	s_add_i32 s0, s0, -1
	s_cmp_lg_u32 s0, 0
	s_waitcnt vmcnt(0)
	v_mul_f32_e32 v3, v2, v3
	global_store_dword v[0:1], v3, off
	v_add_co_u32_e32 v0, vcc, 4, v0
	v_addc_co_u32_e32 v1, vcc, 0, v1, vcc
	s_cbranch_scc1 .LBB212_18
.LBB212_19:
	s_endpgm
	.section	.rodata,"a",@progbits
	.p2align	6, 0x0
	.amdhsa_kernel _ZN4vllm3moe17topkGatingSoftmaxItLi1ELi1ELi8ELi2ELb1ELi2ELNS0_23SharedExpertScoringFuncE1EEEvPKT_PKbPfiPiS9_iiiiii
		.amdhsa_group_segment_fixed_size 0
		.amdhsa_private_segment_fixed_size 0
		.amdhsa_kernarg_size 72
		.amdhsa_user_sgpr_count 6
		.amdhsa_user_sgpr_private_segment_buffer 1
		.amdhsa_user_sgpr_dispatch_ptr 0
		.amdhsa_user_sgpr_queue_ptr 0
		.amdhsa_user_sgpr_kernarg_segment_ptr 1
		.amdhsa_user_sgpr_dispatch_id 0
		.amdhsa_user_sgpr_flat_scratch_init 0
		.amdhsa_user_sgpr_kernarg_preload_length 0
		.amdhsa_user_sgpr_kernarg_preload_offset 0
		.amdhsa_user_sgpr_private_segment_size 0
		.amdhsa_uses_dynamic_stack 0
		.amdhsa_system_sgpr_private_segment_wavefront_offset 0
		.amdhsa_system_sgpr_workgroup_id_x 1
		.amdhsa_system_sgpr_workgroup_id_y 0
		.amdhsa_system_sgpr_workgroup_id_z 0
		.amdhsa_system_sgpr_workgroup_info 0
		.amdhsa_system_vgpr_workitem_id 1
		.amdhsa_next_free_vgpr 21
		.amdhsa_next_free_sgpr 22
		.amdhsa_accum_offset 24
		.amdhsa_reserve_vcc 1
		.amdhsa_reserve_flat_scratch 0
		.amdhsa_float_round_mode_32 0
		.amdhsa_float_round_mode_16_64 0
		.amdhsa_float_denorm_mode_32 3
		.amdhsa_float_denorm_mode_16_64 3
		.amdhsa_dx10_clamp 1
		.amdhsa_ieee_mode 1
		.amdhsa_fp16_overflow 0
		.amdhsa_tg_split 0
		.amdhsa_exception_fp_ieee_invalid_op 0
		.amdhsa_exception_fp_denorm_src 0
		.amdhsa_exception_fp_ieee_div_zero 0
		.amdhsa_exception_fp_ieee_overflow 0
		.amdhsa_exception_fp_ieee_underflow 0
		.amdhsa_exception_fp_ieee_inexact 0
		.amdhsa_exception_int_div_zero 0
	.end_amdhsa_kernel
	.section	.text._ZN4vllm3moe17topkGatingSoftmaxItLi1ELi1ELi8ELi2ELb1ELi2ELNS0_23SharedExpertScoringFuncE1EEEvPKT_PKbPfiPiS9_iiiiii,"axG",@progbits,_ZN4vllm3moe17topkGatingSoftmaxItLi1ELi1ELi8ELi2ELb1ELi2ELNS0_23SharedExpertScoringFuncE1EEEvPKT_PKbPfiPiS9_iiiiii,comdat
.Lfunc_end212:
	.size	_ZN4vllm3moe17topkGatingSoftmaxItLi1ELi1ELi8ELi2ELb1ELi2ELNS0_23SharedExpertScoringFuncE1EEEvPKT_PKbPfiPiS9_iiiiii, .Lfunc_end212-_ZN4vllm3moe17topkGatingSoftmaxItLi1ELi1ELi8ELi2ELb1ELi2ELNS0_23SharedExpertScoringFuncE1EEEvPKT_PKbPfiPiS9_iiiiii
                                        ; -- End function
	.section	.AMDGPU.csdata,"",@progbits
; Kernel info:
; codeLenInByte = 1504
; NumSgprs: 26
; NumVgprs: 21
; NumAgprs: 0
; TotalNumVgprs: 21
; ScratchSize: 0
; MemoryBound: 0
; FloatMode: 240
; IeeeMode: 1
; LDSByteSize: 0 bytes/workgroup (compile time only)
; SGPRBlocks: 3
; VGPRBlocks: 2
; NumSGPRsForWavesPerEU: 26
; NumVGPRsForWavesPerEU: 21
; AccumOffset: 24
; Occupancy: 8
; WaveLimiterHint : 0
; COMPUTE_PGM_RSRC2:SCRATCH_EN: 0
; COMPUTE_PGM_RSRC2:USER_SGPR: 6
; COMPUTE_PGM_RSRC2:TRAP_HANDLER: 0
; COMPUTE_PGM_RSRC2:TGID_X_EN: 1
; COMPUTE_PGM_RSRC2:TGID_Y_EN: 0
; COMPUTE_PGM_RSRC2:TGID_Z_EN: 0
; COMPUTE_PGM_RSRC2:TIDIG_COMP_CNT: 1
; COMPUTE_PGM_RSRC3_GFX90A:ACCUM_OFFSET: 5
; COMPUTE_PGM_RSRC3_GFX90A:TG_SPLIT: 0
	.section	.text._ZN4vllm3moe17topkGatingSoftmaxItLi1ELi1ELi8ELi2ELb0ELi2ELNS0_23SharedExpertScoringFuncE1EEEvPKT_PKbPfiPiS9_iiiiii,"axG",@progbits,_ZN4vllm3moe17topkGatingSoftmaxItLi1ELi1ELi8ELi2ELb0ELi2ELNS0_23SharedExpertScoringFuncE1EEEvPKT_PKbPfiPiS9_iiiiii,comdat
	.protected	_ZN4vllm3moe17topkGatingSoftmaxItLi1ELi1ELi8ELi2ELb0ELi2ELNS0_23SharedExpertScoringFuncE1EEEvPKT_PKbPfiPiS9_iiiiii ; -- Begin function _ZN4vllm3moe17topkGatingSoftmaxItLi1ELi1ELi8ELi2ELb0ELi2ELNS0_23SharedExpertScoringFuncE1EEEvPKT_PKbPfiPiS9_iiiiii
	.globl	_ZN4vllm3moe17topkGatingSoftmaxItLi1ELi1ELi8ELi2ELb0ELi2ELNS0_23SharedExpertScoringFuncE1EEEvPKT_PKbPfiPiS9_iiiiii
	.p2align	8
	.type	_ZN4vllm3moe17topkGatingSoftmaxItLi1ELi1ELi8ELi2ELb0ELi2ELNS0_23SharedExpertScoringFuncE1EEEvPKT_PKbPfiPiS9_iiiiii,@function
_ZN4vllm3moe17topkGatingSoftmaxItLi1ELi1ELi8ELi2ELb0ELi2ELNS0_23SharedExpertScoringFuncE1EEEvPKT_PKbPfiPiS9_iiiiii: ; @_ZN4vllm3moe17topkGatingSoftmaxItLi1ELi1ELi8ELi2ELb0ELi2ELNS0_23SharedExpertScoringFuncE1EEEvPKT_PKbPfiPiS9_iiiiii
; %bb.0:
	s_load_dword s18, s[4:5], 0x18
	v_bfe_u32 v1, v0, 10, 10
	s_lshl_b32 s19, s6, 9
	v_lshlrev_b32_e32 v10, 6, v1
	v_and_b32_e32 v11, 0x3ff, v0
	v_add3_u32 v13, v10, v11, s19
	s_waitcnt lgkmcnt(0)
	v_cmp_gt_i32_e32 vcc, s18, v13
	s_and_saveexec_b64 s[0:1], vcc
	s_cbranch_execz .LBB213_20
; %bb.1:
	s_load_dwordx4 s[0:3], s[4:5], 0x0
	s_load_dwordx2 s[12:13], s[4:5], 0x10
	s_waitcnt lgkmcnt(0)
	s_cmp_eq_u64 s[2:3], 0
	s_cbranch_scc1 .LBB213_3
; %bb.2:
	v_ashrrev_i32_e32 v1, 31, v13
	v_mov_b32_e32 v2, s3
	v_add_co_u32_e32 v0, vcc, s2, v13
	v_addc_co_u32_e32 v1, vcc, v2, v1, vcc
	global_load_ubyte v0, v[0:1], off
	s_waitcnt vmcnt(0)
	v_and_b32_e32 v0, 1, v0
	v_cmp_eq_u32_e32 vcc, 1, v0
	s_xor_b64 s[2:3], vcc, -1
	s_orn2_b64 s[14:15], s[2:3], exec
	s_branch .LBB213_4
.LBB213_3:
	s_mov_b64 s[14:15], -1
.LBB213_4:
	s_load_dwordx2 s[16:17], s[4:5], 0x40
	s_load_dwordx4 s[8:11], s[4:5], 0x30
	v_mov_b32_e32 v2, s1
	s_mov_b32 s1, 0x42ce8ed0
	s_mov_b32 s6, 0xc2b17218
	s_waitcnt lgkmcnt(0)
	v_mul_lo_u32 v0, v13, s17
	v_ashrrev_i32_e32 v1, 31, v0
	v_lshlrev_b64 v[0:1], 1, v[0:1]
	v_add_co_u32_e32 v0, vcc, s0, v0
	v_addc_co_u32_e32 v1, vcc, v2, v1, vcc
	global_load_ushort v3, v[0:1], off offset:4
	global_load_dword v4, v[0:1], off
	s_mov_b32 s0, 0xbfb8aa3b
	v_mul_lo_u32 v0, v13, s11
	v_add_u32_e32 v2, s8, v0
	v_mov_b32_e32 v1, s13
	v_mov_b32_e32 v12, 0x7f800000
	s_cmp_gt_i32 s8, 0
	v_mov_b32_e32 v14, 0
	s_cselect_b64 s[2:3], -1, 0
	s_cmp_lt_i32 s8, 1
	s_waitcnt vmcnt(1)
	v_cvt_f32_u32_e32 v5, v3
	s_waitcnt vmcnt(0)
	v_cvt_f32_u32_sdwa v6, v4 dst_sel:DWORD dst_unused:UNUSED_PAD src0_sel:WORD_1
	v_ashrrev_i32_e32 v3, 31, v2
	v_lshlrev_b64 v[2:3], 2, v[2:3]
	v_mul_f32_e32 v7, 0xbfb8aa3b, v5
	v_mul_f32_e32 v8, 0xbfb8aa3b, v6
	v_fma_f32 v9, v5, s0, -v7
	v_rndne_f32_e32 v15, v7
	v_fma_f32 v16, v6, s0, -v8
	v_rndne_f32_e32 v17, v8
	v_fmac_f32_e32 v9, 0xb2a5705f, v5
	v_sub_f32_e32 v7, v7, v15
	v_fmac_f32_e32 v16, 0xb2a5705f, v6
	v_sub_f32_e32 v8, v8, v17
	v_add_f32_e32 v7, v7, v9
	v_cvt_i32_f32_e32 v18, v15
	v_add_f32_e32 v8, v8, v16
	v_exp_f32_e32 v7, v7
	v_cvt_i32_f32_e32 v17, v17
	v_exp_f32_e32 v8, v8
	v_add_co_u32_e32 v2, vcc, s12, v2
	v_addc_co_u32_e32 v3, vcc, v1, v3, vcc
	v_ldexp_f32 v1, v7, v18
	v_cmp_nlt_f32_e32 vcc, s1, v5
	v_cvt_f32_u32_sdwa v15, v4 dst_sel:DWORD dst_unused:UNUSED_PAD src0_sel:WORD_0
	v_ldexp_f32 v4, v8, v17
	v_cndmask_b32_e32 v1, 0, v1, vcc
	v_cmp_nlt_f32_e32 vcc, s1, v6
	v_cndmask_b32_e32 v4, 0, v4, vcc
	v_cmp_ngt_f32_e32 vcc, s6, v5
	v_cndmask_b32_e32 v5, v12, v1, vcc
	v_cmp_ngt_f32_e32 vcc, s6, v6
	v_cndmask_b32_e32 v4, v12, v4, vcc
	v_pk_add_f32 v[4:5], v[4:5], 1.0 op_sel_hi:[1,0]
	v_div_scale_f32 v1, s[0:1], v5, v5, 1.0
	v_div_scale_f32 v7, s[0:1], v4, v4, 1.0
	v_rcp_f32_e32 v8, v1
	v_rcp_f32_e32 v9, v7
	v_div_scale_f32 v6, vcc, 1.0, v5, 1.0
	v_fma_f32 v17, -v1, v8, 1.0
	v_fma_f32 v18, -v7, v9, 1.0
	v_fmac_f32_e32 v8, v17, v8
	v_div_scale_f32 v16, s[0:1], 1.0, v4, 1.0
	v_fmac_f32_e32 v9, v18, v9
	v_mul_f32_e32 v17, v6, v8
	v_mul_f32_e32 v18, v16, v9
	v_fma_f32 v19, -v1, v17, v6
	v_fma_f32 v20, -v7, v18, v16
	v_fmac_f32_e32 v17, v19, v8
	v_fmac_f32_e32 v18, v20, v9
	v_fma_f32 v1, -v1, v17, v6
	v_fma_f32 v6, -v7, v18, v16
	v_div_fmas_f32 v1, v1, v8, v17
	s_mov_b64 vcc, s[0:1]
	v_div_fixup_f32 v5, v1, v5, 1.0
	v_div_fmas_f32 v1, v6, v9, v18
	v_div_fixup_f32 v4, v1, v4, 1.0
	v_mov_b32_e32 v1, v15
	global_store_dwordx2 v[2:3], v[4:5], off
	s_cbranch_scc1 .LBB213_9
; %bb.5:
	v_sub_f32_e32 v1, v15, v15
	v_mul_f32_e32 v2, 0x3fb8aa3b, v1
	s_mov_b32 s11, 0x3fb8aa3b
	v_rndne_f32_e32 v3, v2
	v_sub_f32_e32 v4, v2, v3
	v_fma_f32 v2, v1, s11, -v2
	v_fmac_f32_e32 v2, 0x32a5705f, v1
	v_add_f32_e32 v2, v4, v2
	s_cmp_lt_i32 s9, 1
	v_exp_f32_e32 v2, v2
	v_cvt_i32_f32_e32 v3, v3
	s_cselect_b64 s[0:1], -1, 0
	s_cmp_gt_i32 s10, 0
	v_mul_lo_u32 v6, v13, s16
	s_cselect_b64 s[16:17], -1, 0
	s_and_b64 s[20:21], s[0:1], s[16:17]
	s_mov_b32 s16, 0xc2ce8ed0
	v_ldexp_f32 v2, v2, v3
	v_cmp_ngt_f32_e32 vcc, s16, v1
	s_mov_b32 s10, 0x42b17218
	v_cndmask_b32_e32 v2, 0, v2, vcc
	v_cmp_nlt_f32_e32 vcc, s10, v1
	v_ashrrev_i32_e32 v1, 31, v0
	s_load_dwordx4 s[4:7], s[4:5], 0x20
	v_cndmask_b32_e32 v14, v12, v2, vcc
	v_lshlrev_b64 v[2:3], 2, v[0:1]
	v_mov_b32_e32 v1, s13
	v_add_co_u32_e32 v4, vcc, s12, v2
	v_addc_co_u32_e64 v5, s[0:1], v1, v3, vcc
	s_sub_i32 s0, 0, s9
	v_ashrrev_i32_e32 v7, 31, v6
	v_mov_b32_e32 v1, s0
	s_and_b64 s[0:1], s[14:15], s[20:21]
	v_lshlrev_b64 v[8:9], 2, v[6:7]
	v_mul_lo_u32 v16, v13, s8
	v_cndmask_b32_e64 v1, 1, v1, s[0:1]
	s_waitcnt lgkmcnt(0)
	v_mov_b32_e32 v2, s5
	v_add_co_u32_e64 v6, s[0:1], s4, v8
	v_addc_co_u32_e64 v7, s[0:1], v2, v9, s[0:1]
	v_ashrrev_i32_e32 v17, 31, v16
	global_store_dword v[6:7], v1, off
	v_lshlrev_b64 v[6:7], 2, v[16:17]
	v_mov_b32_e32 v2, s7
	v_add_co_u32_e64 v16, s[0:1], s6, v6
	v_addc_co_u32_e64 v17, s[0:1], v2, v7, s[0:1]
	s_cmp_eq_u32 s8, 1
	global_store_dword v[4:5], v14, off
	global_store_dword v[16:17], v13, off
	s_cbranch_scc1 .LBB213_8
; %bb.6:
	v_sub_f32_e32 v2, 0xff800000, v15
	v_mul_f32_e32 v5, 0x3fb8aa3b, v2
	v_fma_f32 v13, v2, s11, -v5
	v_rndne_f32_e32 v16, v5
	v_fmac_f32_e32 v13, 0x32a5705f, v2
	v_sub_f32_e32 v5, v5, v16
	v_add_f32_e32 v5, v5, v13
	v_cvt_i32_f32_e32 v13, v16
	v_exp_f32_e32 v5, v5
	v_cmp_ngt_f32_e64 s[0:1], s16, v2
	s_add_i32 s19, s19, s18
	v_ldexp_f32 v5, v5, v13
	v_cndmask_b32_e64 v5, 0, v5, s[0:1]
	v_mov_b32_e32 v13, 0x7f800000
	v_cmp_nlt_f32_e64 s[0:1], s10, v2
	v_cndmask_b32_e64 v5, v13, v5, s[0:1]
	v_mov_b32_e32 v2, s7
	v_add_co_u32_e64 v6, s[0:1], s6, v6
	v_addc_co_u32_e64 v2, s[0:1], v7, v2, s[0:1]
	v_add_co_u32_e64 v6, s[0:1], 4, v6
	v_addc_co_u32_e64 v7, s[0:1], 0, v2, s[0:1]
	v_mov_b32_e32 v2, s5
	v_add_co_u32_e64 v8, s[0:1], s4, v8
	v_addc_co_u32_e64 v2, s[0:1], v9, v2, s[0:1]
	v_add_co_u32_e64 v8, s[0:1], 4, v8
	v_addc_co_u32_e64 v9, s[0:1], 0, v2, s[0:1]
	v_mov_b32_e32 v2, s13
	v_addc_co_u32_e32 v3, vcc, v3, v2, vcc
	v_add_co_u32_e32 v2, vcc, 4, v4
	v_addc_co_u32_e32 v3, vcc, 0, v3, vcc
	s_add_i32 s0, s8, -1
	v_add3_u32 v4, s19, v11, v10
.LBB213_7:                              ; =>This Inner Loop Header: Depth=1
	global_store_dword v[2:3], v5, off
	global_store_dword v[8:9], v1, off
	;; [unrolled: 1-line block ×3, first 2 shown]
	v_add_co_u32_e32 v6, vcc, 4, v6
	v_addc_co_u32_e32 v7, vcc, 0, v7, vcc
	v_add_co_u32_e32 v8, vcc, 4, v8
	v_addc_co_u32_e32 v9, vcc, 0, v9, vcc
	v_add_co_u32_e32 v2, vcc, 4, v2
	s_add_i32 s0, s0, -1
	v_add_f32_e32 v14, v14, v5
	v_addc_co_u32_e32 v3, vcc, 0, v3, vcc
	s_cmp_eq_u32 s0, 0
	v_add_u32_e32 v4, s18, v4
	s_cbranch_scc0 .LBB213_7
.LBB213_8:
	v_mov_b32_e32 v1, 0xff800000
.LBB213_9:
	v_sub_f32_e32 v1, v1, v15
	s_mov_b32 s0, 0x3fb8aa3b
	v_mul_f32_e32 v2, 0x3fb8aa3b, v1
	v_fma_f32 v3, v1, s0, -v2
	v_rndne_f32_e32 v4, v2
	v_fmac_f32_e32 v3, 0x32a5705f, v1
	v_sub_f32_e32 v2, v2, v4
	v_add_f32_e32 v2, v2, v3
	v_exp_f32_e32 v2, v2
	v_cvt_i32_f32_e32 v3, v4
	s_mov_b32 s0, 0xc2ce8ed0
	v_cmp_ngt_f32_e32 vcc, s0, v1
	s_mov_b32 s0, 0x42b17218
	v_ldexp_f32 v2, v2, v3
	v_cndmask_b32_e32 v2, 0, v2, vcc
	v_cmp_nlt_f32_e32 vcc, s0, v1
	v_cndmask_b32_e32 v1, v12, v2, vcc
	v_add_f32_e32 v1, v14, v1
	v_cmp_neq_f32_e32 vcc, 0, v1
	s_and_b64 exec, exec, vcc
	s_cbranch_execz .LBB213_20
; %bb.10:
	s_andn2_b64 vcc, exec, s[2:3]
	s_cbranch_vccnz .LBB213_20
; %bb.11:
	v_div_scale_f32 v2, s[0:1], v1, v1, 1.0
	v_rcp_f32_e32 v3, v2
	v_div_scale_f32 v4, vcc, 1.0, v1, 1.0
	s_cmp_gt_u32 s8, 3
	v_fma_f32 v5, -v2, v3, 1.0
	v_fmac_f32_e32 v3, v5, v3
	v_mul_f32_e32 v5, v4, v3
	v_fma_f32 v6, -v2, v5, v4
	v_fmac_f32_e32 v5, v6, v3
	v_fma_f32 v2, -v2, v5, v4
	v_div_fmas_f32 v2, v2, v3, v5
	v_div_fixup_f32 v2, v2, v1, 1.0
	v_ashrrev_i32_e32 v1, 31, v0
	s_cbranch_scc0 .LBB213_15
; %bb.12:
	v_lshlrev_b64 v[4:5], 2, v[0:1]
	v_mov_b32_e32 v6, s13
	v_add_co_u32_e32 v4, vcc, s12, v4
	v_addc_co_u32_e32 v5, vcc, v5, v6, vcc
	s_and_b32 s4, s8, 0x7ffffffc
	v_add_co_u32_e32 v4, vcc, 8, v4
	v_mov_b32_e32 v3, v2
	v_addc_co_u32_e32 v5, vcc, 0, v5, vcc
	s_mov_b32 s0, s4
.LBB213_13:                             ; =>This Inner Loop Header: Depth=1
	global_load_dwordx4 v[6:9], v[4:5], off offset:-8
	s_add_i32 s0, s0, -4
	s_cmp_lg_u32 s0, 0
	s_waitcnt vmcnt(0)
	v_pk_mul_f32 v[6:7], v[2:3], v[6:7]
	v_pk_mul_f32 v[8:9], v[2:3], v[8:9]
	global_store_dwordx4 v[4:5], v[6:9], off offset:-8
	v_add_co_u32_e32 v4, vcc, 16, v4
	v_addc_co_u32_e32 v5, vcc, 0, v5, vcc
	s_cbranch_scc1 .LBB213_13
; %bb.14:
	s_cmp_lg_u32 s4, s8
	s_cselect_b64 s[0:1], -1, 0
	s_branch .LBB213_17
.LBB213_15:
	s_mov_b64 s[0:1], 0
                                        ; implicit-def: $sgpr4
	s_cbranch_execz .LBB213_17
; %bb.16:
	s_mov_b64 s[0:1], -1
	s_mov_b32 s4, 0
.LBB213_17:
	s_andn2_b64 vcc, exec, s[0:1]
	s_cbranch_vccnz .LBB213_20
; %bb.18:
	v_add_co_u32_e32 v0, vcc, s4, v0
	v_addc_co_u32_e32 v1, vcc, 0, v1, vcc
	v_lshlrev_b64 v[0:1], 2, v[0:1]
	v_mov_b32_e32 v3, s13
	v_add_co_u32_e32 v0, vcc, s12, v0
	s_sub_i32 s0, s8, s4
	v_addc_co_u32_e32 v1, vcc, v3, v1, vcc
.LBB213_19:                             ; =>This Inner Loop Header: Depth=1
	global_load_dword v3, v[0:1], off
	s_add_i32 s0, s0, -1
	s_cmp_lg_u32 s0, 0
	s_waitcnt vmcnt(0)
	v_mul_f32_e32 v3, v2, v3
	global_store_dword v[0:1], v3, off
	v_add_co_u32_e32 v0, vcc, 4, v0
	v_addc_co_u32_e32 v1, vcc, 0, v1, vcc
	s_cbranch_scc1 .LBB213_19
.LBB213_20:
	s_endpgm
	.section	.rodata,"a",@progbits
	.p2align	6, 0x0
	.amdhsa_kernel _ZN4vllm3moe17topkGatingSoftmaxItLi1ELi1ELi8ELi2ELb0ELi2ELNS0_23SharedExpertScoringFuncE1EEEvPKT_PKbPfiPiS9_iiiiii
		.amdhsa_group_segment_fixed_size 0
		.amdhsa_private_segment_fixed_size 0
		.amdhsa_kernarg_size 72
		.amdhsa_user_sgpr_count 6
		.amdhsa_user_sgpr_private_segment_buffer 1
		.amdhsa_user_sgpr_dispatch_ptr 0
		.amdhsa_user_sgpr_queue_ptr 0
		.amdhsa_user_sgpr_kernarg_segment_ptr 1
		.amdhsa_user_sgpr_dispatch_id 0
		.amdhsa_user_sgpr_flat_scratch_init 0
		.amdhsa_user_sgpr_kernarg_preload_length 0
		.amdhsa_user_sgpr_kernarg_preload_offset 0
		.amdhsa_user_sgpr_private_segment_size 0
		.amdhsa_uses_dynamic_stack 0
		.amdhsa_system_sgpr_private_segment_wavefront_offset 0
		.amdhsa_system_sgpr_workgroup_id_x 1
		.amdhsa_system_sgpr_workgroup_id_y 0
		.amdhsa_system_sgpr_workgroup_id_z 0
		.amdhsa_system_sgpr_workgroup_info 0
		.amdhsa_system_vgpr_workitem_id 1
		.amdhsa_next_free_vgpr 21
		.amdhsa_next_free_sgpr 22
		.amdhsa_accum_offset 24
		.amdhsa_reserve_vcc 1
		.amdhsa_reserve_flat_scratch 0
		.amdhsa_float_round_mode_32 0
		.amdhsa_float_round_mode_16_64 0
		.amdhsa_float_denorm_mode_32 3
		.amdhsa_float_denorm_mode_16_64 3
		.amdhsa_dx10_clamp 1
		.amdhsa_ieee_mode 1
		.amdhsa_fp16_overflow 0
		.amdhsa_tg_split 0
		.amdhsa_exception_fp_ieee_invalid_op 0
		.amdhsa_exception_fp_denorm_src 0
		.amdhsa_exception_fp_ieee_div_zero 0
		.amdhsa_exception_fp_ieee_overflow 0
		.amdhsa_exception_fp_ieee_underflow 0
		.amdhsa_exception_fp_ieee_inexact 0
		.amdhsa_exception_int_div_zero 0
	.end_amdhsa_kernel
	.section	.text._ZN4vllm3moe17topkGatingSoftmaxItLi1ELi1ELi8ELi2ELb0ELi2ELNS0_23SharedExpertScoringFuncE1EEEvPKT_PKbPfiPiS9_iiiiii,"axG",@progbits,_ZN4vllm3moe17topkGatingSoftmaxItLi1ELi1ELi8ELi2ELb0ELi2ELNS0_23SharedExpertScoringFuncE1EEEvPKT_PKbPfiPiS9_iiiiii,comdat
.Lfunc_end213:
	.size	_ZN4vllm3moe17topkGatingSoftmaxItLi1ELi1ELi8ELi2ELb0ELi2ELNS0_23SharedExpertScoringFuncE1EEEvPKT_PKbPfiPiS9_iiiiii, .Lfunc_end213-_ZN4vllm3moe17topkGatingSoftmaxItLi1ELi1ELi8ELi2ELb0ELi2ELNS0_23SharedExpertScoringFuncE1EEEvPKT_PKbPfiPiS9_iiiiii
                                        ; -- End function
	.section	.AMDGPU.csdata,"",@progbits
; Kernel info:
; codeLenInByte = 1612
; NumSgprs: 26
; NumVgprs: 21
; NumAgprs: 0
; TotalNumVgprs: 21
; ScratchSize: 0
; MemoryBound: 0
; FloatMode: 240
; IeeeMode: 1
; LDSByteSize: 0 bytes/workgroup (compile time only)
; SGPRBlocks: 3
; VGPRBlocks: 2
; NumSGPRsForWavesPerEU: 26
; NumVGPRsForWavesPerEU: 21
; AccumOffset: 24
; Occupancy: 8
; WaveLimiterHint : 0
; COMPUTE_PGM_RSRC2:SCRATCH_EN: 0
; COMPUTE_PGM_RSRC2:USER_SGPR: 6
; COMPUTE_PGM_RSRC2:TRAP_HANDLER: 0
; COMPUTE_PGM_RSRC2:TGID_X_EN: 1
; COMPUTE_PGM_RSRC2:TGID_Y_EN: 0
; COMPUTE_PGM_RSRC2:TGID_Z_EN: 0
; COMPUTE_PGM_RSRC2:TIDIG_COMP_CNT: 1
; COMPUTE_PGM_RSRC3_GFX90A:ACCUM_OFFSET: 5
; COMPUTE_PGM_RSRC3_GFX90A:TG_SPLIT: 0
	.section	.text._ZN4vllm3moe17topkGatingSoftmaxItLi1ELi1ELi8ELi2ELb1ELi4ELNS0_23SharedExpertScoringFuncE1EEEvPKT_PKbPfiPiS9_iiiiii,"axG",@progbits,_ZN4vllm3moe17topkGatingSoftmaxItLi1ELi1ELi8ELi2ELb1ELi4ELNS0_23SharedExpertScoringFuncE1EEEvPKT_PKbPfiPiS9_iiiiii,comdat
	.protected	_ZN4vllm3moe17topkGatingSoftmaxItLi1ELi1ELi8ELi2ELb1ELi4ELNS0_23SharedExpertScoringFuncE1EEEvPKT_PKbPfiPiS9_iiiiii ; -- Begin function _ZN4vllm3moe17topkGatingSoftmaxItLi1ELi1ELi8ELi2ELb1ELi4ELNS0_23SharedExpertScoringFuncE1EEEvPKT_PKbPfiPiS9_iiiiii
	.globl	_ZN4vllm3moe17topkGatingSoftmaxItLi1ELi1ELi8ELi2ELb1ELi4ELNS0_23SharedExpertScoringFuncE1EEEvPKT_PKbPfiPiS9_iiiiii
	.p2align	8
	.type	_ZN4vllm3moe17topkGatingSoftmaxItLi1ELi1ELi8ELi2ELb1ELi4ELNS0_23SharedExpertScoringFuncE1EEEvPKT_PKbPfiPiS9_iiiiii,@function
_ZN4vllm3moe17topkGatingSoftmaxItLi1ELi1ELi8ELi2ELb1ELi4ELNS0_23SharedExpertScoringFuncE1EEEvPKT_PKbPfiPiS9_iiiiii: ; @_ZN4vllm3moe17topkGatingSoftmaxItLi1ELi1ELi8ELi2ELb1ELi4ELNS0_23SharedExpertScoringFuncE1EEEvPKT_PKbPfiPiS9_iiiiii
; %bb.0:
	s_load_dword s18, s[4:5], 0x18
	v_bfe_u32 v1, v0, 10, 10
	s_lshl_b32 s19, s6, 9
	v_lshlrev_b32_e32 v10, 6, v1
	v_and_b32_e32 v11, 0x3ff, v0
	v_add3_u32 v13, v10, v11, s19
	s_waitcnt lgkmcnt(0)
	v_cmp_gt_i32_e32 vcc, s18, v13
	s_and_saveexec_b64 s[0:1], vcc
	s_cbranch_execz .LBB214_19
; %bb.1:
	s_load_dwordx4 s[0:3], s[4:5], 0x0
	s_load_dwordx2 s[12:13], s[4:5], 0x10
	s_waitcnt lgkmcnt(0)
	s_cmp_eq_u64 s[2:3], 0
	s_cbranch_scc1 .LBB214_3
; %bb.2:
	v_ashrrev_i32_e32 v1, 31, v13
	v_mov_b32_e32 v2, s3
	v_add_co_u32_e32 v0, vcc, s2, v13
	v_addc_co_u32_e32 v1, vcc, v2, v1, vcc
	global_load_ubyte v0, v[0:1], off
	s_waitcnt vmcnt(0)
	v_and_b32_e32 v0, 1, v0
	v_cmp_eq_u32_e32 vcc, 1, v0
	s_xor_b64 s[2:3], vcc, -1
	s_orn2_b64 s[2:3], s[2:3], exec
	s_branch .LBB214_4
.LBB214_3:
	s_mov_b64 s[2:3], -1
.LBB214_4:
	s_load_dwordx2 s[14:15], s[4:5], 0x40
	s_load_dwordx4 s[8:11], s[4:5], 0x30
	v_mov_b32_e32 v2, s1
	v_mov_b32_e32 v7, s13
	s_mov_b32 s1, 0x42ce8ed0
	s_waitcnt lgkmcnt(0)
	v_mul_lo_u32 v0, v13, s15
	v_ashrrev_i32_e32 v1, 31, v0
	v_lshlrev_b64 v[0:1], 1, v[0:1]
	v_add_co_u32_e32 v0, vcc, s0, v0
	v_addc_co_u32_e32 v1, vcc, v2, v1, vcc
	global_load_dwordx2 v[2:3], v[0:1], off
	global_load_ushort v6, v[0:1], off offset:8
	v_mul_lo_u32 v0, v13, s11
	v_add_u32_e32 v4, s8, v0
	v_ashrrev_i32_e32 v5, 31, v4
	v_lshlrev_b64 v[4:5], 2, v[4:5]
	v_add_co_u32_e32 v8, vcc, s12, v4
	v_addc_co_u32_e32 v9, vcc, v7, v5, vcc
	s_mov_b32 s0, 0xbfb8aa3b
	s_mov_b32 s7, 0xc2b17218
	v_mov_b32_e32 v1, 0x7f800000
	s_cmp_gt_i32 s8, 0
	s_mov_b32 s6, 0xffff
	v_mov_b32_e32 v12, 0
	s_cselect_b64 s[16:17], -1, 0
	s_cmp_lt_i32 s8, 1
	s_waitcnt vmcnt(1)
	v_cvt_f32_u32_sdwa v4, v3 dst_sel:DWORD dst_unused:UNUSED_PAD src0_sel:WORD_0
	v_cvt_f32_u32_sdwa v7, v2 dst_sel:DWORD dst_unused:UNUSED_PAD src0_sel:WORD_1
	s_waitcnt vmcnt(0)
	v_cvt_f32_u32_sdwa v6, v6 dst_sel:DWORD dst_unused:UNUSED_PAD src0_sel:WORD_0
	v_cvt_f32_u32_sdwa v3, v3 dst_sel:DWORD dst_unused:UNUSED_PAD src0_sel:WORD_1
	v_mul_f32_e32 v5, 0xbfb8aa3b, v4
	v_mul_f32_e32 v14, 0xbfb8aa3b, v7
	v_fma_f32 v17, v4, s0, -v5
	v_rndne_f32_e32 v18, v5
	v_mul_f32_e32 v15, 0xbfb8aa3b, v6
	v_fma_f32 v19, v7, s0, -v14
	v_rndne_f32_e32 v20, v14
	v_fmac_f32_e32 v17, 0xb2a5705f, v4
	v_sub_f32_e32 v5, v5, v18
	v_mul_f32_e32 v16, 0xbfb8aa3b, v3
	v_fma_f32 v21, v6, s0, -v15
	v_rndne_f32_e32 v22, v15
	v_fmac_f32_e32 v19, 0xb2a5705f, v7
	v_sub_f32_e32 v14, v14, v20
	v_add_f32_e32 v5, v5, v17
	v_fma_f32 v23, v3, s0, -v16
	v_rndne_f32_e32 v24, v16
	v_cvt_i32_f32_e32 v18, v18
	v_fmac_f32_e32 v21, 0xb2a5705f, v6
	v_sub_f32_e32 v15, v15, v22
	v_add_f32_e32 v14, v14, v19
	v_exp_f32_e32 v5, v5
	v_cvt_i32_f32_e32 v20, v20
	v_fmac_f32_e32 v23, 0xb2a5705f, v3
	v_sub_f32_e32 v16, v16, v24
	v_add_f32_e32 v15, v15, v21
	v_exp_f32_e32 v14, v14
	v_cvt_i32_f32_e32 v22, v22
	v_add_f32_e32 v16, v16, v23
	v_exp_f32_e32 v15, v15
	v_cvt_i32_f32_e32 v24, v24
	v_exp_f32_e32 v16, v16
	v_ldexp_f32 v5, v5, v18
	v_cmp_nlt_f32_e32 vcc, s1, v4
	v_ldexp_f32 v14, v14, v20
	v_cndmask_b32_e32 v5, 0, v5, vcc
	v_cmp_nlt_f32_e32 vcc, s1, v7
	v_ldexp_f32 v15, v15, v22
	v_cndmask_b32_e32 v14, 0, v14, vcc
	;; [unrolled: 3-line block ×3, first 2 shown]
	v_cmp_nlt_f32_e32 vcc, s1, v3
	v_cndmask_b32_e32 v16, 0, v16, vcc
	v_cmp_ngt_f32_e32 vcc, s7, v4
	v_cndmask_b32_e32 v5, v1, v5, vcc
	v_cmp_ngt_f32_e32 vcc, s7, v7
	;; [unrolled: 2-line block ×4, first 2 shown]
	v_pk_add_f32 v[4:5], v[4:5], 1.0 op_sel_hi:[1,0]
	v_cndmask_b32_e32 v6, v1, v16, vcc
	v_div_scale_f32 v3, s[0:1], v5, v5, 1.0
	v_pk_add_f32 v[6:7], v[6:7], 1.0 op_sel_hi:[1,0]
	v_div_scale_f32 v15, s[0:1], v4, v4, 1.0
	v_rcp_f32_e32 v17, v3
	v_div_scale_f32 v16, s[0:1], v7, v7, 1.0
	v_rcp_f32_e32 v18, v15
	v_rcp_f32_e32 v19, v16
	v_fma_f32 v21, -v3, v17, 1.0
	v_div_scale_f32 v14, vcc, 1.0, v5, 1.0
	v_fma_f32 v22, -v15, v18, 1.0
	v_fmac_f32_e32 v17, v21, v17
	v_div_scale_f32 v20, s[0:1], 1.0, v4, 1.0
	v_fma_f32 v23, -v16, v19, 1.0
	v_fmac_f32_e32 v18, v22, v18
	v_mul_f32_e32 v21, v14, v17
	v_fmac_f32_e32 v19, v23, v19
	v_mul_f32_e32 v22, v20, v18
	v_fma_f32 v23, -v3, v21, v14
	v_fma_f32 v24, -v15, v22, v20
	v_fmac_f32_e32 v21, v23, v17
	v_fmac_f32_e32 v22, v24, v18
	v_fma_f32 v3, -v3, v21, v14
	v_fma_f32 v14, -v15, v22, v20
	v_div_fmas_f32 v3, v3, v17, v21
	s_mov_b64 vcc, s[0:1]
	v_div_fixup_f32 v5, v3, v5, 1.0
	v_div_fmas_f32 v3, v14, v18, v22
	v_div_fixup_f32 v4, v3, v4, 1.0
	v_div_scale_f32 v3, vcc, 1.0, v7, 1.0
	v_mul_f32_e32 v14, v3, v19
	v_fma_f32 v15, -v16, v14, v3
	v_fmac_f32_e32 v14, v15, v19
	v_div_scale_f32 v15, s[0:1], v6, v6, 1.0
	v_fma_f32 v3, -v16, v14, v3
	v_rcp_f32_e32 v16, v15
	v_div_fmas_f32 v3, v3, v19, v14
	v_div_fixup_f32 v7, v3, v7, 1.0
	v_fma_f32 v3, -v15, v16, 1.0
	v_fmac_f32_e32 v16, v3, v16
	v_div_scale_f32 v3, vcc, 1.0, v6, 1.0
	v_mul_f32_e32 v14, v3, v16
	v_fma_f32 v17, -v15, v14, v3
	v_fmac_f32_e32 v14, v17, v16
	v_fma_f32 v3, -v15, v14, v3
	v_div_fmas_f32 v3, v3, v16, v14
	v_div_fixup_f32 v6, v3, v6, 1.0
	global_store_dwordx4 v[8:9], v[4:7], off
	s_cbranch_scc1 .LBB214_8
; %bb.5:
	v_bfi_b32 v2, s6, v2, v2
	v_cvt_f32_u32_sdwa v14, v2 dst_sel:DWORD dst_unused:UNUSED_PAD src0_sel:WORD_0
	s_mov_b32 s11, 0x3fb8aa3b
	s_cmp_lt_i32 s9, 1
	s_cselect_b64 s[0:1], -1, 0
	v_sub_f32_e32 v2, v14, v14
	v_mul_f32_e32 v3, 0x3fb8aa3b, v2
	v_fma_f32 v4, v2, s11, -v3
	v_rndne_f32_e32 v5, v3
	v_fmac_f32_e32 v4, 0x32a5705f, v2
	v_sub_f32_e32 v3, v3, v5
	v_add_f32_e32 v3, v3, v4
	v_exp_f32_e32 v3, v3
	v_cvt_i32_f32_e32 v4, v5
	s_cmp_gt_i32 s10, 0
	v_mul_lo_u32 v6, v13, s14
	s_cselect_b64 s[14:15], -1, 0
	s_and_b64 s[20:21], s[0:1], s[14:15]
	s_mov_b32 s14, 0xc2ce8ed0
	v_ldexp_f32 v3, v3, v4
	v_cmp_ngt_f32_e32 vcc, s14, v2
	s_mov_b32 s10, 0x42b17218
	v_cndmask_b32_e32 v3, 0, v3, vcc
	v_cmp_nlt_f32_e32 vcc, s10, v2
	v_cndmask_b32_e32 v12, v1, v3, vcc
	v_ashrrev_i32_e32 v1, 31, v0
	s_load_dwordx4 s[4:7], s[4:5], 0x20
	v_lshlrev_b64 v[2:3], 2, v[0:1]
	v_mov_b32_e32 v1, s13
	v_add_co_u32_e32 v4, vcc, s12, v2
	v_addc_co_u32_e64 v5, s[0:1], v1, v3, vcc
	s_sub_i32 s0, 0, s9
	v_ashrrev_i32_e32 v7, 31, v6
	v_mov_b32_e32 v1, s0
	s_and_b64 s[0:1], s[2:3], s[20:21]
	v_lshlrev_b64 v[8:9], 2, v[6:7]
	v_mul_lo_u32 v16, v13, s8
	v_cndmask_b32_e64 v1, 1, v1, s[0:1]
	s_waitcnt lgkmcnt(0)
	v_mov_b32_e32 v2, s5
	v_add_co_u32_e64 v6, s[0:1], s4, v8
	v_addc_co_u32_e64 v7, s[0:1], v2, v9, s[0:1]
	v_ashrrev_i32_e32 v17, 31, v16
	global_store_dword v[6:7], v1, off
	v_lshlrev_b64 v[6:7], 2, v[16:17]
	v_mov_b32_e32 v2, s7
	v_add_co_u32_e64 v16, s[0:1], s6, v6
	v_addc_co_u32_e64 v17, s[0:1], v2, v7, s[0:1]
	s_cmp_eq_u32 s8, 1
	global_store_dword v[4:5], v12, off
	global_store_dword v[16:17], v13, off
	s_cbranch_scc1 .LBB214_8
; %bb.6:
	v_sub_f32_e32 v2, 0xff800000, v14
	v_mul_f32_e32 v5, 0x3fb8aa3b, v2
	v_fma_f32 v13, v2, s11, -v5
	v_rndne_f32_e32 v14, v5
	v_fmac_f32_e32 v13, 0x32a5705f, v2
	v_sub_f32_e32 v5, v5, v14
	v_add_f32_e32 v5, v5, v13
	v_cvt_i32_f32_e32 v13, v14
	v_exp_f32_e32 v5, v5
	v_cmp_ngt_f32_e64 s[0:1], s14, v2
	s_add_i32 s19, s19, s18
	v_ldexp_f32 v5, v5, v13
	v_cndmask_b32_e64 v5, 0, v5, s[0:1]
	v_mov_b32_e32 v13, 0x7f800000
	v_cmp_nlt_f32_e64 s[0:1], s10, v2
	v_cndmask_b32_e64 v5, v13, v5, s[0:1]
	v_mov_b32_e32 v2, s7
	v_add_co_u32_e64 v6, s[0:1], s6, v6
	v_addc_co_u32_e64 v2, s[0:1], v7, v2, s[0:1]
	v_add_co_u32_e64 v6, s[0:1], 4, v6
	v_addc_co_u32_e64 v7, s[0:1], 0, v2, s[0:1]
	v_mov_b32_e32 v2, s5
	v_add_co_u32_e64 v8, s[0:1], s4, v8
	v_addc_co_u32_e64 v2, s[0:1], v9, v2, s[0:1]
	v_add_co_u32_e64 v8, s[0:1], 4, v8
	v_addc_co_u32_e64 v9, s[0:1], 0, v2, s[0:1]
	v_mov_b32_e32 v2, s13
	v_addc_co_u32_e32 v3, vcc, v3, v2, vcc
	v_add_co_u32_e32 v2, vcc, 4, v4
	v_addc_co_u32_e32 v3, vcc, 0, v3, vcc
	s_add_i32 s0, s8, -1
	v_add3_u32 v4, s19, v11, v10
.LBB214_7:                              ; =>This Inner Loop Header: Depth=1
	global_store_dword v[2:3], v5, off
	global_store_dword v[8:9], v1, off
	;; [unrolled: 1-line block ×3, first 2 shown]
	v_add_co_u32_e32 v6, vcc, 4, v6
	v_addc_co_u32_e32 v7, vcc, 0, v7, vcc
	v_add_co_u32_e32 v8, vcc, 4, v8
	v_addc_co_u32_e32 v9, vcc, 0, v9, vcc
	v_add_co_u32_e32 v2, vcc, 4, v2
	s_add_i32 s0, s0, -1
	v_add_f32_e32 v12, v12, v5
	v_addc_co_u32_e32 v3, vcc, 0, v3, vcc
	s_cmp_eq_u32 s0, 0
	v_add_u32_e32 v4, s18, v4
	s_cbranch_scc0 .LBB214_7
.LBB214_8:
	v_cmp_neq_f32_e32 vcc, 0, v12
	s_and_b64 exec, exec, vcc
	s_cbranch_execz .LBB214_19
; %bb.9:
	s_andn2_b64 vcc, exec, s[16:17]
	s_cbranch_vccnz .LBB214_19
; %bb.10:
	v_div_scale_f32 v1, s[0:1], v12, v12, 1.0
	v_rcp_f32_e32 v2, v1
	v_div_scale_f32 v3, vcc, 1.0, v12, 1.0
	s_cmp_gt_u32 s8, 3
	v_fma_f32 v4, -v1, v2, 1.0
	v_fmac_f32_e32 v2, v4, v2
	v_mul_f32_e32 v4, v3, v2
	v_fma_f32 v5, -v1, v4, v3
	v_fmac_f32_e32 v4, v5, v2
	v_fma_f32 v1, -v1, v4, v3
	v_div_fmas_f32 v1, v1, v2, v4
	v_div_fixup_f32 v2, v1, v12, 1.0
	v_ashrrev_i32_e32 v1, 31, v0
	s_cbranch_scc0 .LBB214_14
; %bb.11:
	v_lshlrev_b64 v[4:5], 2, v[0:1]
	v_mov_b32_e32 v6, s13
	v_add_co_u32_e32 v4, vcc, s12, v4
	v_addc_co_u32_e32 v5, vcc, v5, v6, vcc
	s_and_b32 s4, s8, 0x7ffffffc
	v_add_co_u32_e32 v4, vcc, 8, v4
	v_mov_b32_e32 v3, v2
	v_addc_co_u32_e32 v5, vcc, 0, v5, vcc
	s_mov_b32 s0, s4
.LBB214_12:                             ; =>This Inner Loop Header: Depth=1
	global_load_dwordx4 v[6:9], v[4:5], off offset:-8
	s_add_i32 s0, s0, -4
	s_cmp_lg_u32 s0, 0
	s_waitcnt vmcnt(0)
	v_pk_mul_f32 v[6:7], v[2:3], v[6:7]
	v_pk_mul_f32 v[8:9], v[2:3], v[8:9]
	global_store_dwordx4 v[4:5], v[6:9], off offset:-8
	v_add_co_u32_e32 v4, vcc, 16, v4
	v_addc_co_u32_e32 v5, vcc, 0, v5, vcc
	s_cbranch_scc1 .LBB214_12
; %bb.13:
	s_cmp_lg_u32 s4, s8
	s_cselect_b64 s[0:1], -1, 0
	s_branch .LBB214_16
.LBB214_14:
	s_mov_b64 s[0:1], 0
                                        ; implicit-def: $sgpr4
	s_cbranch_execz .LBB214_16
; %bb.15:
	s_mov_b64 s[0:1], -1
	s_mov_b32 s4, 0
.LBB214_16:
	s_andn2_b64 vcc, exec, s[0:1]
	s_cbranch_vccnz .LBB214_19
; %bb.17:
	v_add_co_u32_e32 v0, vcc, s4, v0
	v_addc_co_u32_e32 v1, vcc, 0, v1, vcc
	v_lshlrev_b64 v[0:1], 2, v[0:1]
	v_mov_b32_e32 v3, s13
	v_add_co_u32_e32 v0, vcc, s12, v0
	s_sub_i32 s0, s8, s4
	v_addc_co_u32_e32 v1, vcc, v3, v1, vcc
.LBB214_18:                             ; =>This Inner Loop Header: Depth=1
	global_load_dword v3, v[0:1], off
	s_add_i32 s0, s0, -1
	s_cmp_lg_u32 s0, 0
	s_waitcnt vmcnt(0)
	v_mul_f32_e32 v3, v2, v3
	global_store_dword v[0:1], v3, off
	v_add_co_u32_e32 v0, vcc, 4, v0
	v_addc_co_u32_e32 v1, vcc, 0, v1, vcc
	s_cbranch_scc1 .LBB214_18
.LBB214_19:
	s_endpgm
	.section	.rodata,"a",@progbits
	.p2align	6, 0x0
	.amdhsa_kernel _ZN4vllm3moe17topkGatingSoftmaxItLi1ELi1ELi8ELi2ELb1ELi4ELNS0_23SharedExpertScoringFuncE1EEEvPKT_PKbPfiPiS9_iiiiii
		.amdhsa_group_segment_fixed_size 0
		.amdhsa_private_segment_fixed_size 0
		.amdhsa_kernarg_size 72
		.amdhsa_user_sgpr_count 6
		.amdhsa_user_sgpr_private_segment_buffer 1
		.amdhsa_user_sgpr_dispatch_ptr 0
		.amdhsa_user_sgpr_queue_ptr 0
		.amdhsa_user_sgpr_kernarg_segment_ptr 1
		.amdhsa_user_sgpr_dispatch_id 0
		.amdhsa_user_sgpr_flat_scratch_init 0
		.amdhsa_user_sgpr_kernarg_preload_length 0
		.amdhsa_user_sgpr_kernarg_preload_offset 0
		.amdhsa_user_sgpr_private_segment_size 0
		.amdhsa_uses_dynamic_stack 0
		.amdhsa_system_sgpr_private_segment_wavefront_offset 0
		.amdhsa_system_sgpr_workgroup_id_x 1
		.amdhsa_system_sgpr_workgroup_id_y 0
		.amdhsa_system_sgpr_workgroup_id_z 0
		.amdhsa_system_sgpr_workgroup_info 0
		.amdhsa_system_vgpr_workitem_id 1
		.amdhsa_next_free_vgpr 25
		.amdhsa_next_free_sgpr 22
		.amdhsa_accum_offset 28
		.amdhsa_reserve_vcc 1
		.amdhsa_reserve_flat_scratch 0
		.amdhsa_float_round_mode_32 0
		.amdhsa_float_round_mode_16_64 0
		.amdhsa_float_denorm_mode_32 3
		.amdhsa_float_denorm_mode_16_64 3
		.amdhsa_dx10_clamp 1
		.amdhsa_ieee_mode 1
		.amdhsa_fp16_overflow 0
		.amdhsa_tg_split 0
		.amdhsa_exception_fp_ieee_invalid_op 0
		.amdhsa_exception_fp_denorm_src 0
		.amdhsa_exception_fp_ieee_div_zero 0
		.amdhsa_exception_fp_ieee_overflow 0
		.amdhsa_exception_fp_ieee_underflow 0
		.amdhsa_exception_fp_ieee_inexact 0
		.amdhsa_exception_int_div_zero 0
	.end_amdhsa_kernel
	.section	.text._ZN4vllm3moe17topkGatingSoftmaxItLi1ELi1ELi8ELi2ELb1ELi4ELNS0_23SharedExpertScoringFuncE1EEEvPKT_PKbPfiPiS9_iiiiii,"axG",@progbits,_ZN4vllm3moe17topkGatingSoftmaxItLi1ELi1ELi8ELi2ELb1ELi4ELNS0_23SharedExpertScoringFuncE1EEEvPKT_PKbPfiPiS9_iiiiii,comdat
.Lfunc_end214:
	.size	_ZN4vllm3moe17topkGatingSoftmaxItLi1ELi1ELi8ELi2ELb1ELi4ELNS0_23SharedExpertScoringFuncE1EEEvPKT_PKbPfiPiS9_iiiiii, .Lfunc_end214-_ZN4vllm3moe17topkGatingSoftmaxItLi1ELi1ELi8ELi2ELb1ELi4ELNS0_23SharedExpertScoringFuncE1EEEvPKT_PKbPfiPiS9_iiiiii
                                        ; -- End function
	.section	.AMDGPU.csdata,"",@progbits
; Kernel info:
; codeLenInByte = 1824
; NumSgprs: 26
; NumVgprs: 25
; NumAgprs: 0
; TotalNumVgprs: 25
; ScratchSize: 0
; MemoryBound: 0
; FloatMode: 240
; IeeeMode: 1
; LDSByteSize: 0 bytes/workgroup (compile time only)
; SGPRBlocks: 3
; VGPRBlocks: 3
; NumSGPRsForWavesPerEU: 26
; NumVGPRsForWavesPerEU: 25
; AccumOffset: 28
; Occupancy: 8
; WaveLimiterHint : 0
; COMPUTE_PGM_RSRC2:SCRATCH_EN: 0
; COMPUTE_PGM_RSRC2:USER_SGPR: 6
; COMPUTE_PGM_RSRC2:TRAP_HANDLER: 0
; COMPUTE_PGM_RSRC2:TGID_X_EN: 1
; COMPUTE_PGM_RSRC2:TGID_Y_EN: 0
; COMPUTE_PGM_RSRC2:TGID_Z_EN: 0
; COMPUTE_PGM_RSRC2:TIDIG_COMP_CNT: 1
; COMPUTE_PGM_RSRC3_GFX90A:ACCUM_OFFSET: 6
; COMPUTE_PGM_RSRC3_GFX90A:TG_SPLIT: 0
	.section	.text._ZN4vllm3moe17topkGatingSoftmaxItLi1ELi1ELi8ELi2ELb0ELi4ELNS0_23SharedExpertScoringFuncE1EEEvPKT_PKbPfiPiS9_iiiiii,"axG",@progbits,_ZN4vllm3moe17topkGatingSoftmaxItLi1ELi1ELi8ELi2ELb0ELi4ELNS0_23SharedExpertScoringFuncE1EEEvPKT_PKbPfiPiS9_iiiiii,comdat
	.protected	_ZN4vllm3moe17topkGatingSoftmaxItLi1ELi1ELi8ELi2ELb0ELi4ELNS0_23SharedExpertScoringFuncE1EEEvPKT_PKbPfiPiS9_iiiiii ; -- Begin function _ZN4vllm3moe17topkGatingSoftmaxItLi1ELi1ELi8ELi2ELb0ELi4ELNS0_23SharedExpertScoringFuncE1EEEvPKT_PKbPfiPiS9_iiiiii
	.globl	_ZN4vllm3moe17topkGatingSoftmaxItLi1ELi1ELi8ELi2ELb0ELi4ELNS0_23SharedExpertScoringFuncE1EEEvPKT_PKbPfiPiS9_iiiiii
	.p2align	8
	.type	_ZN4vllm3moe17topkGatingSoftmaxItLi1ELi1ELi8ELi2ELb0ELi4ELNS0_23SharedExpertScoringFuncE1EEEvPKT_PKbPfiPiS9_iiiiii,@function
_ZN4vllm3moe17topkGatingSoftmaxItLi1ELi1ELi8ELi2ELb0ELi4ELNS0_23SharedExpertScoringFuncE1EEEvPKT_PKbPfiPiS9_iiiiii: ; @_ZN4vllm3moe17topkGatingSoftmaxItLi1ELi1ELi8ELi2ELb0ELi4ELNS0_23SharedExpertScoringFuncE1EEEvPKT_PKbPfiPiS9_iiiiii
; %bb.0:
	s_load_dword s18, s[4:5], 0x18
	v_bfe_u32 v1, v0, 10, 10
	s_lshl_b32 s19, s6, 9
	v_lshlrev_b32_e32 v10, 6, v1
	v_and_b32_e32 v11, 0x3ff, v0
	v_add3_u32 v13, v10, v11, s19
	s_waitcnt lgkmcnt(0)
	v_cmp_gt_i32_e32 vcc, s18, v13
	s_and_saveexec_b64 s[0:1], vcc
	s_cbranch_execz .LBB215_20
; %bb.1:
	s_load_dwordx4 s[0:3], s[4:5], 0x0
	s_load_dwordx2 s[12:13], s[4:5], 0x10
	s_waitcnt lgkmcnt(0)
	s_cmp_eq_u64 s[2:3], 0
	s_cbranch_scc1 .LBB215_3
; %bb.2:
	v_ashrrev_i32_e32 v1, 31, v13
	v_mov_b32_e32 v2, s3
	v_add_co_u32_e32 v0, vcc, s2, v13
	v_addc_co_u32_e32 v1, vcc, v2, v1, vcc
	global_load_ubyte v0, v[0:1], off
	s_waitcnt vmcnt(0)
	v_and_b32_e32 v0, 1, v0
	v_cmp_eq_u32_e32 vcc, 1, v0
	s_xor_b64 s[2:3], vcc, -1
	s_orn2_b64 s[14:15], s[2:3], exec
	s_branch .LBB215_4
.LBB215_3:
	s_mov_b64 s[14:15], -1
.LBB215_4:
	s_load_dwordx2 s[16:17], s[4:5], 0x40
	s_load_dwordx4 s[8:11], s[4:5], 0x30
	v_mov_b32_e32 v2, s1
	s_mov_b32 s1, 0x42ce8ed0
	s_mov_b32 s2, 0xc2b17218
	s_waitcnt lgkmcnt(0)
	v_mul_lo_u32 v0, v13, s17
	v_ashrrev_i32_e32 v1, 31, v0
	v_lshlrev_b64 v[0:1], 1, v[0:1]
	v_add_co_u32_e32 v0, vcc, s0, v0
	v_addc_co_u32_e32 v1, vcc, v2, v1, vcc
	global_load_dwordx2 v[6:7], v[0:1], off
	global_load_ushort v4, v[0:1], off offset:8
	v_mul_lo_u32 v0, v13, s11
	v_add_u32_e32 v2, s8, v0
	v_ashrrev_i32_e32 v3, 31, v2
	v_lshlrev_b64 v[2:3], 2, v[2:3]
	v_mov_b32_e32 v1, s13
	v_add_co_u32_e32 v8, vcc, s12, v2
	v_addc_co_u32_e32 v9, vcc, v1, v3, vcc
	s_mov_b32 s0, 0xbfb8aa3b
	v_mov_b32_e32 v12, 0x7f800000
	s_cmp_gt_i32 s8, 0
	v_mov_b32_e32 v14, 0
	s_waitcnt vmcnt(1)
	v_cvt_f32_u32_sdwa v1, v7 dst_sel:DWORD dst_unused:UNUSED_PAD src0_sel:WORD_0
	v_cvt_f32_u32_sdwa v2, v6 dst_sel:DWORD dst_unused:UNUSED_PAD src0_sel:WORD_1
	s_waitcnt vmcnt(0)
	v_cvt_f32_u32_e32 v4, v4
	v_cvt_f32_u32_sdwa v7, v7 dst_sel:DWORD dst_unused:UNUSED_PAD src0_sel:WORD_1
	v_mul_f32_e32 v3, 0xbfb8aa3b, v1
	v_mul_f32_e32 v5, 0xbfb8aa3b, v2
	v_fma_f32 v17, v1, s0, -v3
	v_rndne_f32_e32 v18, v3
	v_mul_f32_e32 v15, 0xbfb8aa3b, v4
	v_fma_f32 v19, v2, s0, -v5
	v_rndne_f32_e32 v20, v5
	v_fmac_f32_e32 v17, 0xb2a5705f, v1
	v_sub_f32_e32 v3, v3, v18
	v_mul_f32_e32 v16, 0xbfb8aa3b, v7
	v_fma_f32 v21, v4, s0, -v15
	v_rndne_f32_e32 v22, v15
	v_fmac_f32_e32 v19, 0xb2a5705f, v2
	v_sub_f32_e32 v5, v5, v20
	v_add_f32_e32 v3, v3, v17
	v_fma_f32 v23, v7, s0, -v16
	v_rndne_f32_e32 v24, v16
	v_cvt_i32_f32_e32 v18, v18
	v_fmac_f32_e32 v21, 0xb2a5705f, v4
	v_sub_f32_e32 v15, v15, v22
	v_add_f32_e32 v5, v5, v19
	v_exp_f32_e32 v3, v3
	v_cvt_i32_f32_e32 v20, v20
	v_fmac_f32_e32 v23, 0xb2a5705f, v7
	v_sub_f32_e32 v16, v16, v24
	v_add_f32_e32 v15, v15, v21
	v_exp_f32_e32 v5, v5
	v_cvt_i32_f32_e32 v22, v22
	v_add_f32_e32 v16, v16, v23
	v_exp_f32_e32 v15, v15
	v_cvt_i32_f32_e32 v24, v24
	v_exp_f32_e32 v16, v16
	v_ldexp_f32 v3, v3, v18
	v_cmp_nlt_f32_e32 vcc, s1, v1
	v_ldexp_f32 v5, v5, v20
	v_cndmask_b32_e32 v3, 0, v3, vcc
	v_cmp_nlt_f32_e32 vcc, s1, v2
	v_ldexp_f32 v15, v15, v22
	v_cndmask_b32_e32 v5, 0, v5, vcc
	;; [unrolled: 3-line block ×3, first 2 shown]
	v_cmp_nlt_f32_e32 vcc, s1, v7
	v_cndmask_b32_e32 v16, 0, v16, vcc
	v_cmp_ngt_f32_e32 vcc, s2, v1
	v_cndmask_b32_e32 v3, v12, v3, vcc
	v_cmp_ngt_f32_e32 vcc, s2, v2
	;; [unrolled: 2-line block ×4, first 2 shown]
	v_pk_add_f32 v[2:3], v[2:3], 1.0 op_sel_hi:[1,0]
	v_cndmask_b32_e32 v4, v12, v16, vcc
	v_div_scale_f32 v1, s[0:1], v3, v3, 1.0
	v_pk_add_f32 v[4:5], v[4:5], 1.0 op_sel_hi:[1,0]
	v_div_scale_f32 v15, s[0:1], v2, v2, 1.0
	v_rcp_f32_e32 v18, v1
	v_div_scale_f32 v17, s[2:3], v5, v5, 1.0
	v_rcp_f32_e32 v19, v15
	v_rcp_f32_e32 v20, v17
	v_fma_f32 v22, -v1, v18, 1.0
	v_div_scale_f32 v7, vcc, 1.0, v3, 1.0
	v_fma_f32 v23, -v15, v19, 1.0
	v_fmac_f32_e32 v18, v22, v18
	v_div_scale_f32 v16, s[0:1], 1.0, v2, 1.0
	v_fma_f32 v24, -v17, v20, 1.0
	v_fmac_f32_e32 v19, v23, v19
	v_mul_f32_e32 v22, v7, v18
	v_fmac_f32_e32 v20, v24, v20
	v_mul_f32_e32 v23, v16, v19
	v_fma_f32 v24, -v1, v22, v7
	v_fma_f32 v25, -v15, v23, v16
	v_fmac_f32_e32 v22, v24, v18
	v_fmac_f32_e32 v23, v25, v19
	v_fma_f32 v1, -v1, v22, v7
	v_fma_f32 v7, -v15, v23, v16
	v_div_fmas_f32 v1, v1, v18, v22
	s_mov_b64 vcc, s[0:1]
	v_div_scale_f32 v21, s[2:3], 1.0, v5, 1.0
	v_div_fixup_f32 v3, v1, v3, 1.0
	v_div_fmas_f32 v1, v7, v19, v23
	v_div_fixup_f32 v2, v1, v2, 1.0
	v_mul_f32_e32 v1, v21, v20
	v_div_scale_f32 v15, s[0:1], v4, v4, 1.0
	v_fma_f32 v7, -v17, v1, v21
	v_rcp_f32_e32 v16, v15
	v_fmac_f32_e32 v1, v7, v20
	v_fma_f32 v7, -v17, v1, v21
	s_mov_b64 vcc, s[2:3]
	v_div_fmas_f32 v1, v7, v20, v1
	v_div_fixup_f32 v5, v1, v5, 1.0
	v_fma_f32 v1, -v15, v16, 1.0
	v_fmac_f32_e32 v16, v1, v16
	v_div_scale_f32 v1, vcc, 1.0, v4, 1.0
	v_mul_f32_e32 v7, v1, v16
	v_fma_f32 v17, -v15, v7, v1
	v_fmac_f32_e32 v7, v17, v16
	v_fma_f32 v1, -v15, v7, v1
	v_cvt_f32_u32_sdwa v15, v6 dst_sel:DWORD dst_unused:UNUSED_PAD src0_sel:WORD_0
	v_div_fmas_f32 v1, v1, v16, v7
	v_div_fixup_f32 v4, v1, v4, 1.0
	s_cselect_b64 s[2:3], -1, 0
	s_cmp_lt_i32 s8, 1
	v_mov_b32_e32 v1, v15
	global_store_dwordx4 v[8:9], v[2:5], off
	s_cbranch_scc1 .LBB215_9
; %bb.5:
	v_sub_f32_e32 v1, v15, v15
	v_mul_f32_e32 v2, 0x3fb8aa3b, v1
	s_mov_b32 s11, 0x3fb8aa3b
	v_rndne_f32_e32 v3, v2
	v_sub_f32_e32 v4, v2, v3
	v_fma_f32 v2, v1, s11, -v2
	v_fmac_f32_e32 v2, 0x32a5705f, v1
	v_add_f32_e32 v2, v4, v2
	s_cmp_lt_i32 s9, 1
	v_exp_f32_e32 v2, v2
	v_cvt_i32_f32_e32 v3, v3
	s_cselect_b64 s[0:1], -1, 0
	s_cmp_gt_i32 s10, 0
	v_mul_lo_u32 v6, v13, s16
	s_cselect_b64 s[16:17], -1, 0
	s_and_b64 s[20:21], s[0:1], s[16:17]
	s_mov_b32 s16, 0xc2ce8ed0
	v_ldexp_f32 v2, v2, v3
	v_cmp_ngt_f32_e32 vcc, s16, v1
	s_mov_b32 s10, 0x42b17218
	v_cndmask_b32_e32 v2, 0, v2, vcc
	v_cmp_nlt_f32_e32 vcc, s10, v1
	v_ashrrev_i32_e32 v1, 31, v0
	s_load_dwordx4 s[4:7], s[4:5], 0x20
	v_cndmask_b32_e32 v14, v12, v2, vcc
	v_lshlrev_b64 v[2:3], 2, v[0:1]
	v_mov_b32_e32 v1, s13
	v_add_co_u32_e32 v4, vcc, s12, v2
	v_addc_co_u32_e64 v5, s[0:1], v1, v3, vcc
	s_sub_i32 s0, 0, s9
	v_ashrrev_i32_e32 v7, 31, v6
	v_mov_b32_e32 v1, s0
	s_and_b64 s[0:1], s[14:15], s[20:21]
	v_lshlrev_b64 v[8:9], 2, v[6:7]
	v_mul_lo_u32 v16, v13, s8
	v_cndmask_b32_e64 v1, 1, v1, s[0:1]
	s_waitcnt lgkmcnt(0)
	v_mov_b32_e32 v2, s5
	v_add_co_u32_e64 v6, s[0:1], s4, v8
	v_addc_co_u32_e64 v7, s[0:1], v2, v9, s[0:1]
	v_ashrrev_i32_e32 v17, 31, v16
	global_store_dword v[6:7], v1, off
	v_lshlrev_b64 v[6:7], 2, v[16:17]
	v_mov_b32_e32 v2, s7
	v_add_co_u32_e64 v16, s[0:1], s6, v6
	v_addc_co_u32_e64 v17, s[0:1], v2, v7, s[0:1]
	s_cmp_eq_u32 s8, 1
	global_store_dword v[4:5], v14, off
	global_store_dword v[16:17], v13, off
	s_cbranch_scc1 .LBB215_8
; %bb.6:
	v_sub_f32_e32 v2, 0xff800000, v15
	v_mul_f32_e32 v5, 0x3fb8aa3b, v2
	v_fma_f32 v13, v2, s11, -v5
	v_rndne_f32_e32 v16, v5
	v_fmac_f32_e32 v13, 0x32a5705f, v2
	v_sub_f32_e32 v5, v5, v16
	v_add_f32_e32 v5, v5, v13
	v_cvt_i32_f32_e32 v13, v16
	v_exp_f32_e32 v5, v5
	v_cmp_ngt_f32_e64 s[0:1], s16, v2
	s_add_i32 s19, s19, s18
	v_ldexp_f32 v5, v5, v13
	v_cndmask_b32_e64 v5, 0, v5, s[0:1]
	v_mov_b32_e32 v13, 0x7f800000
	v_cmp_nlt_f32_e64 s[0:1], s10, v2
	v_cndmask_b32_e64 v5, v13, v5, s[0:1]
	v_mov_b32_e32 v2, s7
	v_add_co_u32_e64 v6, s[0:1], s6, v6
	v_addc_co_u32_e64 v2, s[0:1], v7, v2, s[0:1]
	v_add_co_u32_e64 v6, s[0:1], 4, v6
	v_addc_co_u32_e64 v7, s[0:1], 0, v2, s[0:1]
	v_mov_b32_e32 v2, s5
	v_add_co_u32_e64 v8, s[0:1], s4, v8
	v_addc_co_u32_e64 v2, s[0:1], v9, v2, s[0:1]
	v_add_co_u32_e64 v8, s[0:1], 4, v8
	v_addc_co_u32_e64 v9, s[0:1], 0, v2, s[0:1]
	v_mov_b32_e32 v2, s13
	v_addc_co_u32_e32 v3, vcc, v3, v2, vcc
	v_add_co_u32_e32 v2, vcc, 4, v4
	v_addc_co_u32_e32 v3, vcc, 0, v3, vcc
	s_add_i32 s0, s8, -1
	v_add3_u32 v4, s19, v11, v10
.LBB215_7:                              ; =>This Inner Loop Header: Depth=1
	global_store_dword v[2:3], v5, off
	global_store_dword v[8:9], v1, off
	;; [unrolled: 1-line block ×3, first 2 shown]
	v_add_co_u32_e32 v6, vcc, 4, v6
	v_addc_co_u32_e32 v7, vcc, 0, v7, vcc
	v_add_co_u32_e32 v8, vcc, 4, v8
	v_addc_co_u32_e32 v9, vcc, 0, v9, vcc
	v_add_co_u32_e32 v2, vcc, 4, v2
	s_add_i32 s0, s0, -1
	v_add_f32_e32 v14, v14, v5
	v_addc_co_u32_e32 v3, vcc, 0, v3, vcc
	s_cmp_eq_u32 s0, 0
	v_add_u32_e32 v4, s18, v4
	s_cbranch_scc0 .LBB215_7
.LBB215_8:
	v_mov_b32_e32 v1, 0xff800000
.LBB215_9:
	v_sub_f32_e32 v1, v1, v15
	s_mov_b32 s0, 0x3fb8aa3b
	v_mul_f32_e32 v2, 0x3fb8aa3b, v1
	v_fma_f32 v3, v1, s0, -v2
	v_rndne_f32_e32 v4, v2
	v_fmac_f32_e32 v3, 0x32a5705f, v1
	v_sub_f32_e32 v2, v2, v4
	v_add_f32_e32 v2, v2, v3
	v_exp_f32_e32 v2, v2
	v_cvt_i32_f32_e32 v3, v4
	s_mov_b32 s0, 0xc2ce8ed0
	v_cmp_ngt_f32_e32 vcc, s0, v1
	s_mov_b32 s0, 0x42b17218
	v_ldexp_f32 v2, v2, v3
	v_cndmask_b32_e32 v2, 0, v2, vcc
	v_cmp_nlt_f32_e32 vcc, s0, v1
	v_cndmask_b32_e32 v1, v12, v2, vcc
	v_add_f32_e32 v1, v14, v1
	v_cmp_neq_f32_e32 vcc, 0, v1
	s_and_b64 exec, exec, vcc
	s_cbranch_execz .LBB215_20
; %bb.10:
	s_andn2_b64 vcc, exec, s[2:3]
	s_cbranch_vccnz .LBB215_20
; %bb.11:
	v_div_scale_f32 v2, s[0:1], v1, v1, 1.0
	v_rcp_f32_e32 v3, v2
	v_div_scale_f32 v4, vcc, 1.0, v1, 1.0
	s_cmp_gt_u32 s8, 3
	v_fma_f32 v5, -v2, v3, 1.0
	v_fmac_f32_e32 v3, v5, v3
	v_mul_f32_e32 v5, v4, v3
	v_fma_f32 v6, -v2, v5, v4
	v_fmac_f32_e32 v5, v6, v3
	v_fma_f32 v2, -v2, v5, v4
	v_div_fmas_f32 v2, v2, v3, v5
	v_div_fixup_f32 v2, v2, v1, 1.0
	v_ashrrev_i32_e32 v1, 31, v0
	s_cbranch_scc0 .LBB215_15
; %bb.12:
	v_lshlrev_b64 v[4:5], 2, v[0:1]
	v_mov_b32_e32 v6, s13
	v_add_co_u32_e32 v4, vcc, s12, v4
	v_addc_co_u32_e32 v5, vcc, v5, v6, vcc
	s_and_b32 s4, s8, 0x7ffffffc
	v_add_co_u32_e32 v4, vcc, 8, v4
	v_mov_b32_e32 v3, v2
	v_addc_co_u32_e32 v5, vcc, 0, v5, vcc
	s_mov_b32 s0, s4
.LBB215_13:                             ; =>This Inner Loop Header: Depth=1
	global_load_dwordx4 v[6:9], v[4:5], off offset:-8
	s_add_i32 s0, s0, -4
	s_cmp_lg_u32 s0, 0
	s_waitcnt vmcnt(0)
	v_pk_mul_f32 v[6:7], v[2:3], v[6:7]
	v_pk_mul_f32 v[8:9], v[2:3], v[8:9]
	global_store_dwordx4 v[4:5], v[6:9], off offset:-8
	v_add_co_u32_e32 v4, vcc, 16, v4
	v_addc_co_u32_e32 v5, vcc, 0, v5, vcc
	s_cbranch_scc1 .LBB215_13
; %bb.14:
	s_cmp_lg_u32 s4, s8
	s_cselect_b64 s[0:1], -1, 0
	s_branch .LBB215_17
.LBB215_15:
	s_mov_b64 s[0:1], 0
                                        ; implicit-def: $sgpr4
	s_cbranch_execz .LBB215_17
; %bb.16:
	s_mov_b64 s[0:1], -1
	s_mov_b32 s4, 0
.LBB215_17:
	s_andn2_b64 vcc, exec, s[0:1]
	s_cbranch_vccnz .LBB215_20
; %bb.18:
	v_add_co_u32_e32 v0, vcc, s4, v0
	v_addc_co_u32_e32 v1, vcc, 0, v1, vcc
	v_lshlrev_b64 v[0:1], 2, v[0:1]
	v_mov_b32_e32 v3, s13
	v_add_co_u32_e32 v0, vcc, s12, v0
	s_sub_i32 s0, s8, s4
	v_addc_co_u32_e32 v1, vcc, v3, v1, vcc
.LBB215_19:                             ; =>This Inner Loop Header: Depth=1
	global_load_dword v3, v[0:1], off
	s_add_i32 s0, s0, -1
	s_cmp_lg_u32 s0, 0
	s_waitcnt vmcnt(0)
	v_mul_f32_e32 v3, v2, v3
	global_store_dword v[0:1], v3, off
	v_add_co_u32_e32 v0, vcc, 4, v0
	v_addc_co_u32_e32 v1, vcc, 0, v1, vcc
	s_cbranch_scc1 .LBB215_19
.LBB215_20:
	s_endpgm
	.section	.rodata,"a",@progbits
	.p2align	6, 0x0
	.amdhsa_kernel _ZN4vllm3moe17topkGatingSoftmaxItLi1ELi1ELi8ELi2ELb0ELi4ELNS0_23SharedExpertScoringFuncE1EEEvPKT_PKbPfiPiS9_iiiiii
		.amdhsa_group_segment_fixed_size 0
		.amdhsa_private_segment_fixed_size 0
		.amdhsa_kernarg_size 72
		.amdhsa_user_sgpr_count 6
		.amdhsa_user_sgpr_private_segment_buffer 1
		.amdhsa_user_sgpr_dispatch_ptr 0
		.amdhsa_user_sgpr_queue_ptr 0
		.amdhsa_user_sgpr_kernarg_segment_ptr 1
		.amdhsa_user_sgpr_dispatch_id 0
		.amdhsa_user_sgpr_flat_scratch_init 0
		.amdhsa_user_sgpr_kernarg_preload_length 0
		.amdhsa_user_sgpr_kernarg_preload_offset 0
		.amdhsa_user_sgpr_private_segment_size 0
		.amdhsa_uses_dynamic_stack 0
		.amdhsa_system_sgpr_private_segment_wavefront_offset 0
		.amdhsa_system_sgpr_workgroup_id_x 1
		.amdhsa_system_sgpr_workgroup_id_y 0
		.amdhsa_system_sgpr_workgroup_id_z 0
		.amdhsa_system_sgpr_workgroup_info 0
		.amdhsa_system_vgpr_workitem_id 1
		.amdhsa_next_free_vgpr 26
		.amdhsa_next_free_sgpr 22
		.amdhsa_accum_offset 28
		.amdhsa_reserve_vcc 1
		.amdhsa_reserve_flat_scratch 0
		.amdhsa_float_round_mode_32 0
		.amdhsa_float_round_mode_16_64 0
		.amdhsa_float_denorm_mode_32 3
		.amdhsa_float_denorm_mode_16_64 3
		.amdhsa_dx10_clamp 1
		.amdhsa_ieee_mode 1
		.amdhsa_fp16_overflow 0
		.amdhsa_tg_split 0
		.amdhsa_exception_fp_ieee_invalid_op 0
		.amdhsa_exception_fp_denorm_src 0
		.amdhsa_exception_fp_ieee_div_zero 0
		.amdhsa_exception_fp_ieee_overflow 0
		.amdhsa_exception_fp_ieee_underflow 0
		.amdhsa_exception_fp_ieee_inexact 0
		.amdhsa_exception_int_div_zero 0
	.end_amdhsa_kernel
	.section	.text._ZN4vllm3moe17topkGatingSoftmaxItLi1ELi1ELi8ELi2ELb0ELi4ELNS0_23SharedExpertScoringFuncE1EEEvPKT_PKbPfiPiS9_iiiiii,"axG",@progbits,_ZN4vllm3moe17topkGatingSoftmaxItLi1ELi1ELi8ELi2ELb0ELi4ELNS0_23SharedExpertScoringFuncE1EEEvPKT_PKbPfiPiS9_iiiiii,comdat
.Lfunc_end215:
	.size	_ZN4vllm3moe17topkGatingSoftmaxItLi1ELi1ELi8ELi2ELb0ELi4ELNS0_23SharedExpertScoringFuncE1EEEvPKT_PKbPfiPiS9_iiiiii, .Lfunc_end215-_ZN4vllm3moe17topkGatingSoftmaxItLi1ELi1ELi8ELi2ELb0ELi4ELNS0_23SharedExpertScoringFuncE1EEEvPKT_PKbPfiPiS9_iiiiii
                                        ; -- End function
	.section	.AMDGPU.csdata,"",@progbits
; Kernel info:
; codeLenInByte = 1920
; NumSgprs: 26
; NumVgprs: 26
; NumAgprs: 0
; TotalNumVgprs: 26
; ScratchSize: 0
; MemoryBound: 0
; FloatMode: 240
; IeeeMode: 1
; LDSByteSize: 0 bytes/workgroup (compile time only)
; SGPRBlocks: 3
; VGPRBlocks: 3
; NumSGPRsForWavesPerEU: 26
; NumVGPRsForWavesPerEU: 26
; AccumOffset: 28
; Occupancy: 8
; WaveLimiterHint : 0
; COMPUTE_PGM_RSRC2:SCRATCH_EN: 0
; COMPUTE_PGM_RSRC2:USER_SGPR: 6
; COMPUTE_PGM_RSRC2:TRAP_HANDLER: 0
; COMPUTE_PGM_RSRC2:TGID_X_EN: 1
; COMPUTE_PGM_RSRC2:TGID_Y_EN: 0
; COMPUTE_PGM_RSRC2:TGID_Z_EN: 0
; COMPUTE_PGM_RSRC2:TIDIG_COMP_CNT: 1
; COMPUTE_PGM_RSRC3_GFX90A:ACCUM_OFFSET: 6
; COMPUTE_PGM_RSRC3_GFX90A:TG_SPLIT: 0
	.section	.text._ZN4vllm3moe17topkGatingSoftmaxItLi1ELi1ELi8ELi2ELb1ELi8ELNS0_23SharedExpertScoringFuncE1EEEvPKT_PKbPfiPiS9_iiiiii,"axG",@progbits,_ZN4vllm3moe17topkGatingSoftmaxItLi1ELi1ELi8ELi2ELb1ELi8ELNS0_23SharedExpertScoringFuncE1EEEvPKT_PKbPfiPiS9_iiiiii,comdat
	.protected	_ZN4vllm3moe17topkGatingSoftmaxItLi1ELi1ELi8ELi2ELb1ELi8ELNS0_23SharedExpertScoringFuncE1EEEvPKT_PKbPfiPiS9_iiiiii ; -- Begin function _ZN4vllm3moe17topkGatingSoftmaxItLi1ELi1ELi8ELi2ELb1ELi8ELNS0_23SharedExpertScoringFuncE1EEEvPKT_PKbPfiPiS9_iiiiii
	.globl	_ZN4vllm3moe17topkGatingSoftmaxItLi1ELi1ELi8ELi2ELb1ELi8ELNS0_23SharedExpertScoringFuncE1EEEvPKT_PKbPfiPiS9_iiiiii
	.p2align	8
	.type	_ZN4vllm3moe17topkGatingSoftmaxItLi1ELi1ELi8ELi2ELb1ELi8ELNS0_23SharedExpertScoringFuncE1EEEvPKT_PKbPfiPiS9_iiiiii,@function
_ZN4vllm3moe17topkGatingSoftmaxItLi1ELi1ELi8ELi2ELb1ELi8ELNS0_23SharedExpertScoringFuncE1EEEvPKT_PKbPfiPiS9_iiiiii: ; @_ZN4vllm3moe17topkGatingSoftmaxItLi1ELi1ELi8ELi2ELb1ELi8ELNS0_23SharedExpertScoringFuncE1EEEvPKT_PKbPfiPiS9_iiiiii
; %bb.0:
	s_load_dword s18, s[4:5], 0x18
	v_bfe_u32 v1, v0, 10, 10
	s_lshl_b32 s19, s6, 9
	v_lshlrev_b32_e32 v10, 6, v1
	v_and_b32_e32 v11, 0x3ff, v0
	v_add3_u32 v13, v10, v11, s19
	s_waitcnt lgkmcnt(0)
	v_cmp_gt_i32_e32 vcc, s18, v13
	s_and_saveexec_b64 s[0:1], vcc
	s_cbranch_execz .LBB216_19
; %bb.1:
	s_load_dwordx4 s[0:3], s[4:5], 0x0
	s_load_dwordx2 s[12:13], s[4:5], 0x10
	s_waitcnt lgkmcnt(0)
	s_cmp_eq_u64 s[2:3], 0
	s_cbranch_scc1 .LBB216_3
; %bb.2:
	v_ashrrev_i32_e32 v1, 31, v13
	v_mov_b32_e32 v2, s3
	v_add_co_u32_e32 v0, vcc, s2, v13
	v_addc_co_u32_e32 v1, vcc, v2, v1, vcc
	global_load_ubyte v0, v[0:1], off
	s_waitcnt vmcnt(0)
	v_and_b32_e32 v0, 1, v0
	v_cmp_eq_u32_e32 vcc, 1, v0
	s_xor_b64 s[2:3], vcc, -1
	s_orn2_b64 s[2:3], s[2:3], exec
	s_branch .LBB216_4
.LBB216_3:
	s_mov_b64 s[2:3], -1
.LBB216_4:
	s_load_dwordx2 s[14:15], s[4:5], 0x40
	s_load_dwordx4 s[8:11], s[4:5], 0x30
	v_mov_b32_e32 v2, s1
	v_mov_b32_e32 v5, s13
	s_mov_b32 s7, 0xbfb8aa3b
	s_waitcnt lgkmcnt(0)
	v_mul_lo_u32 v0, v13, s15
	v_ashrrev_i32_e32 v1, 31, v0
	v_lshlrev_b64 v[0:1], 1, v[0:1]
	v_add_co_u32_e32 v8, vcc, s0, v0
	v_addc_co_u32_e32 v9, vcc, v2, v1, vcc
	global_load_dwordx3 v[0:2], v[8:9], off
	v_mul_lo_u32 v4, v13, s11
	v_add_u32_e32 v6, s8, v4
	v_ashrrev_i32_e32 v7, 31, v6
	v_lshlrev_b64 v[6:7], 2, v[6:7]
	v_add_co_u32_e32 v6, vcc, s12, v6
	v_addc_co_u32_e32 v7, vcc, v5, v7, vcc
	global_load_ushort v5, v[8:9], off offset:12
	global_load_dword v18, v[8:9], off offset:14
	s_mov_b32 s6, 0x42ce8ed0
	s_mov_b32 s15, 0xc2b17218
	v_mov_b32_e32 v3, 0x7f800000
	s_cmp_gt_i32 s8, 0
	v_mov_b32_e32 v12, 0
	s_cselect_b64 s[16:17], -1, 0
	s_cmp_lt_i32 s8, 1
	s_waitcnt vmcnt(2)
	v_cvt_f32_u32_sdwa v8, v1 dst_sel:DWORD dst_unused:UNUSED_PAD src0_sel:WORD_0
	v_cvt_f32_u32_sdwa v14, v0 dst_sel:DWORD dst_unused:UNUSED_PAD src0_sel:WORD_1
	v_cvt_f32_u32_sdwa v15, v2 dst_sel:DWORD dst_unused:UNUSED_PAD src0_sel:WORD_0
	v_cvt_f32_u32_sdwa v1, v1 dst_sel:DWORD dst_unused:UNUSED_PAD src0_sel:WORD_1
	v_mul_f32_e32 v9, 0xbfb8aa3b, v8
	v_mul_f32_e32 v16, 0xbfb8aa3b, v14
	v_fma_f32 v20, v8, s7, -v9
	v_rndne_f32_e32 v21, v9
	v_mul_f32_e32 v17, 0xbfb8aa3b, v15
	v_fma_f32 v22, v14, s7, -v16
	v_rndne_f32_e32 v23, v16
	v_fmac_f32_e32 v20, 0xb2a5705f, v8
	v_sub_f32_e32 v9, v9, v21
	v_mul_f32_e32 v19, 0xbfb8aa3b, v1
	v_fma_f32 v24, v15, s7, -v17
	v_rndne_f32_e32 v25, v17
	v_fmac_f32_e32 v22, 0xb2a5705f, v14
	v_sub_f32_e32 v16, v16, v23
	v_add_f32_e32 v9, v9, v20
	v_fma_f32 v26, v1, s7, -v19
	v_rndne_f32_e32 v27, v19
	v_cvt_i32_f32_e32 v21, v21
	v_fmac_f32_e32 v24, 0xb2a5705f, v15
	v_sub_f32_e32 v17, v17, v25
	v_add_f32_e32 v16, v16, v22
	v_exp_f32_e32 v9, v9
	v_cvt_i32_f32_e32 v23, v23
	v_fmac_f32_e32 v26, 0xb2a5705f, v1
	v_sub_f32_e32 v19, v19, v27
	v_add_f32_e32 v17, v17, v24
	v_exp_f32_e32 v16, v16
	v_cvt_i32_f32_e32 v25, v25
	v_add_f32_e32 v19, v19, v26
	v_exp_f32_e32 v17, v17
	v_cvt_i32_f32_e32 v27, v27
	v_exp_f32_e32 v19, v19
	v_ldexp_f32 v9, v9, v21
	v_cmp_nlt_f32_e32 vcc, s6, v8
	v_ldexp_f32 v16, v16, v23
	v_cndmask_b32_e32 v9, 0, v9, vcc
	v_cmp_nlt_f32_e32 vcc, s6, v14
	v_ldexp_f32 v17, v17, v25
	v_cndmask_b32_e32 v16, 0, v16, vcc
	;; [unrolled: 3-line block ×3, first 2 shown]
	v_cmp_nlt_f32_e32 vcc, s6, v1
	v_cndmask_b32_e32 v19, 0, v19, vcc
	v_cmp_ngt_f32_e32 vcc, s15, v8
	v_cndmask_b32_e32 v9, v3, v9, vcc
	v_cmp_ngt_f32_e32 vcc, s15, v14
	v_cndmask_b32_e32 v8, v3, v16, vcc
	v_cmp_ngt_f32_e32 vcc, s15, v15
	v_cndmask_b32_e32 v15, v3, v17, vcc
	v_cmp_ngt_f32_e32 vcc, s15, v1
	v_pk_add_f32 v[8:9], v[8:9], 1.0 op_sel_hi:[1,0]
	v_cndmask_b32_e32 v14, v3, v19, vcc
	v_div_scale_f32 v1, s[0:1], v9, v9, 1.0
	v_pk_add_f32 v[16:17], v[14:15], 1.0 op_sel_hi:[1,0]
	v_div_scale_f32 v15, s[0:1], v8, v8, 1.0
	v_rcp_f32_e32 v20, v1
	v_div_scale_f32 v19, s[0:1], v17, v17, 1.0
	v_rcp_f32_e32 v21, v15
	v_rcp_f32_e32 v22, v19
	v_fma_f32 v24, -v1, v20, 1.0
	v_div_scale_f32 v14, vcc, 1.0, v9, 1.0
	v_fma_f32 v25, -v15, v21, 1.0
	v_fmac_f32_e32 v20, v24, v20
	v_div_scale_f32 v23, s[0:1], 1.0, v8, 1.0
	v_fma_f32 v26, -v19, v22, 1.0
	v_fmac_f32_e32 v21, v25, v21
	v_mul_f32_e32 v24, v14, v20
	v_fmac_f32_e32 v22, v26, v22
	v_mul_f32_e32 v25, v23, v21
	v_fma_f32 v26, -v1, v24, v14
	v_fma_f32 v27, -v15, v25, v23
	v_fmac_f32_e32 v24, v26, v20
	v_fmac_f32_e32 v25, v27, v21
	v_fma_f32 v1, -v1, v24, v14
	v_fma_f32 v14, -v15, v25, v23
	v_div_fmas_f32 v1, v1, v20, v24
	s_mov_b64 vcc, s[0:1]
	v_div_fixup_f32 v15, v1, v9, 1.0
	v_div_fmas_f32 v1, v14, v21, v25
	v_div_fixup_f32 v14, v1, v8, 1.0
	v_div_scale_f32 v1, vcc, 1.0, v17, 1.0
	v_mul_f32_e32 v8, v1, v22
	v_fma_f32 v9, -v19, v8, v1
	v_fmac_f32_e32 v8, v9, v22
	v_div_scale_f32 v9, s[0:1], v16, v16, 1.0
	v_fma_f32 v1, -v19, v8, v1
	v_rcp_f32_e32 v19, v9
	v_div_fmas_f32 v1, v1, v22, v8
	v_div_fixup_f32 v17, v1, v17, 1.0
	v_cvt_f32_u32_sdwa v2, v2 dst_sel:DWORD dst_unused:UNUSED_PAD src0_sel:WORD_1
	v_fma_f32 v1, -v9, v19, 1.0
	v_fmac_f32_e32 v19, v1, v19
	s_waitcnt vmcnt(1)
	v_cvt_f32_u32_sdwa v1, v5 dst_sel:DWORD dst_unused:UNUSED_PAD src0_sel:WORD_0
	v_div_scale_f32 v5, vcc, 1.0, v16, 1.0
	v_mul_f32_e32 v20, v5, v19
	v_mul_f32_e32 v21, 0xbfb8aa3b, v1
	v_fma_f32 v22, v1, s7, -v21
	v_rndne_f32_e32 v23, v21
	v_fmac_f32_e32 v22, 0xb2a5705f, v1
	v_sub_f32_e32 v21, v21, v23
	v_add_f32_e32 v21, v21, v22
	v_exp_f32_e32 v21, v21
	v_cvt_i32_f32_e32 v22, v23
	v_fma_f32 v8, -v9, v20, v5
	v_fmac_f32_e32 v20, v8, v19
	v_fma_f32 v5, -v9, v20, v5
	v_mul_f32_e32 v9, 0xbfb8aa3b, v2
	v_ldexp_f32 v8, v21, v22
	v_fma_f32 v21, v2, s7, -v9
	v_rndne_f32_e32 v22, v9
	v_fmac_f32_e32 v21, 0xb2a5705f, v2
	v_sub_f32_e32 v9, v9, v22
	v_add_f32_e32 v9, v9, v21
	v_exp_f32_e32 v21, v9
	v_cvt_i32_f32_e32 v22, v22
	v_cmp_nlt_f32_e64 s[0:1], s6, v1
	v_cndmask_b32_e64 v8, 0, v8, s[0:1]
	v_cmp_ngt_f32_e64 s[0:1], s15, v1
	v_cndmask_b32_e64 v9, v3, v8, s[0:1]
	v_ldexp_f32 v1, v21, v22
	v_cmp_nlt_f32_e64 s[0:1], s6, v2
	v_cndmask_b32_e64 v1, 0, v1, s[0:1]
	v_cmp_ngt_f32_e64 s[0:1], s15, v2
	v_cndmask_b32_e64 v8, v3, v1, s[0:1]
	v_pk_add_f32 v[8:9], v[8:9], 1.0 op_sel_hi:[1,0]
	v_div_scale_f32 v1, s[0:1], v9, v9, 1.0
	v_rcp_f32_e32 v2, v1
	v_div_fmas_f32 v5, v5, v19, v20
	v_div_fixup_f32 v16, v5, v16, 1.0
	global_store_dwordx4 v[6:7], v[14:17], off
	v_fma_f32 v5, -v1, v2, 1.0
	v_fmac_f32_e32 v2, v5, v2
	v_div_scale_f32 v5, vcc, 1.0, v9, 1.0
	v_mul_f32_e32 v14, v5, v2
	v_fma_f32 v15, -v1, v14, v5
	v_fmac_f32_e32 v14, v15, v2
	v_fma_f32 v1, -v1, v14, v5
	v_div_scale_f32 v5, s[0:1], v8, v8, 1.0
	v_rcp_f32_e32 v19, v5
	v_div_fmas_f32 v1, v1, v2, v14
	v_div_fixup_f32 v15, v1, v9, 1.0
	v_div_scale_f32 v2, vcc, 1.0, v8, 1.0
	v_fma_f32 v1, -v5, v19, 1.0
	v_fmac_f32_e32 v19, v1, v19
	s_waitcnt vmcnt(1)
	v_cvt_f32_u32_sdwa v1, v18 dst_sel:DWORD dst_unused:UNUSED_PAD src0_sel:WORD_1
	v_cvt_f32_u32_sdwa v18, v18 dst_sel:DWORD dst_unused:UNUSED_PAD src0_sel:WORD_0
	v_mul_f32_e32 v9, v2, v19
	v_fma_f32 v14, -v5, v9, v2
	v_mul_f32_e32 v16, 0xbfb8aa3b, v1
	v_fma_f32 v17, v1, s7, -v16
	v_rndne_f32_e32 v20, v16
	v_fmac_f32_e32 v17, 0xb2a5705f, v1
	v_sub_f32_e32 v16, v16, v20
	v_add_f32_e32 v16, v16, v17
	v_exp_f32_e32 v16, v16
	v_cvt_i32_f32_e32 v17, v20
	v_fmac_f32_e32 v9, v14, v19
	v_mul_f32_e32 v14, 0xbfb8aa3b, v18
	v_fma_f32 v2, -v5, v9, v2
	v_ldexp_f32 v5, v16, v17
	v_fma_f32 v16, v18, s7, -v14
	v_rndne_f32_e32 v17, v14
	v_fmac_f32_e32 v16, 0xb2a5705f, v18
	v_sub_f32_e32 v14, v14, v17
	v_add_f32_e32 v14, v14, v16
	v_exp_f32_e32 v14, v14
	v_cvt_i32_f32_e32 v16, v17
	v_cmp_nlt_f32_e64 s[0:1], s6, v1
	v_cndmask_b32_e64 v5, 0, v5, s[0:1]
	v_cmp_ngt_f32_e64 s[0:1], s15, v1
	v_cndmask_b32_e64 v17, v3, v5, s[0:1]
	v_ldexp_f32 v1, v14, v16
	v_cmp_nlt_f32_e64 s[0:1], s6, v18
	v_cndmask_b32_e64 v1, 0, v1, s[0:1]
	v_cmp_ngt_f32_e64 s[0:1], s15, v18
	v_cndmask_b32_e64 v16, v3, v1, s[0:1]
	v_pk_add_f32 v[16:17], v[16:17], 1.0 op_sel_hi:[1,0]
	v_div_scale_f32 v1, s[0:1], v17, v17, 1.0
	v_rcp_f32_e32 v5, v1
	v_div_fmas_f32 v2, v2, v19, v9
	v_div_fixup_f32 v14, v2, v8, 1.0
	v_fma_f32 v2, -v1, v5, 1.0
	v_fmac_f32_e32 v5, v2, v5
	v_div_scale_f32 v2, vcc, 1.0, v17, 1.0
	v_mul_f32_e32 v8, v2, v5
	v_fma_f32 v9, -v1, v8, v2
	v_fmac_f32_e32 v8, v9, v5
	v_fma_f32 v1, -v1, v8, v2
	v_div_scale_f32 v2, s[0:1], v16, v16, 1.0
	v_rcp_f32_e32 v9, v2
	v_div_fmas_f32 v1, v1, v5, v8
	v_div_fixup_f32 v17, v1, v17, 1.0
	v_fma_f32 v1, -v2, v9, 1.0
	v_fmac_f32_e32 v9, v1, v9
	v_div_scale_f32 v1, vcc, 1.0, v16, 1.0
	v_mul_f32_e32 v5, v1, v9
	v_fma_f32 v8, -v2, v5, v1
	v_fmac_f32_e32 v5, v8, v9
	v_fma_f32 v1, -v2, v5, v1
	v_div_fmas_f32 v1, v1, v9, v5
	v_div_fixup_f32 v16, v1, v16, 1.0
	global_store_dwordx4 v[6:7], v[14:17], off offset:16
	s_cbranch_scc1 .LBB216_8
; %bb.5:
	v_cvt_f32_u32_sdwa v14, v0 dst_sel:DWORD dst_unused:UNUSED_PAD src0_sel:WORD_0
	s_mov_b32 s11, 0x3fb8aa3b
	s_cmp_lt_i32 s9, 1
	s_cselect_b64 s[0:1], -1, 0
	v_sub_f32_e32 v0, v14, v14
	v_mul_f32_e32 v1, 0x3fb8aa3b, v0
	v_fma_f32 v2, v0, s11, -v1
	v_rndne_f32_e32 v5, v1
	v_fmac_f32_e32 v2, 0x32a5705f, v0
	v_sub_f32_e32 v1, v1, v5
	v_add_f32_e32 v1, v1, v2
	v_exp_f32_e32 v1, v1
	v_cvt_i32_f32_e32 v2, v5
	s_cmp_gt_i32 s10, 0
	v_mul_lo_u32 v6, v13, s14
	s_cselect_b64 s[14:15], -1, 0
	s_and_b64 s[20:21], s[0:1], s[14:15]
	s_mov_b32 s14, 0xc2ce8ed0
	v_ldexp_f32 v1, v1, v2
	v_cmp_ngt_f32_e32 vcc, s14, v0
	s_mov_b32 s10, 0x42b17218
	v_cndmask_b32_e32 v1, 0, v1, vcc
	v_cmp_nlt_f32_e32 vcc, s10, v0
	v_ashrrev_i32_e32 v5, 31, v4
	s_load_dwordx4 s[4:7], s[4:5], 0x20
	v_cndmask_b32_e32 v12, v3, v1, vcc
	v_lshlrev_b64 v[0:1], 2, v[4:5]
	v_mov_b32_e32 v3, s13
	v_add_co_u32_e32 v2, vcc, s12, v0
	v_addc_co_u32_e64 v3, s[0:1], v3, v1, vcc
	s_sub_i32 s0, 0, s9
	v_ashrrev_i32_e32 v7, 31, v6
	v_mov_b32_e32 v0, s0
	s_and_b64 s[0:1], s[2:3], s[20:21]
	v_lshlrev_b64 v[8:9], 2, v[6:7]
	v_mul_lo_u32 v16, v13, s8
	global_store_dword v[2:3], v12, off
	v_cndmask_b32_e64 v3, 1, v0, s[0:1]
	s_waitcnt lgkmcnt(0)
	v_mov_b32_e32 v0, s5
	v_add_co_u32_e64 v6, s[0:1], s4, v8
	v_addc_co_u32_e64 v7, s[0:1], v0, v9, s[0:1]
	v_ashrrev_i32_e32 v17, 31, v16
	global_store_dword v[6:7], v3, off
	v_lshlrev_b64 v[6:7], 2, v[16:17]
	v_mov_b32_e32 v0, s7
	v_add_co_u32_e64 v16, s[0:1], s6, v6
	v_addc_co_u32_e64 v17, s[0:1], v0, v7, s[0:1]
	s_cmp_eq_u32 s8, 1
	global_store_dword v[16:17], v13, off
	s_cbranch_scc1 .LBB216_8
; %bb.6:
	v_sub_f32_e32 v0, 0xff800000, v14
	v_mul_f32_e32 v5, 0x3fb8aa3b, v0
	v_fma_f32 v13, v0, s11, -v5
	v_rndne_f32_e32 v14, v5
	v_fmac_f32_e32 v13, 0x32a5705f, v0
	v_sub_f32_e32 v5, v5, v14
	v_add_f32_e32 v5, v5, v13
	v_cvt_i32_f32_e32 v13, v14
	v_exp_f32_e32 v5, v5
	v_cmp_ngt_f32_e64 s[0:1], s14, v0
	s_add_i32 s19, s19, s18
	v_ldexp_f32 v5, v5, v13
	v_cndmask_b32_e64 v5, 0, v5, s[0:1]
	v_mov_b32_e32 v13, 0x7f800000
	v_cmp_nlt_f32_e64 s[0:1], s10, v0
	v_cndmask_b32_e64 v5, v13, v5, s[0:1]
	v_mov_b32_e32 v0, s7
	v_add_co_u32_e64 v6, s[0:1], s6, v6
	v_addc_co_u32_e64 v0, s[0:1], v7, v0, s[0:1]
	v_add_co_u32_e64 v6, s[0:1], 4, v6
	v_addc_co_u32_e64 v7, s[0:1], 0, v0, s[0:1]
	v_mov_b32_e32 v0, s5
	v_add_co_u32_e64 v8, s[0:1], s4, v8
	v_addc_co_u32_e64 v0, s[0:1], v9, v0, s[0:1]
	v_add_co_u32_e64 v8, s[0:1], 4, v8
	v_addc_co_u32_e64 v9, s[0:1], 0, v0, s[0:1]
	v_mov_b32_e32 v0, s13
	v_addc_co_u32_e32 v1, vcc, v1, v0, vcc
	v_add_co_u32_e32 v0, vcc, 4, v2
	v_addc_co_u32_e32 v1, vcc, 0, v1, vcc
	s_add_i32 s0, s8, -1
	v_add3_u32 v2, s19, v11, v10
.LBB216_7:                              ; =>This Inner Loop Header: Depth=1
	global_store_dword v[0:1], v5, off
	global_store_dword v[8:9], v3, off
	;; [unrolled: 1-line block ×3, first 2 shown]
	v_add_co_u32_e32 v6, vcc, 4, v6
	v_addc_co_u32_e32 v7, vcc, 0, v7, vcc
	v_add_co_u32_e32 v8, vcc, 4, v8
	v_addc_co_u32_e32 v9, vcc, 0, v9, vcc
	v_add_co_u32_e32 v0, vcc, 4, v0
	s_add_i32 s0, s0, -1
	v_add_f32_e32 v12, v12, v5
	v_addc_co_u32_e32 v1, vcc, 0, v1, vcc
	s_cmp_eq_u32 s0, 0
	v_add_u32_e32 v2, s18, v2
	s_cbranch_scc0 .LBB216_7
.LBB216_8:
	v_cmp_neq_f32_e32 vcc, 0, v12
	s_and_b64 exec, exec, vcc
	s_cbranch_execz .LBB216_19
; %bb.9:
	s_andn2_b64 vcc, exec, s[16:17]
	s_cbranch_vccnz .LBB216_19
; %bb.10:
	v_div_scale_f32 v0, s[0:1], v12, v12, 1.0
	v_rcp_f32_e32 v1, v0
	v_div_scale_f32 v2, vcc, 1.0, v12, 1.0
	s_cmp_gt_u32 s8, 3
	v_fma_f32 v3, -v0, v1, 1.0
	v_fmac_f32_e32 v1, v3, v1
	v_mul_f32_e32 v3, v2, v1
	v_fma_f32 v5, -v0, v3, v2
	v_fmac_f32_e32 v3, v5, v1
	v_fma_f32 v0, -v0, v3, v2
	v_div_fmas_f32 v0, v0, v1, v3
	v_div_fixup_f32 v0, v0, v12, 1.0
	v_ashrrev_i32_e32 v5, 31, v4
	s_cbranch_scc0 .LBB216_14
; %bb.11:
	v_lshlrev_b64 v[2:3], 2, v[4:5]
	v_mov_b32_e32 v6, s13
	v_add_co_u32_e32 v2, vcc, s12, v2
	v_addc_co_u32_e32 v3, vcc, v3, v6, vcc
	s_and_b32 s4, s8, 0x7ffffffc
	v_add_co_u32_e32 v2, vcc, 8, v2
	v_mov_b32_e32 v1, v0
	v_addc_co_u32_e32 v3, vcc, 0, v3, vcc
	s_mov_b32 s0, s4
.LBB216_12:                             ; =>This Inner Loop Header: Depth=1
	global_load_dwordx4 v[6:9], v[2:3], off offset:-8
	s_add_i32 s0, s0, -4
	s_cmp_lg_u32 s0, 0
	s_waitcnt vmcnt(0)
	v_pk_mul_f32 v[6:7], v[0:1], v[6:7]
	v_pk_mul_f32 v[8:9], v[0:1], v[8:9]
	global_store_dwordx4 v[2:3], v[6:9], off offset:-8
	v_add_co_u32_e32 v2, vcc, 16, v2
	v_addc_co_u32_e32 v3, vcc, 0, v3, vcc
	s_cbranch_scc1 .LBB216_12
; %bb.13:
	s_cmp_lg_u32 s4, s8
	s_cselect_b64 s[0:1], -1, 0
	s_branch .LBB216_16
.LBB216_14:
	s_mov_b64 s[0:1], 0
                                        ; implicit-def: $sgpr4
	s_cbranch_execz .LBB216_16
; %bb.15:
	s_mov_b64 s[0:1], -1
	s_mov_b32 s4, 0
.LBB216_16:
	s_andn2_b64 vcc, exec, s[0:1]
	s_cbranch_vccnz .LBB216_19
; %bb.17:
	v_add_co_u32_e32 v2, vcc, s4, v4
	v_addc_co_u32_e32 v3, vcc, 0, v5, vcc
	v_lshlrev_b64 v[2:3], 2, v[2:3]
	v_mov_b32_e32 v1, s13
	v_add_co_u32_e32 v2, vcc, s12, v2
	s_sub_i32 s0, s8, s4
	v_addc_co_u32_e32 v3, vcc, v1, v3, vcc
.LBB216_18:                             ; =>This Inner Loop Header: Depth=1
	global_load_dword v1, v[2:3], off
	s_add_i32 s0, s0, -1
	s_cmp_lg_u32 s0, 0
	s_waitcnt vmcnt(0)
	v_mul_f32_e32 v1, v0, v1
	global_store_dword v[2:3], v1, off
	v_add_co_u32_e32 v2, vcc, 4, v2
	v_addc_co_u32_e32 v3, vcc, 0, v3, vcc
	s_cbranch_scc1 .LBB216_18
.LBB216_19:
	s_endpgm
	.section	.rodata,"a",@progbits
	.p2align	6, 0x0
	.amdhsa_kernel _ZN4vllm3moe17topkGatingSoftmaxItLi1ELi1ELi8ELi2ELb1ELi8ELNS0_23SharedExpertScoringFuncE1EEEvPKT_PKbPfiPiS9_iiiiii
		.amdhsa_group_segment_fixed_size 0
		.amdhsa_private_segment_fixed_size 0
		.amdhsa_kernarg_size 72
		.amdhsa_user_sgpr_count 6
		.amdhsa_user_sgpr_private_segment_buffer 1
		.amdhsa_user_sgpr_dispatch_ptr 0
		.amdhsa_user_sgpr_queue_ptr 0
		.amdhsa_user_sgpr_kernarg_segment_ptr 1
		.amdhsa_user_sgpr_dispatch_id 0
		.amdhsa_user_sgpr_flat_scratch_init 0
		.amdhsa_user_sgpr_kernarg_preload_length 0
		.amdhsa_user_sgpr_kernarg_preload_offset 0
		.amdhsa_user_sgpr_private_segment_size 0
		.amdhsa_uses_dynamic_stack 0
		.amdhsa_system_sgpr_private_segment_wavefront_offset 0
		.amdhsa_system_sgpr_workgroup_id_x 1
		.amdhsa_system_sgpr_workgroup_id_y 0
		.amdhsa_system_sgpr_workgroup_id_z 0
		.amdhsa_system_sgpr_workgroup_info 0
		.amdhsa_system_vgpr_workitem_id 1
		.amdhsa_next_free_vgpr 28
		.amdhsa_next_free_sgpr 22
		.amdhsa_accum_offset 28
		.amdhsa_reserve_vcc 1
		.amdhsa_reserve_flat_scratch 0
		.amdhsa_float_round_mode_32 0
		.amdhsa_float_round_mode_16_64 0
		.amdhsa_float_denorm_mode_32 3
		.amdhsa_float_denorm_mode_16_64 3
		.amdhsa_dx10_clamp 1
		.amdhsa_ieee_mode 1
		.amdhsa_fp16_overflow 0
		.amdhsa_tg_split 0
		.amdhsa_exception_fp_ieee_invalid_op 0
		.amdhsa_exception_fp_denorm_src 0
		.amdhsa_exception_fp_ieee_div_zero 0
		.amdhsa_exception_fp_ieee_overflow 0
		.amdhsa_exception_fp_ieee_underflow 0
		.amdhsa_exception_fp_ieee_inexact 0
		.amdhsa_exception_int_div_zero 0
	.end_amdhsa_kernel
	.section	.text._ZN4vllm3moe17topkGatingSoftmaxItLi1ELi1ELi8ELi2ELb1ELi8ELNS0_23SharedExpertScoringFuncE1EEEvPKT_PKbPfiPiS9_iiiiii,"axG",@progbits,_ZN4vllm3moe17topkGatingSoftmaxItLi1ELi1ELi8ELi2ELb1ELi8ELNS0_23SharedExpertScoringFuncE1EEEvPKT_PKbPfiPiS9_iiiiii,comdat
.Lfunc_end216:
	.size	_ZN4vllm3moe17topkGatingSoftmaxItLi1ELi1ELi8ELi2ELb1ELi8ELNS0_23SharedExpertScoringFuncE1EEEvPKT_PKbPfiPiS9_iiiiii, .Lfunc_end216-_ZN4vllm3moe17topkGatingSoftmaxItLi1ELi1ELi8ELi2ELb1ELi8ELNS0_23SharedExpertScoringFuncE1EEEvPKT_PKbPfiPiS9_iiiiii
                                        ; -- End function
	.section	.AMDGPU.csdata,"",@progbits
; Kernel info:
; codeLenInByte = 2500
; NumSgprs: 26
; NumVgprs: 28
; NumAgprs: 0
; TotalNumVgprs: 28
; ScratchSize: 0
; MemoryBound: 0
; FloatMode: 240
; IeeeMode: 1
; LDSByteSize: 0 bytes/workgroup (compile time only)
; SGPRBlocks: 3
; VGPRBlocks: 3
; NumSGPRsForWavesPerEU: 26
; NumVGPRsForWavesPerEU: 28
; AccumOffset: 28
; Occupancy: 8
; WaveLimiterHint : 0
; COMPUTE_PGM_RSRC2:SCRATCH_EN: 0
; COMPUTE_PGM_RSRC2:USER_SGPR: 6
; COMPUTE_PGM_RSRC2:TRAP_HANDLER: 0
; COMPUTE_PGM_RSRC2:TGID_X_EN: 1
; COMPUTE_PGM_RSRC2:TGID_Y_EN: 0
; COMPUTE_PGM_RSRC2:TGID_Z_EN: 0
; COMPUTE_PGM_RSRC2:TIDIG_COMP_CNT: 1
; COMPUTE_PGM_RSRC3_GFX90A:ACCUM_OFFSET: 6
; COMPUTE_PGM_RSRC3_GFX90A:TG_SPLIT: 0
	.section	.text._ZN4vllm3moe17topkGatingSoftmaxItLi1ELi1ELi8ELi2ELb0ELi8ELNS0_23SharedExpertScoringFuncE1EEEvPKT_PKbPfiPiS9_iiiiii,"axG",@progbits,_ZN4vllm3moe17topkGatingSoftmaxItLi1ELi1ELi8ELi2ELb0ELi8ELNS0_23SharedExpertScoringFuncE1EEEvPKT_PKbPfiPiS9_iiiiii,comdat
	.protected	_ZN4vllm3moe17topkGatingSoftmaxItLi1ELi1ELi8ELi2ELb0ELi8ELNS0_23SharedExpertScoringFuncE1EEEvPKT_PKbPfiPiS9_iiiiii ; -- Begin function _ZN4vllm3moe17topkGatingSoftmaxItLi1ELi1ELi8ELi2ELb0ELi8ELNS0_23SharedExpertScoringFuncE1EEEvPKT_PKbPfiPiS9_iiiiii
	.globl	_ZN4vllm3moe17topkGatingSoftmaxItLi1ELi1ELi8ELi2ELb0ELi8ELNS0_23SharedExpertScoringFuncE1EEEvPKT_PKbPfiPiS9_iiiiii
	.p2align	8
	.type	_ZN4vllm3moe17topkGatingSoftmaxItLi1ELi1ELi8ELi2ELb0ELi8ELNS0_23SharedExpertScoringFuncE1EEEvPKT_PKbPfiPiS9_iiiiii,@function
_ZN4vllm3moe17topkGatingSoftmaxItLi1ELi1ELi8ELi2ELb0ELi8ELNS0_23SharedExpertScoringFuncE1EEEvPKT_PKbPfiPiS9_iiiiii: ; @_ZN4vllm3moe17topkGatingSoftmaxItLi1ELi1ELi8ELi2ELb0ELi8ELNS0_23SharedExpertScoringFuncE1EEEvPKT_PKbPfiPiS9_iiiiii
; %bb.0:
	s_load_dword s18, s[4:5], 0x18
	v_bfe_u32 v1, v0, 10, 10
	s_lshl_b32 s19, s6, 9
	v_lshlrev_b32_e32 v10, 6, v1
	v_and_b32_e32 v11, 0x3ff, v0
	v_add3_u32 v12, v10, v11, s19
	s_waitcnt lgkmcnt(0)
	v_cmp_gt_i32_e32 vcc, s18, v12
	s_and_saveexec_b64 s[0:1], vcc
	s_cbranch_execz .LBB217_20
; %bb.1:
	s_load_dwordx4 s[0:3], s[4:5], 0x0
	s_load_dwordx2 s[12:13], s[4:5], 0x10
	s_waitcnt lgkmcnt(0)
	s_cmp_eq_u64 s[2:3], 0
	s_cbranch_scc1 .LBB217_3
; %bb.2:
	v_ashrrev_i32_e32 v1, 31, v12
	v_mov_b32_e32 v2, s3
	v_add_co_u32_e32 v0, vcc, s2, v12
	v_addc_co_u32_e32 v1, vcc, v2, v1, vcc
	global_load_ubyte v0, v[0:1], off
	s_waitcnt vmcnt(0)
	v_and_b32_e32 v0, 1, v0
	v_cmp_eq_u32_e32 vcc, 1, v0
	s_xor_b64 s[2:3], vcc, -1
	s_orn2_b64 s[2:3], s[2:3], exec
	s_branch .LBB217_4
.LBB217_3:
	s_mov_b64 s[2:3], -1
.LBB217_4:
	s_load_dwordx2 s[14:15], s[4:5], 0x40
	s_load_dwordx4 s[8:11], s[4:5], 0x30
	v_mov_b32_e32 v2, s1
	s_mov_b32 s6, 0x42ce8ed0
	s_mov_b32 s7, 0xc2b17218
	s_waitcnt lgkmcnt(0)
	v_mul_lo_u32 v0, v12, s15
	v_ashrrev_i32_e32 v1, 31, v0
	v_lshlrev_b64 v[0:1], 1, v[0:1]
	v_add_co_u32_e32 v0, vcc, s0, v0
	v_addc_co_u32_e32 v1, vcc, v2, v1, vcc
	global_load_dword v15, v[0:1], off offset:14
	global_load_dwordx3 v[6:8], v[0:1], off
	global_load_ushort v9, v[0:1], off offset:12
	v_mul_lo_u32 v0, v12, s11
	v_add_u32_e32 v2, s8, v0
	v_ashrrev_i32_e32 v3, 31, v2
	v_lshlrev_b64 v[2:3], 2, v[2:3]
	v_mov_b32_e32 v1, s13
	v_add_co_u32_e32 v16, vcc, s12, v2
	v_addc_co_u32_e32 v17, vcc, v1, v3, vcc
	s_mov_b32 s15, 0xbfb8aa3b
	v_mov_b32_e32 v13, 0x7f800000
	s_cmp_gt_i32 s8, 0
	v_mov_b32_e32 v14, 0
	s_cselect_b64 s[16:17], -1, 0
	s_cmp_lt_i32 s8, 1
	s_waitcnt vmcnt(1)
	v_cvt_f32_u32_sdwa v1, v7 dst_sel:DWORD dst_unused:UNUSED_PAD src0_sel:WORD_0
	v_cvt_f32_u32_sdwa v2, v6 dst_sel:DWORD dst_unused:UNUSED_PAD src0_sel:WORD_1
	v_cvt_f32_u32_sdwa v4, v8 dst_sel:DWORD dst_unused:UNUSED_PAD src0_sel:WORD_0
	v_cvt_f32_u32_sdwa v7, v7 dst_sel:DWORD dst_unused:UNUSED_PAD src0_sel:WORD_1
	v_mul_f32_e32 v3, 0xbfb8aa3b, v1
	v_mul_f32_e32 v5, 0xbfb8aa3b, v2
	v_fma_f32 v20, v1, s15, -v3
	v_rndne_f32_e32 v21, v3
	v_mul_f32_e32 v18, 0xbfb8aa3b, v4
	v_fma_f32 v22, v2, s15, -v5
	v_rndne_f32_e32 v23, v5
	v_fmac_f32_e32 v20, 0xb2a5705f, v1
	v_sub_f32_e32 v3, v3, v21
	v_mul_f32_e32 v19, 0xbfb8aa3b, v7
	v_fma_f32 v24, v4, s15, -v18
	v_rndne_f32_e32 v25, v18
	v_fmac_f32_e32 v22, 0xb2a5705f, v2
	v_sub_f32_e32 v5, v5, v23
	v_add_f32_e32 v3, v3, v20
	v_fma_f32 v26, v7, s15, -v19
	v_rndne_f32_e32 v27, v19
	v_cvt_i32_f32_e32 v21, v21
	v_fmac_f32_e32 v24, 0xb2a5705f, v4
	v_sub_f32_e32 v18, v18, v25
	v_add_f32_e32 v5, v5, v22
	v_exp_f32_e32 v3, v3
	v_cvt_i32_f32_e32 v23, v23
	v_fmac_f32_e32 v26, 0xb2a5705f, v7
	v_sub_f32_e32 v19, v19, v27
	v_add_f32_e32 v18, v18, v24
	v_exp_f32_e32 v5, v5
	v_cvt_i32_f32_e32 v25, v25
	v_add_f32_e32 v19, v19, v26
	v_exp_f32_e32 v18, v18
	v_cvt_i32_f32_e32 v27, v27
	v_exp_f32_e32 v19, v19
	v_ldexp_f32 v3, v3, v21
	v_cmp_nlt_f32_e32 vcc, s6, v1
	v_ldexp_f32 v5, v5, v23
	v_cndmask_b32_e32 v3, 0, v3, vcc
	v_cmp_nlt_f32_e32 vcc, s6, v2
	v_ldexp_f32 v18, v18, v25
	v_cndmask_b32_e32 v5, 0, v5, vcc
	;; [unrolled: 3-line block ×3, first 2 shown]
	v_cmp_nlt_f32_e32 vcc, s6, v7
	v_cndmask_b32_e32 v19, 0, v19, vcc
	v_cmp_ngt_f32_e32 vcc, s7, v1
	v_cndmask_b32_e32 v3, v13, v3, vcc
	v_cmp_ngt_f32_e32 vcc, s7, v2
	v_cndmask_b32_e32 v2, v13, v5, vcc
	v_cmp_ngt_f32_e32 vcc, s7, v4
	v_cndmask_b32_e32 v5, v13, v18, vcc
	v_cmp_ngt_f32_e32 vcc, s7, v7
	v_pk_add_f32 v[2:3], v[2:3], 1.0 op_sel_hi:[1,0]
	v_cndmask_b32_e32 v4, v13, v19, vcc
	v_div_scale_f32 v1, s[0:1], v3, v3, 1.0
	v_pk_add_f32 v[4:5], v[4:5], 1.0 op_sel_hi:[1,0]
	v_div_scale_f32 v18, s[0:1], v2, v2, 1.0
	v_rcp_f32_e32 v20, v1
	v_div_scale_f32 v19, s[0:1], v5, v5, 1.0
	v_rcp_f32_e32 v21, v18
	v_rcp_f32_e32 v22, v19
	v_fma_f32 v24, -v1, v20, 1.0
	v_div_scale_f32 v7, vcc, 1.0, v3, 1.0
	v_fma_f32 v25, -v18, v21, 1.0
	v_fmac_f32_e32 v20, v24, v20
	v_div_scale_f32 v23, s[0:1], 1.0, v2, 1.0
	v_fma_f32 v26, -v19, v22, 1.0
	v_fmac_f32_e32 v21, v25, v21
	v_mul_f32_e32 v24, v7, v20
	v_fmac_f32_e32 v22, v26, v22
	v_mul_f32_e32 v25, v23, v21
	v_fma_f32 v26, -v1, v24, v7
	v_fma_f32 v27, -v18, v25, v23
	v_fmac_f32_e32 v24, v26, v20
	v_fmac_f32_e32 v25, v27, v21
	v_fma_f32 v1, -v1, v24, v7
	v_fma_f32 v7, -v18, v25, v23
	v_div_fmas_f32 v1, v1, v20, v24
	s_mov_b64 vcc, s[0:1]
	v_div_fixup_f32 v3, v1, v3, 1.0
	v_div_fmas_f32 v1, v7, v21, v25
	v_div_fixup_f32 v2, v1, v2, 1.0
	v_div_scale_f32 v1, vcc, 1.0, v5, 1.0
	v_mul_f32_e32 v7, v1, v22
	v_fma_f32 v18, -v19, v7, v1
	v_fmac_f32_e32 v7, v18, v22
	v_div_scale_f32 v18, s[0:1], v4, v4, 1.0
	v_fma_f32 v1, -v19, v7, v1
	v_rcp_f32_e32 v19, v18
	v_div_fmas_f32 v1, v1, v22, v7
	v_div_fixup_f32 v5, v1, v5, 1.0
	v_div_scale_f32 v7, vcc, 1.0, v4, 1.0
	v_fma_f32 v1, -v18, v19, 1.0
	v_fmac_f32_e32 v19, v1, v19
	s_waitcnt vmcnt(0)
	v_cvt_f32_u32_e32 v1, v9
	v_cvt_f32_u32_sdwa v8, v8 dst_sel:DWORD dst_unused:UNUSED_PAD src0_sel:WORD_1
	v_mul_f32_e32 v20, v7, v19
	v_fma_f32 v9, -v18, v20, v7
	v_mul_f32_e32 v21, 0xbfb8aa3b, v1
	v_fma_f32 v22, v1, s15, -v21
	v_rndne_f32_e32 v23, v21
	v_fmac_f32_e32 v22, 0xb2a5705f, v1
	v_sub_f32_e32 v21, v21, v23
	v_add_f32_e32 v21, v21, v22
	v_exp_f32_e32 v21, v21
	v_cvt_i32_f32_e32 v22, v23
	v_fmac_f32_e32 v20, v9, v19
	v_fma_f32 v7, -v18, v20, v7
	v_mul_f32_e32 v18, 0xbfb8aa3b, v8
	v_ldexp_f32 v9, v21, v22
	v_fma_f32 v21, v8, s15, -v18
	v_rndne_f32_e32 v22, v18
	v_fmac_f32_e32 v21, 0xb2a5705f, v8
	v_sub_f32_e32 v18, v18, v22
	v_add_f32_e32 v18, v18, v21
	v_exp_f32_e32 v18, v18
	v_cvt_i32_f32_e32 v21, v22
	v_cmp_nlt_f32_e64 s[0:1], s6, v1
	v_cndmask_b32_e64 v9, 0, v9, s[0:1]
	v_cmp_ngt_f32_e64 s[0:1], s7, v1
	v_cndmask_b32_e64 v9, v13, v9, s[0:1]
	v_ldexp_f32 v1, v18, v21
	v_cmp_nlt_f32_e64 s[0:1], s6, v8
	v_cndmask_b32_e64 v1, 0, v1, s[0:1]
	v_cmp_ngt_f32_e64 s[0:1], s7, v8
	v_cndmask_b32_e64 v8, v13, v1, s[0:1]
	v_pk_add_f32 v[8:9], v[8:9], 1.0 op_sel_hi:[1,0]
	v_div_scale_f32 v1, s[0:1], v9, v9, 1.0
	v_rcp_f32_e32 v18, v1
	v_div_fmas_f32 v7, v7, v19, v20
	v_div_fixup_f32 v4, v7, v4, 1.0
	global_store_dwordx4 v[16:17], v[2:5], off
	s_nop 0
	v_fma_f32 v2, -v1, v18, 1.0
	v_fmac_f32_e32 v18, v2, v18
	v_div_scale_f32 v2, vcc, 1.0, v9, 1.0
	v_mul_f32_e32 v3, v2, v18
	v_fma_f32 v4, -v1, v3, v2
	v_fmac_f32_e32 v3, v4, v18
	v_fma_f32 v1, -v1, v3, v2
	v_div_scale_f32 v2, s[0:1], v8, v8, 1.0
	v_rcp_f32_e32 v7, v2
	v_div_fmas_f32 v1, v1, v18, v3
	v_div_fixup_f32 v3, v1, v9, 1.0
	v_div_scale_f32 v4, vcc, 1.0, v8, 1.0
	v_fma_f32 v1, -v2, v7, 1.0
	v_fmac_f32_e32 v7, v1, v7
	v_cvt_f32_u32_sdwa v1, v15 dst_sel:DWORD dst_unused:UNUSED_PAD src0_sel:WORD_1
	v_cvt_f32_u32_sdwa v15, v15 dst_sel:DWORD dst_unused:UNUSED_PAD src0_sel:WORD_0
	v_mul_f32_e32 v9, v4, v7
	v_fma_f32 v5, -v2, v9, v4
	v_mul_f32_e32 v18, 0xbfb8aa3b, v1
	v_fma_f32 v19, v1, s15, -v18
	v_rndne_f32_e32 v20, v18
	v_fmac_f32_e32 v19, 0xb2a5705f, v1
	v_sub_f32_e32 v18, v18, v20
	v_add_f32_e32 v18, v18, v19
	v_exp_f32_e32 v18, v18
	v_cvt_i32_f32_e32 v19, v20
	v_fmac_f32_e32 v9, v5, v7
	v_mul_f32_e32 v5, 0xbfb8aa3b, v15
	v_fma_f32 v2, -v2, v9, v4
	v_ldexp_f32 v4, v18, v19
	v_fma_f32 v18, v15, s15, -v5
	v_rndne_f32_e32 v19, v5
	v_fmac_f32_e32 v18, 0xb2a5705f, v15
	v_sub_f32_e32 v5, v5, v19
	v_add_f32_e32 v5, v5, v18
	v_exp_f32_e32 v18, v5
	v_cvt_i32_f32_e32 v19, v19
	v_cmp_nlt_f32_e64 s[0:1], s6, v1
	v_cndmask_b32_e64 v4, 0, v4, s[0:1]
	v_cmp_ngt_f32_e64 s[0:1], s7, v1
	v_cndmask_b32_e64 v5, v13, v4, s[0:1]
	v_ldexp_f32 v1, v18, v19
	v_cmp_nlt_f32_e64 s[0:1], s6, v15
	v_cndmask_b32_e64 v1, 0, v1, s[0:1]
	v_cmp_ngt_f32_e64 s[0:1], s7, v15
	v_cndmask_b32_e64 v4, v13, v1, s[0:1]
	v_pk_add_f32 v[4:5], v[4:5], 1.0 op_sel_hi:[1,0]
	v_div_scale_f32 v1, s[0:1], v5, v5, 1.0
	v_rcp_f32_e32 v15, v1
	v_div_fmas_f32 v2, v2, v7, v9
	v_div_fixup_f32 v2, v2, v8, 1.0
	v_fma_f32 v7, -v1, v15, 1.0
	v_fmac_f32_e32 v15, v7, v15
	v_div_scale_f32 v7, vcc, 1.0, v5, 1.0
	v_mul_f32_e32 v8, v7, v15
	v_fma_f32 v9, -v1, v8, v7
	v_fmac_f32_e32 v8, v9, v15
	v_fma_f32 v1, -v1, v8, v7
	v_div_scale_f32 v7, s[0:1], v4, v4, 1.0
	v_rcp_f32_e32 v9, v7
	v_div_fmas_f32 v1, v1, v15, v8
	v_div_fixup_f32 v5, v1, v5, 1.0
	v_fma_f32 v1, -v7, v9, 1.0
	v_fmac_f32_e32 v9, v1, v9
	v_div_scale_f32 v1, vcc, 1.0, v4, 1.0
	v_mul_f32_e32 v8, v1, v9
	v_fma_f32 v15, -v7, v8, v1
	v_fmac_f32_e32 v8, v15, v9
	v_cvt_f32_u32_sdwa v15, v6 dst_sel:DWORD dst_unused:UNUSED_PAD src0_sel:WORD_0
	v_fma_f32 v1, -v7, v8, v1
	v_div_fmas_f32 v1, v1, v9, v8
	v_div_fixup_f32 v4, v1, v4, 1.0
	v_mov_b32_e32 v1, v15
	global_store_dwordx4 v[16:17], v[2:5], off offset:16
	s_cbranch_scc1 .LBB217_9
; %bb.5:
	v_sub_f32_e32 v1, v15, v15
	v_mul_f32_e32 v2, 0x3fb8aa3b, v1
	s_mov_b32 s11, 0x3fb8aa3b
	v_rndne_f32_e32 v3, v2
	v_sub_f32_e32 v4, v2, v3
	v_fma_f32 v2, v1, s11, -v2
	v_fmac_f32_e32 v2, 0x32a5705f, v1
	v_add_f32_e32 v2, v4, v2
	s_cmp_lt_i32 s9, 1
	v_exp_f32_e32 v2, v2
	v_cvt_i32_f32_e32 v3, v3
	s_cselect_b64 s[0:1], -1, 0
	s_cmp_gt_i32 s10, 0
	v_mul_lo_u32 v6, v12, s14
	s_cselect_b64 s[14:15], -1, 0
	s_and_b64 s[20:21], s[0:1], s[14:15]
	s_mov_b32 s14, 0xc2ce8ed0
	v_ldexp_f32 v2, v2, v3
	v_cmp_ngt_f32_e32 vcc, s14, v1
	s_mov_b32 s10, 0x42b17218
	v_cndmask_b32_e32 v2, 0, v2, vcc
	v_cmp_nlt_f32_e32 vcc, s10, v1
	v_ashrrev_i32_e32 v1, 31, v0
	s_load_dwordx4 s[4:7], s[4:5], 0x20
	v_cndmask_b32_e32 v14, v13, v2, vcc
	v_lshlrev_b64 v[2:3], 2, v[0:1]
	v_mov_b32_e32 v1, s13
	v_add_co_u32_e32 v4, vcc, s12, v2
	v_addc_co_u32_e64 v5, s[0:1], v1, v3, vcc
	s_sub_i32 s0, 0, s9
	v_ashrrev_i32_e32 v7, 31, v6
	v_mov_b32_e32 v1, s0
	s_and_b64 s[0:1], s[2:3], s[20:21]
	v_lshlrev_b64 v[8:9], 2, v[6:7]
	v_mul_lo_u32 v16, v12, s8
	v_cndmask_b32_e64 v1, 1, v1, s[0:1]
	s_waitcnt lgkmcnt(0)
	v_mov_b32_e32 v2, s5
	v_add_co_u32_e64 v6, s[0:1], s4, v8
	v_addc_co_u32_e64 v7, s[0:1], v2, v9, s[0:1]
	v_ashrrev_i32_e32 v17, 31, v16
	global_store_dword v[6:7], v1, off
	v_lshlrev_b64 v[6:7], 2, v[16:17]
	v_mov_b32_e32 v2, s7
	v_add_co_u32_e64 v16, s[0:1], s6, v6
	v_addc_co_u32_e64 v17, s[0:1], v2, v7, s[0:1]
	s_cmp_eq_u32 s8, 1
	global_store_dword v[4:5], v14, off
	global_store_dword v[16:17], v12, off
	s_cbranch_scc1 .LBB217_8
; %bb.6:
	v_sub_f32_e32 v2, 0xff800000, v15
	v_mul_f32_e32 v5, 0x3fb8aa3b, v2
	v_fma_f32 v12, v2, s11, -v5
	v_rndne_f32_e32 v16, v5
	v_fmac_f32_e32 v12, 0x32a5705f, v2
	v_sub_f32_e32 v5, v5, v16
	v_add_f32_e32 v5, v5, v12
	v_cvt_i32_f32_e32 v12, v16
	v_exp_f32_e32 v5, v5
	v_cmp_ngt_f32_e64 s[0:1], s14, v2
	s_add_i32 s19, s19, s18
	v_ldexp_f32 v5, v5, v12
	v_cndmask_b32_e64 v5, 0, v5, s[0:1]
	v_mov_b32_e32 v12, 0x7f800000
	v_cmp_nlt_f32_e64 s[0:1], s10, v2
	v_cndmask_b32_e64 v5, v12, v5, s[0:1]
	v_mov_b32_e32 v2, s7
	v_add_co_u32_e64 v6, s[0:1], s6, v6
	v_addc_co_u32_e64 v2, s[0:1], v7, v2, s[0:1]
	v_add_co_u32_e64 v6, s[0:1], 4, v6
	v_addc_co_u32_e64 v7, s[0:1], 0, v2, s[0:1]
	v_mov_b32_e32 v2, s5
	v_add_co_u32_e64 v8, s[0:1], s4, v8
	v_addc_co_u32_e64 v2, s[0:1], v9, v2, s[0:1]
	v_add_co_u32_e64 v8, s[0:1], 4, v8
	v_addc_co_u32_e64 v9, s[0:1], 0, v2, s[0:1]
	v_mov_b32_e32 v2, s13
	v_addc_co_u32_e32 v3, vcc, v3, v2, vcc
	v_add_co_u32_e32 v2, vcc, 4, v4
	v_addc_co_u32_e32 v3, vcc, 0, v3, vcc
	s_add_i32 s0, s8, -1
	v_add3_u32 v4, s19, v11, v10
.LBB217_7:                              ; =>This Inner Loop Header: Depth=1
	global_store_dword v[2:3], v5, off
	global_store_dword v[8:9], v1, off
	;; [unrolled: 1-line block ×3, first 2 shown]
	v_add_co_u32_e32 v6, vcc, 4, v6
	v_addc_co_u32_e32 v7, vcc, 0, v7, vcc
	v_add_co_u32_e32 v8, vcc, 4, v8
	v_addc_co_u32_e32 v9, vcc, 0, v9, vcc
	v_add_co_u32_e32 v2, vcc, 4, v2
	s_add_i32 s0, s0, -1
	v_add_f32_e32 v14, v14, v5
	v_addc_co_u32_e32 v3, vcc, 0, v3, vcc
	s_cmp_eq_u32 s0, 0
	v_add_u32_e32 v4, s18, v4
	s_cbranch_scc0 .LBB217_7
.LBB217_8:
	v_mov_b32_e32 v1, 0xff800000
.LBB217_9:
	v_sub_f32_e32 v1, v1, v15
	s_mov_b32 s0, 0x3fb8aa3b
	v_mul_f32_e32 v2, 0x3fb8aa3b, v1
	v_fma_f32 v3, v1, s0, -v2
	v_rndne_f32_e32 v4, v2
	v_fmac_f32_e32 v3, 0x32a5705f, v1
	v_sub_f32_e32 v2, v2, v4
	v_add_f32_e32 v2, v2, v3
	v_exp_f32_e32 v2, v2
	v_cvt_i32_f32_e32 v3, v4
	s_mov_b32 s0, 0xc2ce8ed0
	v_cmp_ngt_f32_e32 vcc, s0, v1
	s_mov_b32 s0, 0x42b17218
	v_ldexp_f32 v2, v2, v3
	v_cndmask_b32_e32 v2, 0, v2, vcc
	v_cmp_nlt_f32_e32 vcc, s0, v1
	v_cndmask_b32_e32 v1, v13, v2, vcc
	v_add_f32_e32 v1, v14, v1
	v_cmp_neq_f32_e32 vcc, 0, v1
	s_and_b64 exec, exec, vcc
	s_cbranch_execz .LBB217_20
; %bb.10:
	s_andn2_b64 vcc, exec, s[16:17]
	s_cbranch_vccnz .LBB217_20
; %bb.11:
	v_div_scale_f32 v2, s[0:1], v1, v1, 1.0
	v_rcp_f32_e32 v3, v2
	v_div_scale_f32 v4, vcc, 1.0, v1, 1.0
	s_cmp_gt_u32 s8, 3
	v_fma_f32 v5, -v2, v3, 1.0
	v_fmac_f32_e32 v3, v5, v3
	v_mul_f32_e32 v5, v4, v3
	v_fma_f32 v6, -v2, v5, v4
	v_fmac_f32_e32 v5, v6, v3
	v_fma_f32 v2, -v2, v5, v4
	v_div_fmas_f32 v2, v2, v3, v5
	v_div_fixup_f32 v2, v2, v1, 1.0
	v_ashrrev_i32_e32 v1, 31, v0
	s_cbranch_scc0 .LBB217_15
; %bb.12:
	v_lshlrev_b64 v[4:5], 2, v[0:1]
	v_mov_b32_e32 v6, s13
	v_add_co_u32_e32 v4, vcc, s12, v4
	v_addc_co_u32_e32 v5, vcc, v5, v6, vcc
	s_and_b32 s4, s8, 0x7ffffffc
	v_add_co_u32_e32 v4, vcc, 8, v4
	v_mov_b32_e32 v3, v2
	v_addc_co_u32_e32 v5, vcc, 0, v5, vcc
	s_mov_b32 s0, s4
.LBB217_13:                             ; =>This Inner Loop Header: Depth=1
	global_load_dwordx4 v[6:9], v[4:5], off offset:-8
	s_add_i32 s0, s0, -4
	s_cmp_lg_u32 s0, 0
	s_waitcnt vmcnt(0)
	v_pk_mul_f32 v[6:7], v[2:3], v[6:7]
	v_pk_mul_f32 v[8:9], v[2:3], v[8:9]
	global_store_dwordx4 v[4:5], v[6:9], off offset:-8
	v_add_co_u32_e32 v4, vcc, 16, v4
	v_addc_co_u32_e32 v5, vcc, 0, v5, vcc
	s_cbranch_scc1 .LBB217_13
; %bb.14:
	s_cmp_lg_u32 s4, s8
	s_cselect_b64 s[0:1], -1, 0
	s_branch .LBB217_17
.LBB217_15:
	s_mov_b64 s[0:1], 0
                                        ; implicit-def: $sgpr4
	s_cbranch_execz .LBB217_17
; %bb.16:
	s_mov_b64 s[0:1], -1
	s_mov_b32 s4, 0
.LBB217_17:
	s_andn2_b64 vcc, exec, s[0:1]
	s_cbranch_vccnz .LBB217_20
; %bb.18:
	v_add_co_u32_e32 v0, vcc, s4, v0
	v_addc_co_u32_e32 v1, vcc, 0, v1, vcc
	v_lshlrev_b64 v[0:1], 2, v[0:1]
	v_mov_b32_e32 v3, s13
	v_add_co_u32_e32 v0, vcc, s12, v0
	s_sub_i32 s0, s8, s4
	v_addc_co_u32_e32 v1, vcc, v3, v1, vcc
.LBB217_19:                             ; =>This Inner Loop Header: Depth=1
	global_load_dword v3, v[0:1], off
	s_add_i32 s0, s0, -1
	s_cmp_lg_u32 s0, 0
	s_waitcnt vmcnt(0)
	v_mul_f32_e32 v3, v2, v3
	global_store_dword v[0:1], v3, off
	v_add_co_u32_e32 v0, vcc, 4, v0
	v_addc_co_u32_e32 v1, vcc, 0, v1, vcc
	s_cbranch_scc1 .LBB217_19
.LBB217_20:
	s_endpgm
	.section	.rodata,"a",@progbits
	.p2align	6, 0x0
	.amdhsa_kernel _ZN4vllm3moe17topkGatingSoftmaxItLi1ELi1ELi8ELi2ELb0ELi8ELNS0_23SharedExpertScoringFuncE1EEEvPKT_PKbPfiPiS9_iiiiii
		.amdhsa_group_segment_fixed_size 0
		.amdhsa_private_segment_fixed_size 0
		.amdhsa_kernarg_size 72
		.amdhsa_user_sgpr_count 6
		.amdhsa_user_sgpr_private_segment_buffer 1
		.amdhsa_user_sgpr_dispatch_ptr 0
		.amdhsa_user_sgpr_queue_ptr 0
		.amdhsa_user_sgpr_kernarg_segment_ptr 1
		.amdhsa_user_sgpr_dispatch_id 0
		.amdhsa_user_sgpr_flat_scratch_init 0
		.amdhsa_user_sgpr_kernarg_preload_length 0
		.amdhsa_user_sgpr_kernarg_preload_offset 0
		.amdhsa_user_sgpr_private_segment_size 0
		.amdhsa_uses_dynamic_stack 0
		.amdhsa_system_sgpr_private_segment_wavefront_offset 0
		.amdhsa_system_sgpr_workgroup_id_x 1
		.amdhsa_system_sgpr_workgroup_id_y 0
		.amdhsa_system_sgpr_workgroup_id_z 0
		.amdhsa_system_sgpr_workgroup_info 0
		.amdhsa_system_vgpr_workitem_id 1
		.amdhsa_next_free_vgpr 28
		.amdhsa_next_free_sgpr 22
		.amdhsa_accum_offset 28
		.amdhsa_reserve_vcc 1
		.amdhsa_reserve_flat_scratch 0
		.amdhsa_float_round_mode_32 0
		.amdhsa_float_round_mode_16_64 0
		.amdhsa_float_denorm_mode_32 3
		.amdhsa_float_denorm_mode_16_64 3
		.amdhsa_dx10_clamp 1
		.amdhsa_ieee_mode 1
		.amdhsa_fp16_overflow 0
		.amdhsa_tg_split 0
		.amdhsa_exception_fp_ieee_invalid_op 0
		.amdhsa_exception_fp_denorm_src 0
		.amdhsa_exception_fp_ieee_div_zero 0
		.amdhsa_exception_fp_ieee_overflow 0
		.amdhsa_exception_fp_ieee_underflow 0
		.amdhsa_exception_fp_ieee_inexact 0
		.amdhsa_exception_int_div_zero 0
	.end_amdhsa_kernel
	.section	.text._ZN4vllm3moe17topkGatingSoftmaxItLi1ELi1ELi8ELi2ELb0ELi8ELNS0_23SharedExpertScoringFuncE1EEEvPKT_PKbPfiPiS9_iiiiii,"axG",@progbits,_ZN4vllm3moe17topkGatingSoftmaxItLi1ELi1ELi8ELi2ELb0ELi8ELNS0_23SharedExpertScoringFuncE1EEEvPKT_PKbPfiPiS9_iiiiii,comdat
.Lfunc_end217:
	.size	_ZN4vllm3moe17topkGatingSoftmaxItLi1ELi1ELi8ELi2ELb0ELi8ELNS0_23SharedExpertScoringFuncE1EEEvPKT_PKbPfiPiS9_iiiiii, .Lfunc_end217-_ZN4vllm3moe17topkGatingSoftmaxItLi1ELi1ELi8ELi2ELb0ELi8ELNS0_23SharedExpertScoringFuncE1EEEvPKT_PKbPfiPiS9_iiiiii
                                        ; -- End function
	.section	.AMDGPU.csdata,"",@progbits
; Kernel info:
; codeLenInByte = 2608
; NumSgprs: 26
; NumVgprs: 28
; NumAgprs: 0
; TotalNumVgprs: 28
; ScratchSize: 0
; MemoryBound: 0
; FloatMode: 240
; IeeeMode: 1
; LDSByteSize: 0 bytes/workgroup (compile time only)
; SGPRBlocks: 3
; VGPRBlocks: 3
; NumSGPRsForWavesPerEU: 26
; NumVGPRsForWavesPerEU: 28
; AccumOffset: 28
; Occupancy: 8
; WaveLimiterHint : 0
; COMPUTE_PGM_RSRC2:SCRATCH_EN: 0
; COMPUTE_PGM_RSRC2:USER_SGPR: 6
; COMPUTE_PGM_RSRC2:TRAP_HANDLER: 0
; COMPUTE_PGM_RSRC2:TGID_X_EN: 1
; COMPUTE_PGM_RSRC2:TGID_Y_EN: 0
; COMPUTE_PGM_RSRC2:TGID_Z_EN: 0
; COMPUTE_PGM_RSRC2:TIDIG_COMP_CNT: 1
; COMPUTE_PGM_RSRC3_GFX90A:ACCUM_OFFSET: 6
; COMPUTE_PGM_RSRC3_GFX90A:TG_SPLIT: 0
	.section	.text._ZN4vllm3moe17topkGatingSoftmaxItLi2ELi2ELi8ELi4ELb1ELi0ELNS0_23SharedExpertScoringFuncE0EEEvPKT_PKbPfiPiS9_iiiiii,"axG",@progbits,_ZN4vllm3moe17topkGatingSoftmaxItLi2ELi2ELi8ELi4ELb1ELi0ELNS0_23SharedExpertScoringFuncE0EEEvPKT_PKbPfiPiS9_iiiiii,comdat
	.protected	_ZN4vllm3moe17topkGatingSoftmaxItLi2ELi2ELi8ELi4ELb1ELi0ELNS0_23SharedExpertScoringFuncE0EEEvPKT_PKbPfiPiS9_iiiiii ; -- Begin function _ZN4vllm3moe17topkGatingSoftmaxItLi2ELi2ELi8ELi4ELb1ELi0ELNS0_23SharedExpertScoringFuncE0EEEvPKT_PKbPfiPiS9_iiiiii
	.globl	_ZN4vllm3moe17topkGatingSoftmaxItLi2ELi2ELi8ELi4ELb1ELi0ELNS0_23SharedExpertScoringFuncE0EEEvPKT_PKbPfiPiS9_iiiiii
	.p2align	8
	.type	_ZN4vllm3moe17topkGatingSoftmaxItLi2ELi2ELi8ELi4ELb1ELi0ELNS0_23SharedExpertScoringFuncE0EEEvPKT_PKbPfiPiS9_iiiiii,@function
_ZN4vllm3moe17topkGatingSoftmaxItLi2ELi2ELi8ELi4ELb1ELi0ELNS0_23SharedExpertScoringFuncE0EEEvPKT_PKbPfiPiS9_iiiiii: ; @_ZN4vllm3moe17topkGatingSoftmaxItLi2ELi2ELi8ELi4ELb1ELi0ELNS0_23SharedExpertScoringFuncE0EEEvPKT_PKbPfiPiS9_iiiiii
; %bb.0:
	s_load_dword s20, s[4:5], 0x18
	v_bfe_u32 v1, v0, 10, 10
	s_lshl_b32 s24, s6, 9
	v_lshlrev_b32_e32 v12, 6, v1
	v_and_b32_e32 v13, 0x3ff, v0
	v_add3_u32 v10, v12, v13, s24
	s_waitcnt lgkmcnt(0)
	v_cmp_gt_i32_e32 vcc, s20, v10
	s_and_saveexec_b64 s[0:1], vcc
	s_cbranch_execz .LBB218_20
; %bb.1:
	s_load_dwordx4 s[0:3], s[4:5], 0x0
	s_load_dwordx2 s[6:7], s[4:5], 0x10
	s_waitcnt lgkmcnt(0)
	s_cmp_eq_u64 s[2:3], 0
	s_cbranch_scc1 .LBB218_3
; %bb.2:
	v_ashrrev_i32_e32 v1, 31, v10
	v_mov_b32_e32 v2, s3
	v_add_co_u32_e32 v0, vcc, s2, v10
	v_addc_co_u32_e32 v1, vcc, v2, v1, vcc
	global_load_ubyte v0, v[0:1], off
	s_waitcnt vmcnt(0)
	v_and_b32_e32 v0, 1, v0
	v_cmp_eq_u32_e32 vcc, 1, v0
	s_xor_b64 s[2:3], vcc, -1
	s_orn2_b64 s[18:19], s[2:3], exec
	s_branch .LBB218_4
.LBB218_3:
	s_mov_b64 s[18:19], -1
.LBB218_4:
	s_load_dwordx4 s[8:11], s[4:5], 0x30
	s_waitcnt lgkmcnt(0)
	s_cmp_gt_i32 s8, 0
	s_cselect_b64 s[16:17], -1, 0
	s_cmp_lt_i32 s8, 1
	s_cbranch_scc1 .LBB218_9
; %bb.5:
	s_load_dwordx2 s[2:3], s[4:5], 0x40
	s_load_dwordx4 s[12:15], s[4:5], 0x20
	v_mov_b32_e32 v2, s1
	v_mov_b32_e32 v4, s7
	s_mov_b32 s21, 0x3fb8aa3b
	s_waitcnt lgkmcnt(0)
	v_mul_lo_u32 v0, v10, s3
	v_ashrrev_i32_e32 v1, 31, v0
	v_lshlrev_b64 v[0:1], 1, v[0:1]
	v_add_co_u32_e32 v0, vcc, s0, v0
	v_addc_co_u32_e32 v1, vcc, v2, v1, vcc
	global_load_dword v14, v[0:1], off
	v_mul_lo_u32 v0, v10, s11
	v_ashrrev_i32_e32 v1, 31, v0
	v_mul_lo_u32 v2, v10, s8
	v_lshlrev_b64 v[6:7], 2, v[0:1]
	v_ashrrev_i32_e32 v3, 31, v2
	v_add_co_u32_e32 v8, vcc, s6, v6
	v_lshlrev_b64 v[2:3], 2, v[2:3]
	v_addc_co_u32_e64 v9, s[0:1], v4, v7, vcc
	v_mul_lo_u32 v0, v10, s2
	v_mov_b32_e32 v4, s15
	v_ashrrev_i32_e32 v1, 31, v0
	v_add_co_u32_e64 v16, s[0:1], s14, v2
	v_addc_co_u32_e64 v17, s[0:1], v4, v3, s[0:1]
	v_lshlrev_b64 v[4:5], 2, v[0:1]
	v_mov_b32_e32 v6, s13
	v_add_co_u32_e64 v18, s[0:1], s12, v4
	v_addc_co_u32_e64 v19, s[0:1], v6, v5, s[0:1]
	s_mov_b32 s22, 0xc2ce8ed0
	s_mov_b32 s23, 0x42b17218
	v_mov_b32_e32 v11, 0x7f800000
	s_waitcnt vmcnt(0)
	v_cvt_f32_u32_sdwa v1, v14 dst_sel:DWORD dst_unused:UNUSED_PAD src0_sel:WORD_1
	v_cvt_f32_u32_sdwa v0, v14 dst_sel:DWORD dst_unused:UNUSED_PAD src0_sel:WORD_0
	v_cmp_lt_f32_e64 s[0:1], v0, v1
	v_cndmask_b32_e64 v15, v0, v1, s[0:1]
	v_sub_f32_e32 v14, v15, v15
	v_mul_f32_e32 v20, 0x3fb8aa3b, v14
	v_fma_f32 v22, v14, s21, -v20
	v_rndne_f32_e32 v23, v20
	v_fmac_f32_e32 v22, 0x32a5705f, v14
	v_sub_f32_e32 v20, v20, v23
	v_cndmask_b32_e64 v6, 0, 1, s[0:1]
	v_add_f32_e32 v20, v20, v22
	v_cmp_le_i32_e64 s[2:3], s9, v6
	v_cmp_gt_i32_e64 s[4:5], s10, v6
	v_cvt_i32_f32_e32 v23, v23
	v_exp_f32_e32 v20, v20
	s_and_b64 s[2:3], s[2:3], s[4:5]
	v_subrev_u32_e32 v21, s9, v6
	s_and_b64 s[2:3], s[18:19], s[2:3]
	v_cndmask_b32_e64 v21, 2, v21, s[2:3]
	global_store_dword v[18:19], v21, off
	v_ldexp_f32 v18, v20, v23
	v_cmp_ngt_f32_e64 s[2:3], s22, v14
	v_cndmask_b32_e64 v18, 0, v18, s[2:3]
	v_cmp_nlt_f32_e64 s[2:3], s23, v14
	s_cmp_eq_u32 s8, 1
	v_cndmask_b32_e64 v14, v11, v18, s[2:3]
	global_store_dword v[8:9], v14, off
	global_store_dword v[16:17], v10, off
	s_cbranch_scc1 .LBB218_8
; %bb.6:
	v_mov_b32_e32 v9, 0xff800000
	v_cndmask_b32_e64 v0, v9, v0, s[0:1]
	v_cmp_ne_u32_e64 s[0:1], 1, v6
	v_cndmask_b32_e64 v1, v9, v1, s[0:1]
	v_mov_b32_e32 v6, s15
	v_add_co_u32_e64 v2, s[0:1], s14, v2
	v_addc_co_u32_e64 v3, s[0:1], v3, v6, s[0:1]
	v_add_co_u32_e64 v2, s[0:1], 4, v2
	v_addc_co_u32_e64 v3, s[0:1], 0, v3, s[0:1]
	v_mov_b32_e32 v6, s13
	v_add_co_u32_e64 v4, s[0:1], s12, v4
	v_addc_co_u32_e64 v5, s[0:1], v5, v6, s[0:1]
	v_mov_b32_e32 v6, s7
	v_addc_co_u32_e32 v7, vcc, v7, v6, vcc
	v_add_co_u32_e64 v4, s[0:1], 4, v4
	v_add_co_u32_e32 v6, vcc, 4, v8
	s_add_i32 s24, s24, s20
	v_addc_co_u32_e64 v5, s[0:1], 0, v5, s[0:1]
	v_addc_co_u32_e32 v7, vcc, 0, v7, vcc
	s_add_i32 s2, s8, -1
	v_add3_u32 v8, s24, v13, v12
.LBB218_7:                              ; =>This Inner Loop Header: Depth=1
	v_cmp_gt_f32_e32 vcc, v1, v0
	v_cndmask_b32_e32 v12, v0, v1, vcc
	v_cndmask_b32_e64 v13, 0, 1, vcc
	v_sub_f32_e32 v12, v12, v15
	v_cndmask_b32_e32 v1, v1, v9, vcc
	v_cndmask_b32_e32 v0, v9, v0, vcc
	v_cmp_le_i32_e32 vcc, s9, v13
	v_cmp_gt_i32_e64 s[0:1], s10, v13
	v_mul_f32_e32 v16, 0x3fb8aa3b, v12
	s_and_b64 s[0:1], vcc, s[0:1]
	v_fma_f32 v17, v12, s21, -v16
	v_rndne_f32_e32 v18, v16
	v_subrev_u32_e32 v13, s9, v13
	v_fmac_f32_e32 v17, 0x32a5705f, v12
	v_sub_f32_e32 v16, v16, v18
	s_and_b64 vcc, s[18:19], s[0:1]
	v_cndmask_b32_e32 v13, 2, v13, vcc
	v_add_f32_e32 v16, v16, v17
	v_cvt_i32_f32_e32 v18, v18
	global_store_dword v[4:5], v13, off
	global_store_dword v[2:3], v8, off
	v_add_co_u32_e32 v2, vcc, 4, v2
	v_exp_f32_e32 v13, v16
	v_addc_co_u32_e32 v3, vcc, 0, v3, vcc
	v_add_co_u32_e32 v4, vcc, 4, v4
	v_addc_co_u32_e32 v5, vcc, 0, v5, vcc
	v_ldexp_f32 v13, v13, v18
	v_cmp_ngt_f32_e32 vcc, s22, v12
	v_cndmask_b32_e32 v13, 0, v13, vcc
	v_cmp_nlt_f32_e32 vcc, s23, v12
	v_cndmask_b32_e32 v12, v11, v13, vcc
	s_add_i32 s2, s2, -1
	global_store_dword v[6:7], v12, off
	v_add_co_u32_e32 v6, vcc, 4, v6
	v_add_u32_e32 v8, s20, v8
	s_cmp_eq_u32 s2, 0
	v_add_f32_e32 v14, v14, v12
	v_addc_co_u32_e32 v7, vcc, 0, v7, vcc
	s_cbranch_scc0 .LBB218_7
.LBB218_8:
	v_cmp_neq_f32_e32 vcc, 0, v14
	s_and_b64 exec, exec, vcc
	s_cbranch_execnz .LBB218_10
	s_branch .LBB218_20
.LBB218_9:
	v_mov_b32_e32 v14, 0
	v_cmp_neq_f32_e32 vcc, 0, v14
	s_and_b64 exec, exec, vcc
	s_cbranch_execz .LBB218_20
.LBB218_10:
	s_andn2_b64 vcc, exec, s[16:17]
	s_cbranch_vccnz .LBB218_20
; %bb.11:
	v_div_scale_f32 v0, s[0:1], v14, v14, 1.0
	v_rcp_f32_e32 v1, v0
	v_div_scale_f32 v2, vcc, 1.0, v14, 1.0
	s_cmp_gt_u32 s8, 3
	v_fma_f32 v3, -v0, v1, 1.0
	v_fmac_f32_e32 v1, v3, v1
	v_mul_f32_e32 v3, v2, v1
	v_fma_f32 v4, -v0, v3, v2
	v_fmac_f32_e32 v3, v4, v1
	v_fma_f32 v0, -v0, v3, v2
	v_div_fmas_f32 v0, v0, v1, v3
	v_mul_lo_u32 v2, v10, s11
	v_div_fixup_f32 v0, v0, v14, 1.0
	v_ashrrev_i32_e32 v3, 31, v2
	s_cbranch_scc0 .LBB218_15
; %bb.12:
	v_lshlrev_b64 v[4:5], 2, v[2:3]
	v_mov_b32_e32 v6, s7
	v_add_co_u32_e32 v4, vcc, s6, v4
	v_addc_co_u32_e32 v5, vcc, v5, v6, vcc
	s_and_b32 s4, s8, 0x7ffffffc
	v_add_co_u32_e32 v4, vcc, 8, v4
	v_mov_b32_e32 v1, v0
	v_addc_co_u32_e32 v5, vcc, 0, v5, vcc
	s_mov_b32 s0, s4
.LBB218_13:                             ; =>This Inner Loop Header: Depth=1
	global_load_dwordx4 v[6:9], v[4:5], off offset:-8
	s_add_i32 s0, s0, -4
	s_cmp_lg_u32 s0, 0
	s_waitcnt vmcnt(0)
	v_pk_mul_f32 v[6:7], v[0:1], v[6:7]
	v_pk_mul_f32 v[8:9], v[0:1], v[8:9]
	global_store_dwordx4 v[4:5], v[6:9], off offset:-8
	v_add_co_u32_e32 v4, vcc, 16, v4
	v_addc_co_u32_e32 v5, vcc, 0, v5, vcc
	s_cbranch_scc1 .LBB218_13
; %bb.14:
	s_cmp_lg_u32 s4, s8
	s_cselect_b64 s[0:1], -1, 0
	s_branch .LBB218_17
.LBB218_15:
	s_mov_b64 s[0:1], 0
                                        ; implicit-def: $sgpr4
	s_cbranch_execz .LBB218_17
; %bb.16:
	s_mov_b64 s[0:1], -1
	s_mov_b32 s4, 0
.LBB218_17:
	s_andn2_b64 vcc, exec, s[0:1]
	s_cbranch_vccnz .LBB218_20
; %bb.18:
	v_add_co_u32_e32 v2, vcc, s4, v2
	v_addc_co_u32_e32 v3, vcc, 0, v3, vcc
	v_lshlrev_b64 v[2:3], 2, v[2:3]
	v_mov_b32_e32 v1, s7
	v_add_co_u32_e32 v2, vcc, s6, v2
	s_sub_i32 s0, s8, s4
	v_addc_co_u32_e32 v3, vcc, v1, v3, vcc
.LBB218_19:                             ; =>This Inner Loop Header: Depth=1
	global_load_dword v1, v[2:3], off
	s_add_i32 s0, s0, -1
	s_cmp_lg_u32 s0, 0
	s_waitcnt vmcnt(0)
	v_mul_f32_e32 v1, v0, v1
	global_store_dword v[2:3], v1, off
	v_add_co_u32_e32 v2, vcc, 4, v2
	v_addc_co_u32_e32 v3, vcc, 0, v3, vcc
	s_cbranch_scc1 .LBB218_19
.LBB218_20:
	s_endpgm
	.section	.rodata,"a",@progbits
	.p2align	6, 0x0
	.amdhsa_kernel _ZN4vllm3moe17topkGatingSoftmaxItLi2ELi2ELi8ELi4ELb1ELi0ELNS0_23SharedExpertScoringFuncE0EEEvPKT_PKbPfiPiS9_iiiiii
		.amdhsa_group_segment_fixed_size 0
		.amdhsa_private_segment_fixed_size 0
		.amdhsa_kernarg_size 72
		.amdhsa_user_sgpr_count 6
		.amdhsa_user_sgpr_private_segment_buffer 1
		.amdhsa_user_sgpr_dispatch_ptr 0
		.amdhsa_user_sgpr_queue_ptr 0
		.amdhsa_user_sgpr_kernarg_segment_ptr 1
		.amdhsa_user_sgpr_dispatch_id 0
		.amdhsa_user_sgpr_flat_scratch_init 0
		.amdhsa_user_sgpr_kernarg_preload_length 0
		.amdhsa_user_sgpr_kernarg_preload_offset 0
		.amdhsa_user_sgpr_private_segment_size 0
		.amdhsa_uses_dynamic_stack 0
		.amdhsa_system_sgpr_private_segment_wavefront_offset 0
		.amdhsa_system_sgpr_workgroup_id_x 1
		.amdhsa_system_sgpr_workgroup_id_y 0
		.amdhsa_system_sgpr_workgroup_id_z 0
		.amdhsa_system_sgpr_workgroup_info 0
		.amdhsa_system_vgpr_workitem_id 1
		.amdhsa_next_free_vgpr 24
		.amdhsa_next_free_sgpr 25
		.amdhsa_accum_offset 24
		.amdhsa_reserve_vcc 1
		.amdhsa_reserve_flat_scratch 0
		.amdhsa_float_round_mode_32 0
		.amdhsa_float_round_mode_16_64 0
		.amdhsa_float_denorm_mode_32 3
		.amdhsa_float_denorm_mode_16_64 3
		.amdhsa_dx10_clamp 1
		.amdhsa_ieee_mode 1
		.amdhsa_fp16_overflow 0
		.amdhsa_tg_split 0
		.amdhsa_exception_fp_ieee_invalid_op 0
		.amdhsa_exception_fp_denorm_src 0
		.amdhsa_exception_fp_ieee_div_zero 0
		.amdhsa_exception_fp_ieee_overflow 0
		.amdhsa_exception_fp_ieee_underflow 0
		.amdhsa_exception_fp_ieee_inexact 0
		.amdhsa_exception_int_div_zero 0
	.end_amdhsa_kernel
	.section	.text._ZN4vllm3moe17topkGatingSoftmaxItLi2ELi2ELi8ELi4ELb1ELi0ELNS0_23SharedExpertScoringFuncE0EEEvPKT_PKbPfiPiS9_iiiiii,"axG",@progbits,_ZN4vllm3moe17topkGatingSoftmaxItLi2ELi2ELi8ELi4ELb1ELi0ELNS0_23SharedExpertScoringFuncE0EEEvPKT_PKbPfiPiS9_iiiiii,comdat
.Lfunc_end218:
	.size	_ZN4vllm3moe17topkGatingSoftmaxItLi2ELi2ELi8ELi4ELb1ELi0ELNS0_23SharedExpertScoringFuncE0EEEvPKT_PKbPfiPiS9_iiiiii, .Lfunc_end218-_ZN4vllm3moe17topkGatingSoftmaxItLi2ELi2ELi8ELi4ELb1ELi0ELNS0_23SharedExpertScoringFuncE0EEEvPKT_PKbPfiPiS9_iiiiii
                                        ; -- End function
	.section	.AMDGPU.csdata,"",@progbits
; Kernel info:
; codeLenInByte = 1248
; NumSgprs: 29
; NumVgprs: 24
; NumAgprs: 0
; TotalNumVgprs: 24
; ScratchSize: 0
; MemoryBound: 0
; FloatMode: 240
; IeeeMode: 1
; LDSByteSize: 0 bytes/workgroup (compile time only)
; SGPRBlocks: 3
; VGPRBlocks: 2
; NumSGPRsForWavesPerEU: 29
; NumVGPRsForWavesPerEU: 24
; AccumOffset: 24
; Occupancy: 8
; WaveLimiterHint : 0
; COMPUTE_PGM_RSRC2:SCRATCH_EN: 0
; COMPUTE_PGM_RSRC2:USER_SGPR: 6
; COMPUTE_PGM_RSRC2:TRAP_HANDLER: 0
; COMPUTE_PGM_RSRC2:TGID_X_EN: 1
; COMPUTE_PGM_RSRC2:TGID_Y_EN: 0
; COMPUTE_PGM_RSRC2:TGID_Z_EN: 0
; COMPUTE_PGM_RSRC2:TIDIG_COMP_CNT: 1
; COMPUTE_PGM_RSRC3_GFX90A:ACCUM_OFFSET: 5
; COMPUTE_PGM_RSRC3_GFX90A:TG_SPLIT: 0
	.section	.text._ZN4vllm3moe17topkGatingSoftmaxItLi2ELi2ELi8ELi4ELb0ELi0ELNS0_23SharedExpertScoringFuncE0EEEvPKT_PKbPfiPiS9_iiiiii,"axG",@progbits,_ZN4vllm3moe17topkGatingSoftmaxItLi2ELi2ELi8ELi4ELb0ELi0ELNS0_23SharedExpertScoringFuncE0EEEvPKT_PKbPfiPiS9_iiiiii,comdat
	.protected	_ZN4vllm3moe17topkGatingSoftmaxItLi2ELi2ELi8ELi4ELb0ELi0ELNS0_23SharedExpertScoringFuncE0EEEvPKT_PKbPfiPiS9_iiiiii ; -- Begin function _ZN4vllm3moe17topkGatingSoftmaxItLi2ELi2ELi8ELi4ELb0ELi0ELNS0_23SharedExpertScoringFuncE0EEEvPKT_PKbPfiPiS9_iiiiii
	.globl	_ZN4vllm3moe17topkGatingSoftmaxItLi2ELi2ELi8ELi4ELb0ELi0ELNS0_23SharedExpertScoringFuncE0EEEvPKT_PKbPfiPiS9_iiiiii
	.p2align	8
	.type	_ZN4vllm3moe17topkGatingSoftmaxItLi2ELi2ELi8ELi4ELb0ELi0ELNS0_23SharedExpertScoringFuncE0EEEvPKT_PKbPfiPiS9_iiiiii,@function
_ZN4vllm3moe17topkGatingSoftmaxItLi2ELi2ELi8ELi4ELb0ELi0ELNS0_23SharedExpertScoringFuncE0EEEvPKT_PKbPfiPiS9_iiiiii: ; @_ZN4vllm3moe17topkGatingSoftmaxItLi2ELi2ELi8ELi4ELb0ELi0ELNS0_23SharedExpertScoringFuncE0EEEvPKT_PKbPfiPiS9_iiiiii
; %bb.0:
	s_load_dword s18, s[4:5], 0x18
	v_bfe_u32 v1, v0, 10, 10
	s_lshl_b32 s21, s6, 9
	v_lshlrev_b32_e32 v13, 6, v1
	v_and_b32_e32 v14, 0x3ff, v0
	v_add3_u32 v3, v13, v14, s21
	s_waitcnt lgkmcnt(0)
	v_cmp_gt_i32_e32 vcc, s18, v3
	s_and_saveexec_b64 s[0:1], vcc
	s_cbranch_execz .LBB219_20
; %bb.1:
	s_load_dwordx4 s[0:3], s[4:5], 0x0
	s_load_dwordx2 s[12:13], s[4:5], 0x10
	s_waitcnt lgkmcnt(0)
	s_cmp_eq_u64 s[2:3], 0
	s_cbranch_scc1 .LBB219_3
; %bb.2:
	v_ashrrev_i32_e32 v1, 31, v3
	v_mov_b32_e32 v2, s3
	v_add_co_u32_e32 v0, vcc, s2, v3
	v_addc_co_u32_e32 v1, vcc, v2, v1, vcc
	global_load_ubyte v0, v[0:1], off
	s_waitcnt vmcnt(0)
	v_and_b32_e32 v0, 1, v0
	v_cmp_eq_u32_e32 vcc, 1, v0
	s_xor_b64 s[2:3], vcc, -1
	s_orn2_b64 s[16:17], s[2:3], exec
	s_branch .LBB219_4
.LBB219_3:
	s_mov_b64 s[16:17], -1
.LBB219_4:
	s_load_dwordx2 s[2:3], s[4:5], 0x40
	s_load_dwordx4 s[8:11], s[4:5], 0x30
	v_mov_b32_e32 v2, s1
	s_waitcnt lgkmcnt(0)
	v_mul_lo_u32 v0, v3, s3
	v_ashrrev_i32_e32 v1, 31, v0
	v_lshlrev_b64 v[0:1], 1, v[0:1]
	v_add_co_u32_e32 v0, vcc, s0, v0
	v_addc_co_u32_e32 v1, vcc, v2, v1, vcc
	global_load_dword v0, v[0:1], off
	s_cmp_gt_i32 s8, 0
	s_cselect_b64 s[14:15], -1, 0
	s_cmp_lt_i32 s8, 1
	s_waitcnt vmcnt(0)
	v_cvt_f32_u32_sdwa v1, v0 dst_sel:DWORD dst_unused:UNUSED_PAD src0_sel:WORD_1
	v_cvt_f32_u32_sdwa v0, v0 dst_sel:DWORD dst_unused:UNUSED_PAD src0_sel:WORD_0
	v_cmp_lt_f32_e32 vcc, v0, v1
	v_cndmask_b32_e32 v2, v0, v1, vcc
	s_cbranch_scc1 .LBB219_8
; %bb.5:
	v_sub_f32_e32 v5, v2, v2
	v_mul_f32_e32 v7, 0x3fb8aa3b, v5
	s_mov_b32 s19, 0x3fb8aa3b
	v_rndne_f32_e32 v8, v7
	v_sub_f32_e32 v9, v7, v8
	v_fma_f32 v7, v5, s19, -v7
	v_fmac_f32_e32 v7, 0x32a5705f, v5
	v_add_f32_e32 v7, v9, v7
	v_exp_f32_e32 v7, v7
	v_cvt_i32_f32_e32 v8, v8
	v_cndmask_b32_e64 v18, 0, 1, vcc
	v_mul_lo_u32 v6, v3, s2
	v_cmp_le_i32_e64 s[0:1], s9, v18
	v_cmp_gt_i32_e64 s[2:3], s10, v18
	s_mov_b32 s20, 0xc2ce8ed0
	v_mul_lo_u32 v4, v3, s11
	s_and_b64 s[24:25], s[0:1], s[2:3]
	v_ldexp_f32 v7, v7, v8
	v_cmp_ngt_f32_e64 s[0:1], s20, v5
	s_mov_b32 s22, 0x42b17218
	s_load_dwordx4 s[4:7], s[4:5], 0x20
	v_cndmask_b32_e64 v7, 0, v7, s[0:1]
	v_cmp_nlt_f32_e64 s[0:1], s22, v5
	v_ashrrev_i32_e32 v5, 31, v4
	v_mov_b32_e32 v15, 0x7f800000
	v_lshlrev_b64 v[8:9], 2, v[4:5]
	v_cndmask_b32_e64 v12, v15, v7, s[0:1]
	v_mov_b32_e32 v4, s13
	v_add_co_u32_e64 v10, s[0:1], s12, v8
	v_addc_co_u32_e64 v11, s[2:3], v4, v9, s[0:1]
	v_ashrrev_i32_e32 v7, 31, v6
	v_subrev_u32_e32 v4, s9, v18
	s_and_b64 s[2:3], s[16:17], s[24:25]
	v_lshlrev_b64 v[6:7], 2, v[6:7]
	v_mul_lo_u32 v16, v3, s8
	v_cndmask_b32_e64 v8, 2, v4, s[2:3]
	s_waitcnt lgkmcnt(0)
	v_mov_b32_e32 v5, s5
	v_add_co_u32_e64 v4, s[2:3], s4, v6
	v_addc_co_u32_e64 v5, s[2:3], v5, v7, s[2:3]
	v_ashrrev_i32_e32 v17, 31, v16
	global_store_dword v[10:11], v12, off
	global_store_dword v[4:5], v8, off
	v_lshlrev_b64 v[4:5], 2, v[16:17]
	v_mov_b32_e32 v11, 0xff800000
	v_mov_b32_e32 v8, s7
	v_add_co_u32_e64 v16, s[2:3], s6, v4
	v_cndmask_b32_e32 v0, v11, v0, vcc
	v_cmp_ne_u32_e32 vcc, 1, v18
	v_addc_co_u32_e64 v17, s[2:3], v8, v5, s[2:3]
	s_cmp_eq_u32 s8, 1
	v_cndmask_b32_e32 v1, v11, v1, vcc
	global_store_dword v[16:17], v3, off
	s_cbranch_scc1 .LBB219_9
; %bb.6:
	v_mov_b32_e32 v8, s7
	v_add_co_u32_e32 v4, vcc, s6, v4
	v_addc_co_u32_e32 v5, vcc, v5, v8, vcc
	v_add_co_u32_e32 v4, vcc, 4, v4
	v_addc_co_u32_e32 v5, vcc, 0, v5, vcc
	v_mov_b32_e32 v8, s5
	v_add_co_u32_e32 v6, vcc, s4, v6
	v_addc_co_u32_e32 v7, vcc, v7, v8, vcc
	v_add_co_u32_e32 v6, vcc, 4, v6
	v_mov_b32_e32 v8, s13
	v_addc_co_u32_e32 v7, vcc, 0, v7, vcc
	v_addc_co_u32_e64 v9, vcc, v9, v8, s[0:1]
	v_add_co_u32_e32 v8, vcc, 4, v10
	s_add_i32 s21, s21, s18
	v_addc_co_u32_e32 v9, vcc, 0, v9, vcc
	s_add_i32 s2, s8, -1
	v_add3_u32 v10, s21, v14, v13
.LBB219_7:                              ; =>This Inner Loop Header: Depth=1
	v_cmp_gt_f32_e32 vcc, v1, v0
	v_cndmask_b32_e32 v13, v0, v1, vcc
	v_cndmask_b32_e64 v14, 0, 1, vcc
	v_sub_f32_e32 v13, v13, v2
	v_cndmask_b32_e32 v1, v1, v11, vcc
	v_cndmask_b32_e32 v0, v11, v0, vcc
	v_cmp_le_i32_e32 vcc, s9, v14
	v_cmp_gt_i32_e64 s[0:1], s10, v14
	v_mul_f32_e32 v16, 0x3fb8aa3b, v13
	s_and_b64 s[0:1], vcc, s[0:1]
	v_fma_f32 v17, v13, s19, -v16
	v_rndne_f32_e32 v18, v16
	v_subrev_u32_e32 v14, s9, v14
	v_fmac_f32_e32 v17, 0x32a5705f, v13
	v_sub_f32_e32 v16, v16, v18
	s_and_b64 vcc, s[16:17], s[0:1]
	v_cndmask_b32_e32 v14, 2, v14, vcc
	v_add_f32_e32 v16, v16, v17
	v_cvt_i32_f32_e32 v18, v18
	global_store_dword v[6:7], v14, off
	global_store_dword v[4:5], v10, off
	v_add_co_u32_e32 v4, vcc, 4, v4
	v_exp_f32_e32 v14, v16
	v_addc_co_u32_e32 v5, vcc, 0, v5, vcc
	v_add_co_u32_e32 v6, vcc, 4, v6
	v_addc_co_u32_e32 v7, vcc, 0, v7, vcc
	v_ldexp_f32 v14, v14, v18
	v_cmp_ngt_f32_e32 vcc, s20, v13
	v_cndmask_b32_e32 v14, 0, v14, vcc
	v_cmp_nlt_f32_e32 vcc, s22, v13
	v_cndmask_b32_e32 v13, v15, v14, vcc
	s_add_i32 s2, s2, -1
	global_store_dword v[8:9], v13, off
	v_add_co_u32_e32 v8, vcc, 4, v8
	v_add_u32_e32 v10, s18, v10
	s_cmp_eq_u32 s2, 0
	v_add_f32_e32 v12, v12, v13
	v_addc_co_u32_e32 v9, vcc, 0, v9, vcc
	s_cbranch_scc0 .LBB219_7
	s_branch .LBB219_9
.LBB219_8:
	v_mov_b32_e32 v12, 0
.LBB219_9:
	v_pk_add_f32 v[0:1], v[0:1], v[2:3] op_sel_hi:[1,0] neg_lo:[0,1] neg_hi:[0,1]
	s_mov_b32 s0, 0x3fb8aa3b
	v_mul_f32_e32 v2, 0x3fb8aa3b, v1
	v_fma_f32 v4, v1, s0, -v2
	v_rndne_f32_e32 v5, v2
	v_fmac_f32_e32 v4, 0x32a5705f, v1
	v_sub_f32_e32 v2, v2, v5
	v_add_f32_e32 v2, v2, v4
	v_exp_f32_e32 v2, v2
	v_cvt_i32_f32_e32 v4, v5
	s_mov_b32 s1, 0xc2ce8ed0
	v_cmp_ngt_f32_e32 vcc, s1, v1
	s_mov_b32 s2, 0x42b17218
	v_ldexp_f32 v2, v2, v4
	v_mul_f32_e32 v4, 0x3fb8aa3b, v0
	v_fma_f32 v5, v0, s0, -v4
	v_rndne_f32_e32 v6, v4
	v_fmac_f32_e32 v5, 0x32a5705f, v0
	v_sub_f32_e32 v4, v4, v6
	v_add_f32_e32 v4, v4, v5
	v_exp_f32_e32 v4, v4
	v_cvt_i32_f32_e32 v5, v6
	v_cndmask_b32_e32 v2, 0, v2, vcc
	v_mov_b32_e32 v6, 0x7f800000
	v_cmp_nlt_f32_e32 vcc, s2, v1
	v_cndmask_b32_e32 v1, v6, v2, vcc
	v_ldexp_f32 v2, v4, v5
	v_cmp_ngt_f32_e32 vcc, s1, v0
	v_cndmask_b32_e32 v2, 0, v2, vcc
	v_cmp_nlt_f32_e32 vcc, s2, v0
	v_cndmask_b32_e32 v0, v6, v2, vcc
	v_add_f32_e32 v0, v0, v1
	v_add_f32_e32 v0, v12, v0
	v_cmp_neq_f32_e32 vcc, 0, v0
	s_and_b64 exec, exec, vcc
	s_cbranch_execz .LBB219_20
; %bb.10:
	s_andn2_b64 vcc, exec, s[14:15]
	s_cbranch_vccnz .LBB219_20
; %bb.11:
	v_div_scale_f32 v1, s[0:1], v0, v0, 1.0
	v_rcp_f32_e32 v2, v1
	v_div_scale_f32 v4, vcc, 1.0, v0, 1.0
	s_cmp_gt_u32 s8, 3
	v_fma_f32 v5, -v1, v2, 1.0
	v_fmac_f32_e32 v2, v5, v2
	v_mul_f32_e32 v5, v4, v2
	v_fma_f32 v6, -v1, v5, v4
	v_fmac_f32_e32 v5, v6, v2
	v_fma_f32 v1, -v1, v5, v4
	v_div_fmas_f32 v1, v1, v2, v5
	v_mul_lo_u32 v2, v3, s11
	v_div_fixup_f32 v0, v1, v0, 1.0
	v_ashrrev_i32_e32 v3, 31, v2
	s_cbranch_scc0 .LBB219_15
; %bb.12:
	v_lshlrev_b64 v[4:5], 2, v[2:3]
	v_mov_b32_e32 v6, s13
	v_add_co_u32_e32 v4, vcc, s12, v4
	v_addc_co_u32_e32 v5, vcc, v5, v6, vcc
	s_and_b32 s4, s8, 0x7ffffffc
	v_add_co_u32_e32 v4, vcc, 8, v4
	v_mov_b32_e32 v1, v0
	v_addc_co_u32_e32 v5, vcc, 0, v5, vcc
	s_mov_b32 s0, s4
.LBB219_13:                             ; =>This Inner Loop Header: Depth=1
	global_load_dwordx4 v[6:9], v[4:5], off offset:-8
	s_add_i32 s0, s0, -4
	s_cmp_lg_u32 s0, 0
	s_waitcnt vmcnt(0)
	v_pk_mul_f32 v[6:7], v[0:1], v[6:7]
	v_pk_mul_f32 v[8:9], v[0:1], v[8:9]
	global_store_dwordx4 v[4:5], v[6:9], off offset:-8
	v_add_co_u32_e32 v4, vcc, 16, v4
	v_addc_co_u32_e32 v5, vcc, 0, v5, vcc
	s_cbranch_scc1 .LBB219_13
; %bb.14:
	s_cmp_lg_u32 s4, s8
	s_cselect_b64 s[0:1], -1, 0
	s_branch .LBB219_17
.LBB219_15:
	s_mov_b64 s[0:1], 0
                                        ; implicit-def: $sgpr4
	s_cbranch_execz .LBB219_17
; %bb.16:
	s_mov_b64 s[0:1], -1
	s_mov_b32 s4, 0
.LBB219_17:
	s_andn2_b64 vcc, exec, s[0:1]
	s_cbranch_vccnz .LBB219_20
; %bb.18:
	v_add_co_u32_e32 v2, vcc, s4, v2
	v_addc_co_u32_e32 v3, vcc, 0, v3, vcc
	v_lshlrev_b64 v[2:3], 2, v[2:3]
	v_mov_b32_e32 v1, s13
	v_add_co_u32_e32 v2, vcc, s12, v2
	s_sub_i32 s0, s8, s4
	v_addc_co_u32_e32 v3, vcc, v1, v3, vcc
.LBB219_19:                             ; =>This Inner Loop Header: Depth=1
	global_load_dword v1, v[2:3], off
	s_add_i32 s0, s0, -1
	s_cmp_lg_u32 s0, 0
	s_waitcnt vmcnt(0)
	v_mul_f32_e32 v1, v0, v1
	global_store_dword v[2:3], v1, off
	v_add_co_u32_e32 v2, vcc, 4, v2
	v_addc_co_u32_e32 v3, vcc, 0, v3, vcc
	s_cbranch_scc1 .LBB219_19
.LBB219_20:
	s_endpgm
	.section	.rodata,"a",@progbits
	.p2align	6, 0x0
	.amdhsa_kernel _ZN4vllm3moe17topkGatingSoftmaxItLi2ELi2ELi8ELi4ELb0ELi0ELNS0_23SharedExpertScoringFuncE0EEEvPKT_PKbPfiPiS9_iiiiii
		.amdhsa_group_segment_fixed_size 0
		.amdhsa_private_segment_fixed_size 0
		.amdhsa_kernarg_size 72
		.amdhsa_user_sgpr_count 6
		.amdhsa_user_sgpr_private_segment_buffer 1
		.amdhsa_user_sgpr_dispatch_ptr 0
		.amdhsa_user_sgpr_queue_ptr 0
		.amdhsa_user_sgpr_kernarg_segment_ptr 1
		.amdhsa_user_sgpr_dispatch_id 0
		.amdhsa_user_sgpr_flat_scratch_init 0
		.amdhsa_user_sgpr_kernarg_preload_length 0
		.amdhsa_user_sgpr_kernarg_preload_offset 0
		.amdhsa_user_sgpr_private_segment_size 0
		.amdhsa_uses_dynamic_stack 0
		.amdhsa_system_sgpr_private_segment_wavefront_offset 0
		.amdhsa_system_sgpr_workgroup_id_x 1
		.amdhsa_system_sgpr_workgroup_id_y 0
		.amdhsa_system_sgpr_workgroup_id_z 0
		.amdhsa_system_sgpr_workgroup_info 0
		.amdhsa_system_vgpr_workitem_id 1
		.amdhsa_next_free_vgpr 19
		.amdhsa_next_free_sgpr 26
		.amdhsa_accum_offset 20
		.amdhsa_reserve_vcc 1
		.amdhsa_reserve_flat_scratch 0
		.amdhsa_float_round_mode_32 0
		.amdhsa_float_round_mode_16_64 0
		.amdhsa_float_denorm_mode_32 3
		.amdhsa_float_denorm_mode_16_64 3
		.amdhsa_dx10_clamp 1
		.amdhsa_ieee_mode 1
		.amdhsa_fp16_overflow 0
		.amdhsa_tg_split 0
		.amdhsa_exception_fp_ieee_invalid_op 0
		.amdhsa_exception_fp_denorm_src 0
		.amdhsa_exception_fp_ieee_div_zero 0
		.amdhsa_exception_fp_ieee_overflow 0
		.amdhsa_exception_fp_ieee_underflow 0
		.amdhsa_exception_fp_ieee_inexact 0
		.amdhsa_exception_int_div_zero 0
	.end_amdhsa_kernel
	.section	.text._ZN4vllm3moe17topkGatingSoftmaxItLi2ELi2ELi8ELi4ELb0ELi0ELNS0_23SharedExpertScoringFuncE0EEEvPKT_PKbPfiPiS9_iiiiii,"axG",@progbits,_ZN4vllm3moe17topkGatingSoftmaxItLi2ELi2ELi8ELi4ELb0ELi0ELNS0_23SharedExpertScoringFuncE0EEEvPKT_PKbPfiPiS9_iiiiii,comdat
.Lfunc_end219:
	.size	_ZN4vllm3moe17topkGatingSoftmaxItLi2ELi2ELi8ELi4ELb0ELi0ELNS0_23SharedExpertScoringFuncE0EEEvPKT_PKbPfiPiS9_iiiiii, .Lfunc_end219-_ZN4vllm3moe17topkGatingSoftmaxItLi2ELi2ELi8ELi4ELb0ELi0ELNS0_23SharedExpertScoringFuncE0EEEvPKT_PKbPfiPiS9_iiiiii
                                        ; -- End function
	.section	.AMDGPU.csdata,"",@progbits
; Kernel info:
; codeLenInByte = 1376
; NumSgprs: 30
; NumVgprs: 19
; NumAgprs: 0
; TotalNumVgprs: 19
; ScratchSize: 0
; MemoryBound: 0
; FloatMode: 240
; IeeeMode: 1
; LDSByteSize: 0 bytes/workgroup (compile time only)
; SGPRBlocks: 3
; VGPRBlocks: 2
; NumSGPRsForWavesPerEU: 30
; NumVGPRsForWavesPerEU: 19
; AccumOffset: 20
; Occupancy: 8
; WaveLimiterHint : 0
; COMPUTE_PGM_RSRC2:SCRATCH_EN: 0
; COMPUTE_PGM_RSRC2:USER_SGPR: 6
; COMPUTE_PGM_RSRC2:TRAP_HANDLER: 0
; COMPUTE_PGM_RSRC2:TGID_X_EN: 1
; COMPUTE_PGM_RSRC2:TGID_Y_EN: 0
; COMPUTE_PGM_RSRC2:TGID_Z_EN: 0
; COMPUTE_PGM_RSRC2:TIDIG_COMP_CNT: 1
; COMPUTE_PGM_RSRC3_GFX90A:ACCUM_OFFSET: 4
; COMPUTE_PGM_RSRC3_GFX90A:TG_SPLIT: 0
	.section	.text._ZN4vllm3moe17topkGatingSoftmaxItLi2ELi2ELi8ELi4ELb1ELi1ELNS0_23SharedExpertScoringFuncE1EEEvPKT_PKbPfiPiS9_iiiiii,"axG",@progbits,_ZN4vllm3moe17topkGatingSoftmaxItLi2ELi2ELi8ELi4ELb1ELi1ELNS0_23SharedExpertScoringFuncE1EEEvPKT_PKbPfiPiS9_iiiiii,comdat
	.protected	_ZN4vllm3moe17topkGatingSoftmaxItLi2ELi2ELi8ELi4ELb1ELi1ELNS0_23SharedExpertScoringFuncE1EEEvPKT_PKbPfiPiS9_iiiiii ; -- Begin function _ZN4vllm3moe17topkGatingSoftmaxItLi2ELi2ELi8ELi4ELb1ELi1ELNS0_23SharedExpertScoringFuncE1EEEvPKT_PKbPfiPiS9_iiiiii
	.globl	_ZN4vllm3moe17topkGatingSoftmaxItLi2ELi2ELi8ELi4ELb1ELi1ELNS0_23SharedExpertScoringFuncE1EEEvPKT_PKbPfiPiS9_iiiiii
	.p2align	8
	.type	_ZN4vllm3moe17topkGatingSoftmaxItLi2ELi2ELi8ELi4ELb1ELi1ELNS0_23SharedExpertScoringFuncE1EEEvPKT_PKbPfiPiS9_iiiiii,@function
_ZN4vllm3moe17topkGatingSoftmaxItLi2ELi2ELi8ELi4ELb1ELi1ELNS0_23SharedExpertScoringFuncE1EEEvPKT_PKbPfiPiS9_iiiiii: ; @_ZN4vllm3moe17topkGatingSoftmaxItLi2ELi2ELi8ELi4ELb1ELi1ELNS0_23SharedExpertScoringFuncE1EEEvPKT_PKbPfiPiS9_iiiiii
; %bb.0:
	s_load_dword s18, s[4:5], 0x18
	v_bfe_u32 v1, v0, 10, 10
	s_lshl_b32 s19, s6, 9
	v_lshlrev_b32_e32 v11, 6, v1
	v_and_b32_e32 v12, 0x3ff, v0
	v_add3_u32 v13, v11, v12, s19
	s_waitcnt lgkmcnt(0)
	v_cmp_gt_i32_e32 vcc, s18, v13
	s_and_saveexec_b64 s[0:1], vcc
	s_cbranch_execz .LBB220_19
; %bb.1:
	s_load_dwordx4 s[0:3], s[4:5], 0x0
	s_load_dwordx2 s[12:13], s[4:5], 0x10
	s_waitcnt lgkmcnt(0)
	s_cmp_eq_u64 s[2:3], 0
	s_cbranch_scc1 .LBB220_3
; %bb.2:
	v_ashrrev_i32_e32 v1, 31, v13
	v_mov_b32_e32 v2, s3
	v_add_co_u32_e32 v0, vcc, s2, v13
	v_addc_co_u32_e32 v1, vcc, v2, v1, vcc
	global_load_ubyte v0, v[0:1], off
	s_waitcnt vmcnt(0)
	v_and_b32_e32 v0, 1, v0
	v_cmp_eq_u32_e32 vcc, 1, v0
	s_xor_b64 s[2:3], vcc, -1
	s_orn2_b64 s[14:15], s[2:3], exec
	s_branch .LBB220_4
.LBB220_3:
	s_mov_b64 s[14:15], -1
.LBB220_4:
	s_load_dwordx2 s[2:3], s[4:5], 0x40
	s_load_dwordx4 s[8:11], s[4:5], 0x30
	v_mov_b32_e32 v2, s1
	s_mov_b32 s1, 0x42ce8ed0
	v_mov_b32_e32 v6, s13
	s_waitcnt lgkmcnt(0)
	v_mul_lo_u32 v0, v13, s3
	v_ashrrev_i32_e32 v1, 31, v0
	v_lshlrev_b64 v[0:1], 1, v[0:1]
	v_add_co_u32_e32 v0, vcc, s0, v0
	v_addc_co_u32_e32 v1, vcc, v2, v1, vcc
	global_load_ushort v3, v[0:1], off offset:4
	global_load_dword v2, v[0:1], off
	s_mov_b32 s0, 0xbfb8aa3b
	s_mov_b32 s3, 0xc2b17218
	v_mov_b32_e32 v1, 0x7f800000
	v_mul_lo_u32 v0, v13, s11
	v_add_u32_e32 v4, s8, v0
	s_cmp_gt_i32 s8, 0
	v_mov_b32_e32 v10, 0
	s_cselect_b64 s[16:17], -1, 0
	s_cmp_lt_i32 s8, 1
	s_waitcnt vmcnt(1)
	v_cvt_f32_u32_sdwa v3, v3 dst_sel:DWORD dst_unused:UNUSED_PAD src0_sel:WORD_0
	v_mul_f32_e32 v5, 0xbfb8aa3b, v3
	v_fma_f32 v7, v3, s0, -v5
	v_rndne_f32_e32 v8, v5
	v_fmac_f32_e32 v7, 0xb2a5705f, v3
	v_sub_f32_e32 v5, v5, v8
	v_add_f32_e32 v5, v5, v7
	v_cvt_i32_f32_e32 v8, v8
	v_exp_f32_e32 v7, v5
	v_cmp_nlt_f32_e32 vcc, s1, v3
	v_ashrrev_i32_e32 v5, 31, v4
	v_lshlrev_b64 v[4:5], 2, v[4:5]
	v_ldexp_f32 v7, v7, v8
	v_cndmask_b32_e32 v7, 0, v7, vcc
	v_cmp_ngt_f32_e32 vcc, s3, v3
	v_cndmask_b32_e32 v3, v1, v7, vcc
	v_add_f32_e32 v3, 1.0, v3
	v_div_scale_f32 v7, s[0:1], v3, v3, 1.0
	v_rcp_f32_e32 v8, v7
	v_add_co_u32_e32 v4, vcc, s12, v4
	v_addc_co_u32_e32 v5, vcc, v6, v5, vcc
	v_fma_f32 v9, -v7, v8, 1.0
	v_div_scale_f32 v6, vcc, 1.0, v3, 1.0
	v_fmac_f32_e32 v8, v9, v8
	v_mul_f32_e32 v9, v6, v8
	v_fma_f32 v14, -v7, v9, v6
	v_fmac_f32_e32 v9, v14, v8
	v_fma_f32 v6, -v7, v9, v6
	v_div_fmas_f32 v6, v6, v8, v9
	v_div_fixup_f32 v3, v6, v3, 1.0
	global_store_dword v[4:5], v3, off
	s_cbranch_scc1 .LBB220_8
; %bb.5:
	s_waitcnt vmcnt(1)
	v_cvt_f32_u32_sdwa v15, v2 dst_sel:DWORD dst_unused:UNUSED_PAD src0_sel:WORD_1
	v_cvt_f32_u32_sdwa v16, v2 dst_sel:DWORD dst_unused:UNUSED_PAD src0_sel:WORD_0
	s_mov_b32 s11, 0x3fb8aa3b
	v_mul_lo_u32 v4, v13, s2
	s_mov_b32 s20, 0xc2ce8ed0
	v_cmp_lt_f32_e32 vcc, v16, v15
	v_cndmask_b32_e32 v14, v16, v15, vcc
	v_sub_f32_e32 v2, v14, v14
	v_mul_f32_e32 v3, 0x3fb8aa3b, v2
	v_fma_f32 v5, v2, s11, -v3
	v_rndne_f32_e32 v6, v3
	v_fmac_f32_e32 v5, 0x32a5705f, v2
	v_sub_f32_e32 v3, v3, v6
	v_add_f32_e32 v3, v3, v5
	v_exp_f32_e32 v3, v3
	v_cvt_i32_f32_e32 v5, v6
	v_cndmask_b32_e64 v17, 0, 1, vcc
	v_cmp_le_i32_e64 s[0:1], s9, v17
	v_cmp_gt_i32_e64 s[2:3], s10, v17
	s_and_b64 s[22:23], s[0:1], s[2:3]
	v_ldexp_f32 v3, v3, v5
	v_cmp_ngt_f32_e64 s[0:1], s20, v2
	s_mov_b32 s21, 0x42b17218
	v_cndmask_b32_e64 v3, 0, v3, s[0:1]
	v_cmp_nlt_f32_e64 s[0:1], s21, v2
	s_load_dwordx4 s[4:7], s[4:5], 0x20
	v_cndmask_b32_e64 v10, v1, v3, s[0:1]
	v_ashrrev_i32_e32 v1, 31, v0
	v_lshlrev_b64 v[2:3], 2, v[0:1]
	v_mov_b32_e32 v1, s13
	v_add_co_u32_e64 v8, s[0:1], s12, v2
	v_addc_co_u32_e64 v9, s[2:3], v1, v3, s[0:1]
	v_ashrrev_i32_e32 v5, 31, v4
	v_subrev_u32_e32 v1, s9, v17
	s_and_b64 s[2:3], s[14:15], s[22:23]
	v_lshlrev_b64 v[6:7], 2, v[4:5]
	v_mul_lo_u32 v18, v13, s8
	v_cndmask_b32_e64 v1, 2, v1, s[2:3]
	s_waitcnt lgkmcnt(0)
	v_mov_b32_e32 v2, s5
	v_add_co_u32_e64 v4, s[2:3], s4, v6
	v_addc_co_u32_e64 v5, s[2:3], v2, v7, s[2:3]
	v_ashrrev_i32_e32 v19, 31, v18
	global_store_dword v[4:5], v1, off
	v_lshlrev_b64 v[4:5], 2, v[18:19]
	v_mov_b32_e32 v1, s7
	v_add_co_u32_e64 v18, s[2:3], s6, v4
	v_addc_co_u32_e64 v19, s[2:3], v1, v5, s[2:3]
	s_cmp_eq_u32 s8, 1
	global_store_dword v[8:9], v10, off
	global_store_dword v[18:19], v13, off
	s_cbranch_scc1 .LBB220_8
; %bb.6:
	v_mov_b32_e32 v13, 0xff800000
	v_cndmask_b32_e32 v2, v13, v16, vcc
	v_cmp_ne_u32_e32 vcc, 1, v17
	v_cndmask_b32_e32 v1, v13, v15, vcc
	v_mov_b32_e32 v9, s7
	v_add_co_u32_e32 v4, vcc, s6, v4
	v_addc_co_u32_e32 v5, vcc, v5, v9, vcc
	v_add_co_u32_e32 v4, vcc, 4, v4
	v_addc_co_u32_e32 v5, vcc, 0, v5, vcc
	v_mov_b32_e32 v9, s5
	v_add_co_u32_e32 v6, vcc, s4, v6
	v_addc_co_u32_e32 v7, vcc, v7, v9, vcc
	v_add_co_u32_e32 v6, vcc, 4, v6
	v_mov_b32_e32 v9, s13
	v_addc_co_u32_e32 v7, vcc, 0, v7, vcc
	v_addc_co_u32_e64 v3, vcc, v3, v9, s[0:1]
	v_add_co_u32_e32 v8, vcc, 4, v8
	s_add_i32 s19, s19, s18
	v_addc_co_u32_e32 v9, vcc, 0, v3, vcc
	s_add_i32 s2, s8, -1
	v_add3_u32 v3, s19, v12, v11
	v_mov_b32_e32 v11, 0x7f800000
.LBB220_7:                              ; =>This Inner Loop Header: Depth=1
	v_cmp_gt_f32_e32 vcc, v1, v2
	v_cndmask_b32_e32 v12, v2, v1, vcc
	v_cndmask_b32_e64 v15, 0, 1, vcc
	v_sub_f32_e32 v12, v12, v14
	v_cndmask_b32_e32 v1, v1, v13, vcc
	v_cndmask_b32_e32 v2, v13, v2, vcc
	v_cmp_le_i32_e32 vcc, s9, v15
	v_cmp_gt_i32_e64 s[0:1], s10, v15
	v_mul_f32_e32 v16, 0x3fb8aa3b, v12
	s_and_b64 s[0:1], vcc, s[0:1]
	v_fma_f32 v17, v12, s11, -v16
	v_rndne_f32_e32 v18, v16
	v_subrev_u32_e32 v15, s9, v15
	v_fmac_f32_e32 v17, 0x32a5705f, v12
	v_sub_f32_e32 v16, v16, v18
	s_and_b64 vcc, s[14:15], s[0:1]
	v_cndmask_b32_e32 v15, 2, v15, vcc
	v_add_f32_e32 v16, v16, v17
	v_cvt_i32_f32_e32 v18, v18
	global_store_dword v[6:7], v15, off
	global_store_dword v[4:5], v3, off
	v_add_co_u32_e32 v4, vcc, 4, v4
	v_exp_f32_e32 v15, v16
	v_addc_co_u32_e32 v5, vcc, 0, v5, vcc
	v_add_co_u32_e32 v6, vcc, 4, v6
	v_addc_co_u32_e32 v7, vcc, 0, v7, vcc
	v_ldexp_f32 v15, v15, v18
	v_cmp_ngt_f32_e32 vcc, s20, v12
	v_cndmask_b32_e32 v15, 0, v15, vcc
	v_cmp_nlt_f32_e32 vcc, s21, v12
	v_cndmask_b32_e32 v12, v11, v15, vcc
	s_add_i32 s2, s2, -1
	global_store_dword v[8:9], v12, off
	v_add_co_u32_e32 v8, vcc, 4, v8
	v_add_u32_e32 v3, s18, v3
	s_cmp_eq_u32 s2, 0
	v_add_f32_e32 v10, v10, v12
	v_addc_co_u32_e32 v9, vcc, 0, v9, vcc
	s_cbranch_scc0 .LBB220_7
.LBB220_8:
	v_cmp_neq_f32_e32 vcc, 0, v10
	s_and_b64 exec, exec, vcc
	s_cbranch_execz .LBB220_19
; %bb.9:
	s_andn2_b64 vcc, exec, s[16:17]
	s_cbranch_vccnz .LBB220_19
; %bb.10:
	v_div_scale_f32 v1, s[0:1], v10, v10, 1.0
	s_waitcnt vmcnt(1)
	v_rcp_f32_e32 v2, v1
	v_div_scale_f32 v3, vcc, 1.0, v10, 1.0
	s_cmp_gt_u32 s8, 3
	v_fma_f32 v4, -v1, v2, 1.0
	v_fmac_f32_e32 v2, v4, v2
	v_mul_f32_e32 v4, v3, v2
	v_fma_f32 v5, -v1, v4, v3
	v_fmac_f32_e32 v4, v5, v2
	v_fma_f32 v1, -v1, v4, v3
	v_div_fmas_f32 v1, v1, v2, v4
	v_div_fixup_f32 v2, v1, v10, 1.0
	v_ashrrev_i32_e32 v1, 31, v0
	s_cbranch_scc0 .LBB220_14
; %bb.11:
	v_lshlrev_b64 v[4:5], 2, v[0:1]
	v_mov_b32_e32 v6, s13
	v_add_co_u32_e32 v4, vcc, s12, v4
	v_addc_co_u32_e32 v5, vcc, v5, v6, vcc
	s_and_b32 s4, s8, 0x7ffffffc
	v_add_co_u32_e32 v4, vcc, 8, v4
	v_mov_b32_e32 v3, v2
	v_addc_co_u32_e32 v5, vcc, 0, v5, vcc
	s_mov_b32 s0, s4
.LBB220_12:                             ; =>This Inner Loop Header: Depth=1
	global_load_dwordx4 v[6:9], v[4:5], off offset:-8
	s_add_i32 s0, s0, -4
	s_cmp_lg_u32 s0, 0
	s_waitcnt vmcnt(0)
	v_pk_mul_f32 v[6:7], v[2:3], v[6:7]
	v_pk_mul_f32 v[8:9], v[2:3], v[8:9]
	global_store_dwordx4 v[4:5], v[6:9], off offset:-8
	v_add_co_u32_e32 v4, vcc, 16, v4
	v_addc_co_u32_e32 v5, vcc, 0, v5, vcc
	s_cbranch_scc1 .LBB220_12
; %bb.13:
	s_cmp_lg_u32 s4, s8
	s_cselect_b64 s[0:1], -1, 0
	s_branch .LBB220_16
.LBB220_14:
	s_mov_b64 s[0:1], 0
                                        ; implicit-def: $sgpr4
	s_cbranch_execz .LBB220_16
; %bb.15:
	s_mov_b64 s[0:1], -1
	s_mov_b32 s4, 0
.LBB220_16:
	s_andn2_b64 vcc, exec, s[0:1]
	s_cbranch_vccnz .LBB220_19
; %bb.17:
	v_add_co_u32_e32 v0, vcc, s4, v0
	v_addc_co_u32_e32 v1, vcc, 0, v1, vcc
	v_lshlrev_b64 v[0:1], 2, v[0:1]
	v_mov_b32_e32 v3, s13
	v_add_co_u32_e32 v0, vcc, s12, v0
	s_sub_i32 s0, s8, s4
	v_addc_co_u32_e32 v1, vcc, v3, v1, vcc
.LBB220_18:                             ; =>This Inner Loop Header: Depth=1
	global_load_dword v3, v[0:1], off
	s_add_i32 s0, s0, -1
	s_cmp_lg_u32 s0, 0
	s_waitcnt vmcnt(0)
	v_mul_f32_e32 v3, v2, v3
	global_store_dword v[0:1], v3, off
	v_add_co_u32_e32 v0, vcc, 4, v0
	v_addc_co_u32_e32 v1, vcc, 0, v1, vcc
	s_cbranch_scc1 .LBB220_18
.LBB220_19:
	s_endpgm
	.section	.rodata,"a",@progbits
	.p2align	6, 0x0
	.amdhsa_kernel _ZN4vllm3moe17topkGatingSoftmaxItLi2ELi2ELi8ELi4ELb1ELi1ELNS0_23SharedExpertScoringFuncE1EEEvPKT_PKbPfiPiS9_iiiiii
		.amdhsa_group_segment_fixed_size 0
		.amdhsa_private_segment_fixed_size 0
		.amdhsa_kernarg_size 72
		.amdhsa_user_sgpr_count 6
		.amdhsa_user_sgpr_private_segment_buffer 1
		.amdhsa_user_sgpr_dispatch_ptr 0
		.amdhsa_user_sgpr_queue_ptr 0
		.amdhsa_user_sgpr_kernarg_segment_ptr 1
		.amdhsa_user_sgpr_dispatch_id 0
		.amdhsa_user_sgpr_flat_scratch_init 0
		.amdhsa_user_sgpr_kernarg_preload_length 0
		.amdhsa_user_sgpr_kernarg_preload_offset 0
		.amdhsa_user_sgpr_private_segment_size 0
		.amdhsa_uses_dynamic_stack 0
		.amdhsa_system_sgpr_private_segment_wavefront_offset 0
		.amdhsa_system_sgpr_workgroup_id_x 1
		.amdhsa_system_sgpr_workgroup_id_y 0
		.amdhsa_system_sgpr_workgroup_id_z 0
		.amdhsa_system_sgpr_workgroup_info 0
		.amdhsa_system_vgpr_workitem_id 1
		.amdhsa_next_free_vgpr 20
		.amdhsa_next_free_sgpr 24
		.amdhsa_accum_offset 20
		.amdhsa_reserve_vcc 1
		.amdhsa_reserve_flat_scratch 0
		.amdhsa_float_round_mode_32 0
		.amdhsa_float_round_mode_16_64 0
		.amdhsa_float_denorm_mode_32 3
		.amdhsa_float_denorm_mode_16_64 3
		.amdhsa_dx10_clamp 1
		.amdhsa_ieee_mode 1
		.amdhsa_fp16_overflow 0
		.amdhsa_tg_split 0
		.amdhsa_exception_fp_ieee_invalid_op 0
		.amdhsa_exception_fp_denorm_src 0
		.amdhsa_exception_fp_ieee_div_zero 0
		.amdhsa_exception_fp_ieee_overflow 0
		.amdhsa_exception_fp_ieee_underflow 0
		.amdhsa_exception_fp_ieee_inexact 0
		.amdhsa_exception_int_div_zero 0
	.end_amdhsa_kernel
	.section	.text._ZN4vllm3moe17topkGatingSoftmaxItLi2ELi2ELi8ELi4ELb1ELi1ELNS0_23SharedExpertScoringFuncE1EEEvPKT_PKbPfiPiS9_iiiiii,"axG",@progbits,_ZN4vllm3moe17topkGatingSoftmaxItLi2ELi2ELi8ELi4ELb1ELi1ELNS0_23SharedExpertScoringFuncE1EEEvPKT_PKbPfiPiS9_iiiiii,comdat
.Lfunc_end220:
	.size	_ZN4vllm3moe17topkGatingSoftmaxItLi2ELi2ELi8ELi4ELb1ELi1ELNS0_23SharedExpertScoringFuncE1EEEvPKT_PKbPfiPiS9_iiiiii, .Lfunc_end220-_ZN4vllm3moe17topkGatingSoftmaxItLi2ELi2ELi8ELi4ELb1ELi1ELNS0_23SharedExpertScoringFuncE1EEEvPKT_PKbPfiPiS9_iiiiii
                                        ; -- End function
	.section	.AMDGPU.csdata,"",@progbits
; Kernel info:
; codeLenInByte = 1416
; NumSgprs: 28
; NumVgprs: 20
; NumAgprs: 0
; TotalNumVgprs: 20
; ScratchSize: 0
; MemoryBound: 0
; FloatMode: 240
; IeeeMode: 1
; LDSByteSize: 0 bytes/workgroup (compile time only)
; SGPRBlocks: 3
; VGPRBlocks: 2
; NumSGPRsForWavesPerEU: 28
; NumVGPRsForWavesPerEU: 20
; AccumOffset: 20
; Occupancy: 8
; WaveLimiterHint : 0
; COMPUTE_PGM_RSRC2:SCRATCH_EN: 0
; COMPUTE_PGM_RSRC2:USER_SGPR: 6
; COMPUTE_PGM_RSRC2:TRAP_HANDLER: 0
; COMPUTE_PGM_RSRC2:TGID_X_EN: 1
; COMPUTE_PGM_RSRC2:TGID_Y_EN: 0
; COMPUTE_PGM_RSRC2:TGID_Z_EN: 0
; COMPUTE_PGM_RSRC2:TIDIG_COMP_CNT: 1
; COMPUTE_PGM_RSRC3_GFX90A:ACCUM_OFFSET: 4
; COMPUTE_PGM_RSRC3_GFX90A:TG_SPLIT: 0
	.section	.text._ZN4vllm3moe17topkGatingSoftmaxItLi2ELi2ELi8ELi4ELb0ELi1ELNS0_23SharedExpertScoringFuncE1EEEvPKT_PKbPfiPiS9_iiiiii,"axG",@progbits,_ZN4vllm3moe17topkGatingSoftmaxItLi2ELi2ELi8ELi4ELb0ELi1ELNS0_23SharedExpertScoringFuncE1EEEvPKT_PKbPfiPiS9_iiiiii,comdat
	.protected	_ZN4vllm3moe17topkGatingSoftmaxItLi2ELi2ELi8ELi4ELb0ELi1ELNS0_23SharedExpertScoringFuncE1EEEvPKT_PKbPfiPiS9_iiiiii ; -- Begin function _ZN4vllm3moe17topkGatingSoftmaxItLi2ELi2ELi8ELi4ELb0ELi1ELNS0_23SharedExpertScoringFuncE1EEEvPKT_PKbPfiPiS9_iiiiii
	.globl	_ZN4vllm3moe17topkGatingSoftmaxItLi2ELi2ELi8ELi4ELb0ELi1ELNS0_23SharedExpertScoringFuncE1EEEvPKT_PKbPfiPiS9_iiiiii
	.p2align	8
	.type	_ZN4vllm3moe17topkGatingSoftmaxItLi2ELi2ELi8ELi4ELb0ELi1ELNS0_23SharedExpertScoringFuncE1EEEvPKT_PKbPfiPiS9_iiiiii,@function
_ZN4vllm3moe17topkGatingSoftmaxItLi2ELi2ELi8ELi4ELb0ELi1ELNS0_23SharedExpertScoringFuncE1EEEvPKT_PKbPfiPiS9_iiiiii: ; @_ZN4vllm3moe17topkGatingSoftmaxItLi2ELi2ELi8ELi4ELb0ELi1ELNS0_23SharedExpertScoringFuncE1EEEvPKT_PKbPfiPiS9_iiiiii
; %bb.0:
	s_load_dword s18, s[4:5], 0x18
	v_bfe_u32 v1, v0, 10, 10
	s_lshl_b32 s19, s6, 9
	v_lshlrev_b32_e32 v15, 6, v1
	v_and_b32_e32 v16, 0x3ff, v0
	v_add3_u32 v17, v15, v16, s19
	s_waitcnt lgkmcnt(0)
	v_cmp_gt_i32_e32 vcc, s18, v17
	s_and_saveexec_b64 s[0:1], vcc
	s_cbranch_execz .LBB221_19
; %bb.1:
	s_load_dwordx4 s[0:3], s[4:5], 0x0
	s_load_dwordx2 s[12:13], s[4:5], 0x10
	s_waitcnt lgkmcnt(0)
	s_cmp_eq_u64 s[2:3], 0
	s_cbranch_scc1 .LBB221_3
; %bb.2:
	v_ashrrev_i32_e32 v1, 31, v17
	v_mov_b32_e32 v2, s3
	v_add_co_u32_e32 v0, vcc, s2, v17
	v_addc_co_u32_e32 v1, vcc, v2, v1, vcc
	global_load_ubyte v0, v[0:1], off
	s_waitcnt vmcnt(0)
	v_and_b32_e32 v0, 1, v0
	v_cmp_eq_u32_e32 vcc, 1, v0
	s_xor_b64 s[2:3], vcc, -1
	s_orn2_b64 s[14:15], s[2:3], exec
	s_branch .LBB221_4
.LBB221_3:
	s_mov_b64 s[14:15], -1
.LBB221_4:
	s_load_dwordx2 s[2:3], s[4:5], 0x40
	s_load_dwordx4 s[8:11], s[4:5], 0x30
	v_mov_b32_e32 v2, s1
	s_mov_b32 s1, 0x42ce8ed0
	v_mov_b32_e32 v5, 0x7f800000
	s_waitcnt lgkmcnt(0)
	v_mul_lo_u32 v0, v17, s3
	v_ashrrev_i32_e32 v1, 31, v0
	v_lshlrev_b64 v[0:1], 1, v[0:1]
	v_add_co_u32_e32 v0, vcc, s0, v0
	v_addc_co_u32_e32 v1, vcc, v2, v1, vcc
	global_load_ushort v3, v[0:1], off offset:4
	global_load_dword v4, v[0:1], off
	s_mov_b32 s0, 0xbfb8aa3b
	v_mul_lo_u32 v0, v17, s11
	v_add_u32_e32 v2, s8, v0
	v_mov_b32_e32 v1, s13
	s_mov_b32 s3, 0xc2b17218
	s_cmp_gt_i32 s8, 0
	v_mov_b32_e32 v14, 0
	s_cselect_b64 s[16:17], -1, 0
	s_cmp_lt_i32 s8, 1
	s_waitcnt vmcnt(1)
	v_cvt_f32_u32_e32 v8, v3
	v_ashrrev_i32_e32 v3, 31, v2
	v_lshlrev_b64 v[2:3], 2, v[2:3]
	v_mul_f32_e32 v6, 0xbfb8aa3b, v8
	v_fma_f32 v7, v8, s0, -v6
	v_rndne_f32_e32 v9, v6
	v_fmac_f32_e32 v7, 0xb2a5705f, v8
	v_sub_f32_e32 v6, v6, v9
	v_add_f32_e32 v6, v6, v7
	v_cvt_i32_f32_e32 v9, v9
	v_exp_f32_e32 v10, v6
	v_add_co_u32_e32 v6, vcc, s12, v2
	v_addc_co_u32_e32 v7, vcc, v1, v3, vcc
	v_ldexp_f32 v1, v10, v9
	v_cmp_nlt_f32_e32 vcc, s1, v8
	v_cndmask_b32_e32 v1, 0, v1, vcc
	v_cmp_ngt_f32_e32 vcc, s3, v8
	v_cndmask_b32_e32 v1, v5, v1, vcc
	v_add_f32_e32 v1, 1.0, v1
	v_div_scale_f32 v8, s[0:1], v1, v1, 1.0
	v_rcp_f32_e32 v9, v8
	s_waitcnt vmcnt(0)
	v_cvt_f32_u32_sdwa v3, v4 dst_sel:DWORD dst_unused:UNUSED_PAD src0_sel:WORD_1
	v_cvt_f32_u32_sdwa v2, v4 dst_sel:DWORD dst_unused:UNUSED_PAD src0_sel:WORD_0
	v_div_scale_f32 v4, vcc, 1.0, v1, 1.0
	v_fma_f32 v10, -v8, v9, 1.0
	v_fmac_f32_e32 v9, v10, v9
	v_mul_f32_e32 v10, v4, v9
	v_fma_f32 v11, -v8, v10, v4
	v_fmac_f32_e32 v10, v11, v9
	v_fma_f32 v4, -v8, v10, v4
	v_div_fmas_f32 v4, v4, v9, v10
	v_cmp_lt_f32_e32 vcc, v2, v3
	v_div_fixup_f32 v1, v4, v1, 1.0
	v_cndmask_b32_e32 v4, v2, v3, vcc
	global_store_dword v[6:7], v1, off
	s_cbranch_scc1 .LBB221_8
; %bb.5:
	v_sub_f32_e32 v1, v4, v4
	v_mul_f32_e32 v7, 0x3fb8aa3b, v1
	s_mov_b32 s11, 0x3fb8aa3b
	v_rndne_f32_e32 v8, v7
	v_sub_f32_e32 v9, v7, v8
	v_fma_f32 v7, v1, s11, -v7
	v_fmac_f32_e32 v7, 0x32a5705f, v1
	v_add_f32_e32 v7, v9, v7
	v_exp_f32_e32 v7, v7
	v_cvt_i32_f32_e32 v8, v8
	v_cndmask_b32_e64 v20, 0, 1, vcc
	v_mul_lo_u32 v6, v17, s2
	v_cmp_le_i32_e64 s[0:1], s9, v20
	v_cmp_gt_i32_e64 s[2:3], s10, v20
	s_mov_b32 s20, 0xc2ce8ed0
	s_and_b64 s[22:23], s[0:1], s[2:3]
	v_ldexp_f32 v7, v7, v8
	v_cmp_ngt_f32_e64 s[0:1], s20, v1
	s_mov_b32 s21, 0x42b17218
	s_load_dwordx4 s[4:7], s[4:5], 0x20
	v_cndmask_b32_e64 v7, 0, v7, s[0:1]
	v_cmp_nlt_f32_e64 s[0:1], s21, v1
	v_ashrrev_i32_e32 v1, 31, v0
	v_lshlrev_b64 v[10:11], 2, v[0:1]
	v_cndmask_b32_e64 v14, v5, v7, s[0:1]
	v_mov_b32_e32 v1, s13
	v_add_co_u32_e64 v12, s[0:1], s12, v10
	v_addc_co_u32_e64 v13, s[2:3], v1, v11, s[0:1]
	v_ashrrev_i32_e32 v7, 31, v6
	v_subrev_u32_e32 v1, s9, v20
	s_and_b64 s[2:3], s[14:15], s[22:23]
	v_lshlrev_b64 v[8:9], 2, v[6:7]
	v_mul_lo_u32 v18, v17, s8
	v_cndmask_b32_e64 v1, 2, v1, s[2:3]
	s_waitcnt lgkmcnt(0)
	v_mov_b32_e32 v7, s5
	v_add_co_u32_e64 v6, s[2:3], s4, v8
	v_addc_co_u32_e64 v7, s[2:3], v7, v9, s[2:3]
	v_ashrrev_i32_e32 v19, 31, v18
	global_store_dword v[6:7], v1, off
	v_lshlrev_b64 v[6:7], 2, v[18:19]
	v_mov_b32_e32 v1, s7
	v_add_co_u32_e64 v18, s[2:3], s6, v6
	v_addc_co_u32_e64 v19, s[2:3], v1, v7, s[2:3]
	v_mov_b32_e32 v1, 0xff800000
	v_cndmask_b32_e32 v2, v1, v2, vcc
	v_cmp_ne_u32_e32 vcc, 1, v20
	s_cmp_eq_u32 s8, 1
	v_cndmask_b32_e32 v3, v1, v3, vcc
	global_store_dword v[12:13], v14, off
	global_store_dword v[18:19], v17, off
	s_cbranch_scc1 .LBB221_8
; %bb.6:
	v_mov_b32_e32 v10, s7
	v_add_co_u32_e32 v6, vcc, s6, v6
	v_addc_co_u32_e32 v7, vcc, v7, v10, vcc
	v_add_co_u32_e32 v6, vcc, 4, v6
	v_addc_co_u32_e32 v7, vcc, 0, v7, vcc
	v_mov_b32_e32 v10, s5
	v_add_co_u32_e32 v8, vcc, s4, v8
	v_addc_co_u32_e32 v9, vcc, v9, v10, vcc
	v_add_co_u32_e32 v8, vcc, 4, v8
	v_mov_b32_e32 v10, s13
	v_addc_co_u32_e32 v9, vcc, 0, v9, vcc
	v_addc_co_u32_e64 v11, vcc, v11, v10, s[0:1]
	v_add_co_u32_e32 v10, vcc, 4, v12
	s_add_i32 s19, s19, s18
	v_addc_co_u32_e32 v11, vcc, 0, v11, vcc
	s_add_i32 s2, s8, -1
	v_add3_u32 v12, s19, v16, v15
	v_mov_b32_e32 v13, 0x7f800000
.LBB221_7:                              ; =>This Inner Loop Header: Depth=1
	v_cmp_gt_f32_e32 vcc, v3, v2
	v_cndmask_b32_e32 v15, v2, v3, vcc
	v_cndmask_b32_e64 v16, 0, 1, vcc
	v_sub_f32_e32 v15, v15, v4
	v_cndmask_b32_e32 v3, v3, v1, vcc
	v_cndmask_b32_e32 v2, v1, v2, vcc
	v_cmp_le_i32_e32 vcc, s9, v16
	v_cmp_gt_i32_e64 s[0:1], s10, v16
	v_mul_f32_e32 v17, 0x3fb8aa3b, v15
	s_and_b64 s[0:1], vcc, s[0:1]
	v_fma_f32 v18, v15, s11, -v17
	v_rndne_f32_e32 v19, v17
	v_subrev_u32_e32 v16, s9, v16
	v_fmac_f32_e32 v18, 0x32a5705f, v15
	v_sub_f32_e32 v17, v17, v19
	s_and_b64 vcc, s[14:15], s[0:1]
	v_cndmask_b32_e32 v16, 2, v16, vcc
	v_add_f32_e32 v17, v17, v18
	v_cvt_i32_f32_e32 v19, v19
	global_store_dword v[8:9], v16, off
	global_store_dword v[6:7], v12, off
	v_add_co_u32_e32 v6, vcc, 4, v6
	v_exp_f32_e32 v16, v17
	v_addc_co_u32_e32 v7, vcc, 0, v7, vcc
	v_add_co_u32_e32 v8, vcc, 4, v8
	v_addc_co_u32_e32 v9, vcc, 0, v9, vcc
	v_ldexp_f32 v16, v16, v19
	v_cmp_ngt_f32_e32 vcc, s20, v15
	v_cndmask_b32_e32 v16, 0, v16, vcc
	v_cmp_nlt_f32_e32 vcc, s21, v15
	v_cndmask_b32_e32 v15, v13, v16, vcc
	s_add_i32 s2, s2, -1
	global_store_dword v[10:11], v15, off
	v_add_co_u32_e32 v10, vcc, 4, v10
	v_add_u32_e32 v12, s18, v12
	s_cmp_eq_u32 s2, 0
	v_add_f32_e32 v14, v14, v15
	v_addc_co_u32_e32 v11, vcc, 0, v11, vcc
	s_cbranch_scc0 .LBB221_7
.LBB221_8:
	v_pk_add_f32 v[2:3], v[2:3], v[4:5] op_sel_hi:[1,0] neg_lo:[0,1] neg_hi:[0,1]
	s_mov_b32 s0, 0x3fb8aa3b
	v_mul_f32_e32 v1, 0x3fb8aa3b, v3
	v_fma_f32 v4, v3, s0, -v1
	v_rndne_f32_e32 v6, v1
	v_fmac_f32_e32 v4, 0x32a5705f, v3
	v_sub_f32_e32 v1, v1, v6
	v_add_f32_e32 v1, v1, v4
	v_exp_f32_e32 v1, v1
	v_cvt_i32_f32_e32 v4, v6
	s_mov_b32 s1, 0xc2ce8ed0
	v_cmp_ngt_f32_e32 vcc, s1, v3
	v_ldexp_f32 v1, v1, v4
	v_mul_f32_e32 v4, 0x3fb8aa3b, v2
	v_fma_f32 v6, v2, s0, -v4
	v_rndne_f32_e32 v7, v4
	v_fmac_f32_e32 v6, 0x32a5705f, v2
	v_sub_f32_e32 v4, v4, v7
	v_add_f32_e32 v4, v4, v6
	v_exp_f32_e32 v4, v4
	v_cvt_i32_f32_e32 v6, v7
	s_mov_b32 s0, 0x42b17218
	v_cndmask_b32_e32 v1, 0, v1, vcc
	v_cmp_nlt_f32_e32 vcc, s0, v3
	v_cndmask_b32_e32 v1, v5, v1, vcc
	v_ldexp_f32 v3, v4, v6
	v_cmp_ngt_f32_e32 vcc, s1, v2
	v_cndmask_b32_e32 v3, 0, v3, vcc
	v_cmp_nlt_f32_e32 vcc, s0, v2
	v_cndmask_b32_e32 v2, v5, v3, vcc
	v_add_f32_e32 v1, v2, v1
	v_add_f32_e32 v1, v14, v1
	v_cmp_neq_f32_e32 vcc, 0, v1
	s_and_b64 exec, exec, vcc
	s_cbranch_execz .LBB221_19
; %bb.9:
	s_andn2_b64 vcc, exec, s[16:17]
	s_cbranch_vccnz .LBB221_19
; %bb.10:
	v_div_scale_f32 v2, s[0:1], v1, v1, 1.0
	v_rcp_f32_e32 v3, v2
	v_div_scale_f32 v4, vcc, 1.0, v1, 1.0
	s_cmp_gt_u32 s8, 3
	v_fma_f32 v5, -v2, v3, 1.0
	v_fmac_f32_e32 v3, v5, v3
	v_mul_f32_e32 v5, v4, v3
	v_fma_f32 v6, -v2, v5, v4
	v_fmac_f32_e32 v5, v6, v3
	v_fma_f32 v2, -v2, v5, v4
	v_div_fmas_f32 v2, v2, v3, v5
	v_div_fixup_f32 v2, v2, v1, 1.0
	v_ashrrev_i32_e32 v1, 31, v0
	s_cbranch_scc0 .LBB221_14
; %bb.11:
	v_lshlrev_b64 v[4:5], 2, v[0:1]
	v_mov_b32_e32 v6, s13
	v_add_co_u32_e32 v4, vcc, s12, v4
	v_addc_co_u32_e32 v5, vcc, v5, v6, vcc
	s_and_b32 s4, s8, 0x7ffffffc
	v_add_co_u32_e32 v4, vcc, 8, v4
	v_mov_b32_e32 v3, v2
	v_addc_co_u32_e32 v5, vcc, 0, v5, vcc
	s_mov_b32 s0, s4
.LBB221_12:                             ; =>This Inner Loop Header: Depth=1
	global_load_dwordx4 v[6:9], v[4:5], off offset:-8
	s_add_i32 s0, s0, -4
	s_cmp_lg_u32 s0, 0
	s_waitcnt vmcnt(0)
	v_pk_mul_f32 v[6:7], v[2:3], v[6:7]
	v_pk_mul_f32 v[8:9], v[2:3], v[8:9]
	global_store_dwordx4 v[4:5], v[6:9], off offset:-8
	v_add_co_u32_e32 v4, vcc, 16, v4
	v_addc_co_u32_e32 v5, vcc, 0, v5, vcc
	s_cbranch_scc1 .LBB221_12
; %bb.13:
	s_cmp_lg_u32 s4, s8
	s_cselect_b64 s[0:1], -1, 0
	s_branch .LBB221_16
.LBB221_14:
	s_mov_b64 s[0:1], 0
                                        ; implicit-def: $sgpr4
	s_cbranch_execz .LBB221_16
; %bb.15:
	s_mov_b64 s[0:1], -1
	s_mov_b32 s4, 0
.LBB221_16:
	s_andn2_b64 vcc, exec, s[0:1]
	s_cbranch_vccnz .LBB221_19
; %bb.17:
	v_add_co_u32_e32 v0, vcc, s4, v0
	v_addc_co_u32_e32 v1, vcc, 0, v1, vcc
	v_lshlrev_b64 v[0:1], 2, v[0:1]
	v_mov_b32_e32 v3, s13
	v_add_co_u32_e32 v0, vcc, s12, v0
	s_sub_i32 s0, s8, s4
	v_addc_co_u32_e32 v1, vcc, v3, v1, vcc
.LBB221_18:                             ; =>This Inner Loop Header: Depth=1
	global_load_dword v3, v[0:1], off
	s_add_i32 s0, s0, -1
	s_cmp_lg_u32 s0, 0
	s_waitcnt vmcnt(0)
	v_mul_f32_e32 v3, v2, v3
	global_store_dword v[0:1], v3, off
	v_add_co_u32_e32 v0, vcc, 4, v0
	v_addc_co_u32_e32 v1, vcc, 0, v1, vcc
	s_cbranch_scc1 .LBB221_18
.LBB221_19:
	s_endpgm
	.section	.rodata,"a",@progbits
	.p2align	6, 0x0
	.amdhsa_kernel _ZN4vllm3moe17topkGatingSoftmaxItLi2ELi2ELi8ELi4ELb0ELi1ELNS0_23SharedExpertScoringFuncE1EEEvPKT_PKbPfiPiS9_iiiiii
		.amdhsa_group_segment_fixed_size 0
		.amdhsa_private_segment_fixed_size 0
		.amdhsa_kernarg_size 72
		.amdhsa_user_sgpr_count 6
		.amdhsa_user_sgpr_private_segment_buffer 1
		.amdhsa_user_sgpr_dispatch_ptr 0
		.amdhsa_user_sgpr_queue_ptr 0
		.amdhsa_user_sgpr_kernarg_segment_ptr 1
		.amdhsa_user_sgpr_dispatch_id 0
		.amdhsa_user_sgpr_flat_scratch_init 0
		.amdhsa_user_sgpr_kernarg_preload_length 0
		.amdhsa_user_sgpr_kernarg_preload_offset 0
		.amdhsa_user_sgpr_private_segment_size 0
		.amdhsa_uses_dynamic_stack 0
		.amdhsa_system_sgpr_private_segment_wavefront_offset 0
		.amdhsa_system_sgpr_workgroup_id_x 1
		.amdhsa_system_sgpr_workgroup_id_y 0
		.amdhsa_system_sgpr_workgroup_id_z 0
		.amdhsa_system_sgpr_workgroup_info 0
		.amdhsa_system_vgpr_workitem_id 1
		.amdhsa_next_free_vgpr 21
		.amdhsa_next_free_sgpr 24
		.amdhsa_accum_offset 24
		.amdhsa_reserve_vcc 1
		.amdhsa_reserve_flat_scratch 0
		.amdhsa_float_round_mode_32 0
		.amdhsa_float_round_mode_16_64 0
		.amdhsa_float_denorm_mode_32 3
		.amdhsa_float_denorm_mode_16_64 3
		.amdhsa_dx10_clamp 1
		.amdhsa_ieee_mode 1
		.amdhsa_fp16_overflow 0
		.amdhsa_tg_split 0
		.amdhsa_exception_fp_ieee_invalid_op 0
		.amdhsa_exception_fp_denorm_src 0
		.amdhsa_exception_fp_ieee_div_zero 0
		.amdhsa_exception_fp_ieee_overflow 0
		.amdhsa_exception_fp_ieee_underflow 0
		.amdhsa_exception_fp_ieee_inexact 0
		.amdhsa_exception_int_div_zero 0
	.end_amdhsa_kernel
	.section	.text._ZN4vllm3moe17topkGatingSoftmaxItLi2ELi2ELi8ELi4ELb0ELi1ELNS0_23SharedExpertScoringFuncE1EEEvPKT_PKbPfiPiS9_iiiiii,"axG",@progbits,_ZN4vllm3moe17topkGatingSoftmaxItLi2ELi2ELi8ELi4ELb0ELi1ELNS0_23SharedExpertScoringFuncE1EEEvPKT_PKbPfiPiS9_iiiiii,comdat
.Lfunc_end221:
	.size	_ZN4vllm3moe17topkGatingSoftmaxItLi2ELi2ELi8ELi4ELb0ELi1ELNS0_23SharedExpertScoringFuncE1EEEvPKT_PKbPfiPiS9_iiiiii, .Lfunc_end221-_ZN4vllm3moe17topkGatingSoftmaxItLi2ELi2ELi8ELi4ELb0ELi1ELNS0_23SharedExpertScoringFuncE1EEEvPKT_PKbPfiPiS9_iiiiii
                                        ; -- End function
	.section	.AMDGPU.csdata,"",@progbits
; Kernel info:
; codeLenInByte = 1584
; NumSgprs: 28
; NumVgprs: 21
; NumAgprs: 0
; TotalNumVgprs: 21
; ScratchSize: 0
; MemoryBound: 0
; FloatMode: 240
; IeeeMode: 1
; LDSByteSize: 0 bytes/workgroup (compile time only)
; SGPRBlocks: 3
; VGPRBlocks: 2
; NumSGPRsForWavesPerEU: 28
; NumVGPRsForWavesPerEU: 21
; AccumOffset: 24
; Occupancy: 8
; WaveLimiterHint : 0
; COMPUTE_PGM_RSRC2:SCRATCH_EN: 0
; COMPUTE_PGM_RSRC2:USER_SGPR: 6
; COMPUTE_PGM_RSRC2:TRAP_HANDLER: 0
; COMPUTE_PGM_RSRC2:TGID_X_EN: 1
; COMPUTE_PGM_RSRC2:TGID_Y_EN: 0
; COMPUTE_PGM_RSRC2:TGID_Z_EN: 0
; COMPUTE_PGM_RSRC2:TIDIG_COMP_CNT: 1
; COMPUTE_PGM_RSRC3_GFX90A:ACCUM_OFFSET: 5
; COMPUTE_PGM_RSRC3_GFX90A:TG_SPLIT: 0
	.section	.text._ZN4vllm3moe17topkGatingSoftmaxItLi2ELi2ELi8ELi4ELb1ELi2ELNS0_23SharedExpertScoringFuncE1EEEvPKT_PKbPfiPiS9_iiiiii,"axG",@progbits,_ZN4vllm3moe17topkGatingSoftmaxItLi2ELi2ELi8ELi4ELb1ELi2ELNS0_23SharedExpertScoringFuncE1EEEvPKT_PKbPfiPiS9_iiiiii,comdat
	.protected	_ZN4vllm3moe17topkGatingSoftmaxItLi2ELi2ELi8ELi4ELb1ELi2ELNS0_23SharedExpertScoringFuncE1EEEvPKT_PKbPfiPiS9_iiiiii ; -- Begin function _ZN4vllm3moe17topkGatingSoftmaxItLi2ELi2ELi8ELi4ELb1ELi2ELNS0_23SharedExpertScoringFuncE1EEEvPKT_PKbPfiPiS9_iiiiii
	.globl	_ZN4vllm3moe17topkGatingSoftmaxItLi2ELi2ELi8ELi4ELb1ELi2ELNS0_23SharedExpertScoringFuncE1EEEvPKT_PKbPfiPiS9_iiiiii
	.p2align	8
	.type	_ZN4vllm3moe17topkGatingSoftmaxItLi2ELi2ELi8ELi4ELb1ELi2ELNS0_23SharedExpertScoringFuncE1EEEvPKT_PKbPfiPiS9_iiiiii,@function
_ZN4vllm3moe17topkGatingSoftmaxItLi2ELi2ELi8ELi4ELb1ELi2ELNS0_23SharedExpertScoringFuncE1EEEvPKT_PKbPfiPiS9_iiiiii: ; @_ZN4vllm3moe17topkGatingSoftmaxItLi2ELi2ELi8ELi4ELb1ELi2ELNS0_23SharedExpertScoringFuncE1EEEvPKT_PKbPfiPiS9_iiiiii
; %bb.0:
	s_load_dword s18, s[4:5], 0x18
	v_bfe_u32 v1, v0, 10, 10
	s_lshl_b32 s19, s6, 9
	v_lshlrev_b32_e32 v11, 6, v1
	v_and_b32_e32 v12, 0x3ff, v0
	v_add3_u32 v13, v11, v12, s19
	s_waitcnt lgkmcnt(0)
	v_cmp_gt_i32_e32 vcc, s18, v13
	s_and_saveexec_b64 s[0:1], vcc
	s_cbranch_execz .LBB222_19
; %bb.1:
	s_load_dwordx4 s[0:3], s[4:5], 0x0
	s_load_dwordx2 s[12:13], s[4:5], 0x10
	s_waitcnt lgkmcnt(0)
	s_cmp_eq_u64 s[2:3], 0
	s_cbranch_scc1 .LBB222_3
; %bb.2:
	v_ashrrev_i32_e32 v1, 31, v13
	v_mov_b32_e32 v2, s3
	v_add_co_u32_e32 v0, vcc, s2, v13
	v_addc_co_u32_e32 v1, vcc, v2, v1, vcc
	global_load_ubyte v0, v[0:1], off
	s_waitcnt vmcnt(0)
	v_and_b32_e32 v0, 1, v0
	v_cmp_eq_u32_e32 vcc, 1, v0
	s_xor_b64 s[2:3], vcc, -1
	s_orn2_b64 s[14:15], s[2:3], exec
	s_branch .LBB222_4
.LBB222_3:
	s_mov_b64 s[14:15], -1
.LBB222_4:
	s_load_dwordx2 s[2:3], s[4:5], 0x40
	s_load_dwordx4 s[8:11], s[4:5], 0x30
	v_mov_b32_e32 v2, s1
	v_mov_b32_e32 v6, s13
	s_mov_b32 s1, 0x42ce8ed0
	s_waitcnt lgkmcnt(0)
	v_mul_lo_u32 v0, v13, s3
	v_ashrrev_i32_e32 v1, 31, v0
	v_lshlrev_b64 v[0:1], 1, v[0:1]
	v_add_co_u32_e32 v0, vcc, s0, v0
	v_addc_co_u32_e32 v1, vcc, v2, v1, vcc
	global_load_dwordx2 v[2:3], v[0:1], off
	s_mov_b32 s0, 0xbfb8aa3b
	v_mul_lo_u32 v0, v13, s11
	v_add_u32_e32 v4, s8, v0
	v_ashrrev_i32_e32 v5, 31, v4
	v_lshlrev_b64 v[4:5], 2, v[4:5]
	v_add_co_u32_e32 v4, vcc, s12, v4
	v_addc_co_u32_e32 v5, vcc, v6, v5, vcc
	s_mov_b32 s3, 0xc2b17218
	v_mov_b32_e32 v1, 0x7f800000
	s_cmp_gt_i32 s8, 0
	v_mov_b32_e32 v10, 0
	s_cselect_b64 s[16:17], -1, 0
	s_cmp_lt_i32 s8, 1
	s_waitcnt vmcnt(0)
	v_cvt_f32_u32_sdwa v7, v3 dst_sel:DWORD dst_unused:UNUSED_PAD src0_sel:WORD_1
	v_cvt_f32_u32_sdwa v3, v3 dst_sel:DWORD dst_unused:UNUSED_PAD src0_sel:WORD_0
	v_mul_f32_e32 v8, 0xbfb8aa3b, v7
	v_mul_f32_e32 v9, 0xbfb8aa3b, v3
	v_fma_f32 v14, v7, s0, -v8
	v_rndne_f32_e32 v15, v8
	v_fma_f32 v16, v3, s0, -v9
	v_rndne_f32_e32 v17, v9
	v_fmac_f32_e32 v14, 0xb2a5705f, v7
	v_sub_f32_e32 v8, v8, v15
	v_fmac_f32_e32 v16, 0xb2a5705f, v3
	v_sub_f32_e32 v9, v9, v17
	v_add_f32_e32 v8, v8, v14
	v_cvt_i32_f32_e32 v15, v15
	v_add_f32_e32 v9, v9, v16
	v_exp_f32_e32 v8, v8
	v_cvt_i32_f32_e32 v17, v17
	v_exp_f32_e32 v9, v9
	v_cmp_nlt_f32_e32 vcc, s1, v7
	v_ldexp_f32 v6, v8, v15
	v_cndmask_b32_e32 v6, 0, v6, vcc
	v_ldexp_f32 v8, v9, v17
	v_cmp_nlt_f32_e32 vcc, s1, v3
	v_cndmask_b32_e32 v8, 0, v8, vcc
	v_cmp_ngt_f32_e32 vcc, s3, v7
	v_cndmask_b32_e32 v7, v1, v6, vcc
	v_cmp_ngt_f32_e32 vcc, s3, v3
	v_cndmask_b32_e32 v6, v1, v8, vcc
	v_pk_add_f32 v[6:7], v[6:7], 1.0 op_sel_hi:[1,0]
	v_div_scale_f32 v3, s[0:1], v7, v7, 1.0
	v_div_scale_f32 v9, s[0:1], v6, v6, 1.0
	v_rcp_f32_e32 v14, v3
	v_rcp_f32_e32 v15, v9
	v_div_scale_f32 v8, vcc, 1.0, v7, 1.0
	v_fma_f32 v17, -v3, v14, 1.0
	v_fma_f32 v18, -v9, v15, 1.0
	v_fmac_f32_e32 v14, v17, v14
	v_div_scale_f32 v16, s[0:1], 1.0, v6, 1.0
	v_fmac_f32_e32 v15, v18, v15
	v_mul_f32_e32 v17, v8, v14
	v_mul_f32_e32 v18, v16, v15
	v_fma_f32 v19, -v3, v17, v8
	v_fma_f32 v20, -v9, v18, v16
	v_fmac_f32_e32 v17, v19, v14
	v_fmac_f32_e32 v18, v20, v15
	v_fma_f32 v3, -v3, v17, v8
	v_fma_f32 v8, -v9, v18, v16
	v_div_fmas_f32 v3, v3, v14, v17
	s_mov_b64 vcc, s[0:1]
	v_div_fixup_f32 v7, v3, v7, 1.0
	v_div_fmas_f32 v3, v8, v15, v18
	v_div_fixup_f32 v6, v3, v6, 1.0
	global_store_dwordx2 v[4:5], v[6:7], off
	s_cbranch_scc1 .LBB222_8
; %bb.5:
	v_cvt_f32_u32_sdwa v15, v2 dst_sel:DWORD dst_unused:UNUSED_PAD src0_sel:WORD_1
	v_cvt_f32_u32_sdwa v16, v2 dst_sel:DWORD dst_unused:UNUSED_PAD src0_sel:WORD_0
	s_mov_b32 s11, 0x3fb8aa3b
	v_mul_lo_u32 v4, v13, s2
	s_mov_b32 s20, 0xc2ce8ed0
	v_cmp_lt_f32_e32 vcc, v16, v15
	v_cndmask_b32_e32 v14, v16, v15, vcc
	v_sub_f32_e32 v2, v14, v14
	v_mul_f32_e32 v3, 0x3fb8aa3b, v2
	v_fma_f32 v5, v2, s11, -v3
	v_rndne_f32_e32 v6, v3
	v_fmac_f32_e32 v5, 0x32a5705f, v2
	v_sub_f32_e32 v3, v3, v6
	v_add_f32_e32 v3, v3, v5
	v_exp_f32_e32 v3, v3
	v_cvt_i32_f32_e32 v5, v6
	v_cndmask_b32_e64 v17, 0, 1, vcc
	v_cmp_le_i32_e64 s[0:1], s9, v17
	v_cmp_gt_i32_e64 s[2:3], s10, v17
	s_and_b64 s[22:23], s[0:1], s[2:3]
	v_ldexp_f32 v3, v3, v5
	v_cmp_ngt_f32_e64 s[0:1], s20, v2
	s_mov_b32 s21, 0x42b17218
	v_cndmask_b32_e64 v3, 0, v3, s[0:1]
	v_cmp_nlt_f32_e64 s[0:1], s21, v2
	s_load_dwordx4 s[4:7], s[4:5], 0x20
	v_cndmask_b32_e64 v10, v1, v3, s[0:1]
	v_ashrrev_i32_e32 v1, 31, v0
	v_lshlrev_b64 v[2:3], 2, v[0:1]
	v_mov_b32_e32 v1, s13
	v_add_co_u32_e64 v8, s[0:1], s12, v2
	v_addc_co_u32_e64 v9, s[2:3], v1, v3, s[0:1]
	v_ashrrev_i32_e32 v5, 31, v4
	v_subrev_u32_e32 v1, s9, v17
	s_and_b64 s[2:3], s[14:15], s[22:23]
	v_lshlrev_b64 v[6:7], 2, v[4:5]
	v_mul_lo_u32 v18, v13, s8
	v_cndmask_b32_e64 v1, 2, v1, s[2:3]
	s_waitcnt lgkmcnt(0)
	v_mov_b32_e32 v2, s5
	v_add_co_u32_e64 v4, s[2:3], s4, v6
	v_addc_co_u32_e64 v5, s[2:3], v2, v7, s[2:3]
	v_ashrrev_i32_e32 v19, 31, v18
	global_store_dword v[4:5], v1, off
	v_lshlrev_b64 v[4:5], 2, v[18:19]
	v_mov_b32_e32 v1, s7
	v_add_co_u32_e64 v18, s[2:3], s6, v4
	v_addc_co_u32_e64 v19, s[2:3], v1, v5, s[2:3]
	s_cmp_eq_u32 s8, 1
	global_store_dword v[8:9], v10, off
	global_store_dword v[18:19], v13, off
	s_cbranch_scc1 .LBB222_8
; %bb.6:
	v_mov_b32_e32 v13, 0xff800000
	v_cndmask_b32_e32 v2, v13, v16, vcc
	v_cmp_ne_u32_e32 vcc, 1, v17
	v_cndmask_b32_e32 v1, v13, v15, vcc
	v_mov_b32_e32 v9, s7
	v_add_co_u32_e32 v4, vcc, s6, v4
	v_addc_co_u32_e32 v5, vcc, v5, v9, vcc
	v_add_co_u32_e32 v4, vcc, 4, v4
	v_addc_co_u32_e32 v5, vcc, 0, v5, vcc
	v_mov_b32_e32 v9, s5
	v_add_co_u32_e32 v6, vcc, s4, v6
	v_addc_co_u32_e32 v7, vcc, v7, v9, vcc
	v_add_co_u32_e32 v6, vcc, 4, v6
	v_mov_b32_e32 v9, s13
	v_addc_co_u32_e32 v7, vcc, 0, v7, vcc
	v_addc_co_u32_e64 v3, vcc, v3, v9, s[0:1]
	v_add_co_u32_e32 v8, vcc, 4, v8
	s_add_i32 s19, s19, s18
	v_addc_co_u32_e32 v9, vcc, 0, v3, vcc
	s_add_i32 s2, s8, -1
	v_add3_u32 v3, s19, v12, v11
	v_mov_b32_e32 v11, 0x7f800000
.LBB222_7:                              ; =>This Inner Loop Header: Depth=1
	v_cmp_gt_f32_e32 vcc, v1, v2
	v_cndmask_b32_e32 v12, v2, v1, vcc
	v_cndmask_b32_e64 v15, 0, 1, vcc
	v_sub_f32_e32 v12, v12, v14
	v_cndmask_b32_e32 v1, v1, v13, vcc
	v_cndmask_b32_e32 v2, v13, v2, vcc
	v_cmp_le_i32_e32 vcc, s9, v15
	v_cmp_gt_i32_e64 s[0:1], s10, v15
	v_mul_f32_e32 v16, 0x3fb8aa3b, v12
	s_and_b64 s[0:1], vcc, s[0:1]
	v_fma_f32 v17, v12, s11, -v16
	v_rndne_f32_e32 v18, v16
	v_subrev_u32_e32 v15, s9, v15
	v_fmac_f32_e32 v17, 0x32a5705f, v12
	v_sub_f32_e32 v16, v16, v18
	s_and_b64 vcc, s[14:15], s[0:1]
	v_cndmask_b32_e32 v15, 2, v15, vcc
	v_add_f32_e32 v16, v16, v17
	v_cvt_i32_f32_e32 v18, v18
	global_store_dword v[6:7], v15, off
	global_store_dword v[4:5], v3, off
	v_add_co_u32_e32 v4, vcc, 4, v4
	v_exp_f32_e32 v15, v16
	v_addc_co_u32_e32 v5, vcc, 0, v5, vcc
	v_add_co_u32_e32 v6, vcc, 4, v6
	v_addc_co_u32_e32 v7, vcc, 0, v7, vcc
	v_ldexp_f32 v15, v15, v18
	v_cmp_ngt_f32_e32 vcc, s20, v12
	v_cndmask_b32_e32 v15, 0, v15, vcc
	v_cmp_nlt_f32_e32 vcc, s21, v12
	v_cndmask_b32_e32 v12, v11, v15, vcc
	s_add_i32 s2, s2, -1
	global_store_dword v[8:9], v12, off
	v_add_co_u32_e32 v8, vcc, 4, v8
	v_add_u32_e32 v3, s18, v3
	s_cmp_eq_u32 s2, 0
	v_add_f32_e32 v10, v10, v12
	v_addc_co_u32_e32 v9, vcc, 0, v9, vcc
	s_cbranch_scc0 .LBB222_7
.LBB222_8:
	v_cmp_neq_f32_e32 vcc, 0, v10
	s_and_b64 exec, exec, vcc
	s_cbranch_execz .LBB222_19
; %bb.9:
	s_andn2_b64 vcc, exec, s[16:17]
	s_cbranch_vccnz .LBB222_19
; %bb.10:
	v_div_scale_f32 v1, s[0:1], v10, v10, 1.0
	v_rcp_f32_e32 v2, v1
	v_div_scale_f32 v3, vcc, 1.0, v10, 1.0
	s_cmp_gt_u32 s8, 3
	v_fma_f32 v4, -v1, v2, 1.0
	v_fmac_f32_e32 v2, v4, v2
	v_mul_f32_e32 v4, v3, v2
	v_fma_f32 v5, -v1, v4, v3
	v_fmac_f32_e32 v4, v5, v2
	v_fma_f32 v1, -v1, v4, v3
	v_div_fmas_f32 v1, v1, v2, v4
	v_div_fixup_f32 v2, v1, v10, 1.0
	v_ashrrev_i32_e32 v1, 31, v0
	s_cbranch_scc0 .LBB222_14
; %bb.11:
	v_lshlrev_b64 v[4:5], 2, v[0:1]
	v_mov_b32_e32 v6, s13
	v_add_co_u32_e32 v4, vcc, s12, v4
	v_addc_co_u32_e32 v5, vcc, v5, v6, vcc
	s_and_b32 s4, s8, 0x7ffffffc
	v_add_co_u32_e32 v4, vcc, 8, v4
	v_mov_b32_e32 v3, v2
	v_addc_co_u32_e32 v5, vcc, 0, v5, vcc
	s_mov_b32 s0, s4
.LBB222_12:                             ; =>This Inner Loop Header: Depth=1
	global_load_dwordx4 v[6:9], v[4:5], off offset:-8
	s_add_i32 s0, s0, -4
	s_cmp_lg_u32 s0, 0
	s_waitcnt vmcnt(0)
	v_pk_mul_f32 v[6:7], v[2:3], v[6:7]
	v_pk_mul_f32 v[8:9], v[2:3], v[8:9]
	global_store_dwordx4 v[4:5], v[6:9], off offset:-8
	v_add_co_u32_e32 v4, vcc, 16, v4
	v_addc_co_u32_e32 v5, vcc, 0, v5, vcc
	s_cbranch_scc1 .LBB222_12
; %bb.13:
	s_cmp_lg_u32 s4, s8
	s_cselect_b64 s[0:1], -1, 0
	s_branch .LBB222_16
.LBB222_14:
	s_mov_b64 s[0:1], 0
                                        ; implicit-def: $sgpr4
	s_cbranch_execz .LBB222_16
; %bb.15:
	s_mov_b64 s[0:1], -1
	s_mov_b32 s4, 0
.LBB222_16:
	s_andn2_b64 vcc, exec, s[0:1]
	s_cbranch_vccnz .LBB222_19
; %bb.17:
	v_add_co_u32_e32 v0, vcc, s4, v0
	v_addc_co_u32_e32 v1, vcc, 0, v1, vcc
	v_lshlrev_b64 v[0:1], 2, v[0:1]
	v_mov_b32_e32 v3, s13
	v_add_co_u32_e32 v0, vcc, s12, v0
	s_sub_i32 s0, s8, s4
	v_addc_co_u32_e32 v1, vcc, v3, v1, vcc
.LBB222_18:                             ; =>This Inner Loop Header: Depth=1
	global_load_dword v3, v[0:1], off
	s_add_i32 s0, s0, -1
	s_cmp_lg_u32 s0, 0
	s_waitcnt vmcnt(0)
	v_mul_f32_e32 v3, v2, v3
	global_store_dword v[0:1], v3, off
	v_add_co_u32_e32 v0, vcc, 4, v0
	v_addc_co_u32_e32 v1, vcc, 0, v1, vcc
	s_cbranch_scc1 .LBB222_18
.LBB222_19:
	s_endpgm
	.section	.rodata,"a",@progbits
	.p2align	6, 0x0
	.amdhsa_kernel _ZN4vllm3moe17topkGatingSoftmaxItLi2ELi2ELi8ELi4ELb1ELi2ELNS0_23SharedExpertScoringFuncE1EEEvPKT_PKbPfiPiS9_iiiiii
		.amdhsa_group_segment_fixed_size 0
		.amdhsa_private_segment_fixed_size 0
		.amdhsa_kernarg_size 72
		.amdhsa_user_sgpr_count 6
		.amdhsa_user_sgpr_private_segment_buffer 1
		.amdhsa_user_sgpr_dispatch_ptr 0
		.amdhsa_user_sgpr_queue_ptr 0
		.amdhsa_user_sgpr_kernarg_segment_ptr 1
		.amdhsa_user_sgpr_dispatch_id 0
		.amdhsa_user_sgpr_flat_scratch_init 0
		.amdhsa_user_sgpr_kernarg_preload_length 0
		.amdhsa_user_sgpr_kernarg_preload_offset 0
		.amdhsa_user_sgpr_private_segment_size 0
		.amdhsa_uses_dynamic_stack 0
		.amdhsa_system_sgpr_private_segment_wavefront_offset 0
		.amdhsa_system_sgpr_workgroup_id_x 1
		.amdhsa_system_sgpr_workgroup_id_y 0
		.amdhsa_system_sgpr_workgroup_id_z 0
		.amdhsa_system_sgpr_workgroup_info 0
		.amdhsa_system_vgpr_workitem_id 1
		.amdhsa_next_free_vgpr 21
		.amdhsa_next_free_sgpr 24
		.amdhsa_accum_offset 24
		.amdhsa_reserve_vcc 1
		.amdhsa_reserve_flat_scratch 0
		.amdhsa_float_round_mode_32 0
		.amdhsa_float_round_mode_16_64 0
		.amdhsa_float_denorm_mode_32 3
		.amdhsa_float_denorm_mode_16_64 3
		.amdhsa_dx10_clamp 1
		.amdhsa_ieee_mode 1
		.amdhsa_fp16_overflow 0
		.amdhsa_tg_split 0
		.amdhsa_exception_fp_ieee_invalid_op 0
		.amdhsa_exception_fp_denorm_src 0
		.amdhsa_exception_fp_ieee_div_zero 0
		.amdhsa_exception_fp_ieee_overflow 0
		.amdhsa_exception_fp_ieee_underflow 0
		.amdhsa_exception_fp_ieee_inexact 0
		.amdhsa_exception_int_div_zero 0
	.end_amdhsa_kernel
	.section	.text._ZN4vllm3moe17topkGatingSoftmaxItLi2ELi2ELi8ELi4ELb1ELi2ELNS0_23SharedExpertScoringFuncE1EEEvPKT_PKbPfiPiS9_iiiiii,"axG",@progbits,_ZN4vllm3moe17topkGatingSoftmaxItLi2ELi2ELi8ELi4ELb1ELi2ELNS0_23SharedExpertScoringFuncE1EEEvPKT_PKbPfiPiS9_iiiiii,comdat
.Lfunc_end222:
	.size	_ZN4vllm3moe17topkGatingSoftmaxItLi2ELi2ELi8ELi4ELb1ELi2ELNS0_23SharedExpertScoringFuncE1EEEvPKT_PKbPfiPiS9_iiiiii, .Lfunc_end222-_ZN4vllm3moe17topkGatingSoftmaxItLi2ELi2ELi8ELi4ELb1ELi2ELNS0_23SharedExpertScoringFuncE1EEEvPKT_PKbPfiPiS9_iiiiii
                                        ; -- End function
	.section	.AMDGPU.csdata,"",@progbits
; Kernel info:
; codeLenInByte = 1556
; NumSgprs: 28
; NumVgprs: 21
; NumAgprs: 0
; TotalNumVgprs: 21
; ScratchSize: 0
; MemoryBound: 0
; FloatMode: 240
; IeeeMode: 1
; LDSByteSize: 0 bytes/workgroup (compile time only)
; SGPRBlocks: 3
; VGPRBlocks: 2
; NumSGPRsForWavesPerEU: 28
; NumVGPRsForWavesPerEU: 21
; AccumOffset: 24
; Occupancy: 8
; WaveLimiterHint : 0
; COMPUTE_PGM_RSRC2:SCRATCH_EN: 0
; COMPUTE_PGM_RSRC2:USER_SGPR: 6
; COMPUTE_PGM_RSRC2:TRAP_HANDLER: 0
; COMPUTE_PGM_RSRC2:TGID_X_EN: 1
; COMPUTE_PGM_RSRC2:TGID_Y_EN: 0
; COMPUTE_PGM_RSRC2:TGID_Z_EN: 0
; COMPUTE_PGM_RSRC2:TIDIG_COMP_CNT: 1
; COMPUTE_PGM_RSRC3_GFX90A:ACCUM_OFFSET: 5
; COMPUTE_PGM_RSRC3_GFX90A:TG_SPLIT: 0
	.section	.text._ZN4vllm3moe17topkGatingSoftmaxItLi2ELi2ELi8ELi4ELb0ELi2ELNS0_23SharedExpertScoringFuncE1EEEvPKT_PKbPfiPiS9_iiiiii,"axG",@progbits,_ZN4vllm3moe17topkGatingSoftmaxItLi2ELi2ELi8ELi4ELb0ELi2ELNS0_23SharedExpertScoringFuncE1EEEvPKT_PKbPfiPiS9_iiiiii,comdat
	.protected	_ZN4vllm3moe17topkGatingSoftmaxItLi2ELi2ELi8ELi4ELb0ELi2ELNS0_23SharedExpertScoringFuncE1EEEvPKT_PKbPfiPiS9_iiiiii ; -- Begin function _ZN4vllm3moe17topkGatingSoftmaxItLi2ELi2ELi8ELi4ELb0ELi2ELNS0_23SharedExpertScoringFuncE1EEEvPKT_PKbPfiPiS9_iiiiii
	.globl	_ZN4vllm3moe17topkGatingSoftmaxItLi2ELi2ELi8ELi4ELb0ELi2ELNS0_23SharedExpertScoringFuncE1EEEvPKT_PKbPfiPiS9_iiiiii
	.p2align	8
	.type	_ZN4vllm3moe17topkGatingSoftmaxItLi2ELi2ELi8ELi4ELb0ELi2ELNS0_23SharedExpertScoringFuncE1EEEvPKT_PKbPfiPiS9_iiiiii,@function
_ZN4vllm3moe17topkGatingSoftmaxItLi2ELi2ELi8ELi4ELb0ELi2ELNS0_23SharedExpertScoringFuncE1EEEvPKT_PKbPfiPiS9_iiiiii: ; @_ZN4vllm3moe17topkGatingSoftmaxItLi2ELi2ELi8ELi4ELb0ELi2ELNS0_23SharedExpertScoringFuncE1EEEvPKT_PKbPfiPiS9_iiiiii
; %bb.0:
	s_load_dword s18, s[4:5], 0x18
	v_bfe_u32 v1, v0, 10, 10
	s_lshl_b32 s19, s6, 9
	v_lshlrev_b32_e32 v15, 6, v1
	v_and_b32_e32 v16, 0x3ff, v0
	v_add3_u32 v17, v15, v16, s19
	s_waitcnt lgkmcnt(0)
	v_cmp_gt_i32_e32 vcc, s18, v17
	s_and_saveexec_b64 s[0:1], vcc
	s_cbranch_execz .LBB223_19
; %bb.1:
	s_load_dwordx4 s[0:3], s[4:5], 0x0
	s_load_dwordx2 s[12:13], s[4:5], 0x10
	s_waitcnt lgkmcnt(0)
	s_cmp_eq_u64 s[2:3], 0
	s_cbranch_scc1 .LBB223_3
; %bb.2:
	v_ashrrev_i32_e32 v1, 31, v17
	v_mov_b32_e32 v2, s3
	v_add_co_u32_e32 v0, vcc, s2, v17
	v_addc_co_u32_e32 v1, vcc, v2, v1, vcc
	global_load_ubyte v0, v[0:1], off
	s_waitcnt vmcnt(0)
	v_and_b32_e32 v0, 1, v0
	v_cmp_eq_u32_e32 vcc, 1, v0
	s_xor_b64 s[2:3], vcc, -1
	s_orn2_b64 s[14:15], s[2:3], exec
	s_branch .LBB223_4
.LBB223_3:
	s_mov_b64 s[14:15], -1
.LBB223_4:
	s_load_dwordx2 s[2:3], s[4:5], 0x40
	s_load_dwordx4 s[8:11], s[4:5], 0x30
	v_mov_b32_e32 v2, s1
	s_mov_b32 s1, 0x42ce8ed0
	v_mov_b32_e32 v5, 0x7f800000
	s_waitcnt lgkmcnt(0)
	v_mul_lo_u32 v0, v17, s3
	v_ashrrev_i32_e32 v1, 31, v0
	v_lshlrev_b64 v[0:1], 1, v[0:1]
	v_add_co_u32_e32 v0, vcc, s0, v0
	v_addc_co_u32_e32 v1, vcc, v2, v1, vcc
	global_load_dwordx2 v[2:3], v[0:1], off
	v_mul_lo_u32 v0, v17, s11
	v_add_u32_e32 v6, s8, v0
	v_ashrrev_i32_e32 v7, 31, v6
	v_lshlrev_b64 v[6:7], 2, v[6:7]
	v_mov_b32_e32 v1, s13
	v_add_co_u32_e32 v6, vcc, s12, v6
	s_mov_b32 s0, 0xbfb8aa3b
	v_addc_co_u32_e32 v7, vcc, v1, v7, vcc
	s_mov_b32 s3, 0xc2b17218
	s_cmp_gt_i32 s8, 0
	v_mov_b32_e32 v14, 0
	s_cselect_b64 s[16:17], -1, 0
	s_cmp_lt_i32 s8, 1
	s_waitcnt vmcnt(0)
	v_cvt_f32_u32_sdwa v8, v3 dst_sel:DWORD dst_unused:UNUSED_PAD src0_sel:WORD_1
	v_cvt_f32_u32_sdwa v4, v3 dst_sel:DWORD dst_unused:UNUSED_PAD src0_sel:WORD_0
	v_mul_f32_e32 v1, 0xbfb8aa3b, v8
	v_mul_f32_e32 v3, 0xbfb8aa3b, v4
	v_fma_f32 v9, v8, s0, -v1
	v_rndne_f32_e32 v10, v1
	v_fma_f32 v11, v4, s0, -v3
	v_rndne_f32_e32 v12, v3
	v_fmac_f32_e32 v9, 0xb2a5705f, v8
	v_sub_f32_e32 v1, v1, v10
	v_fmac_f32_e32 v11, 0xb2a5705f, v4
	v_sub_f32_e32 v3, v3, v12
	v_add_f32_e32 v1, v1, v9
	v_cvt_i32_f32_e32 v10, v10
	v_add_f32_e32 v3, v3, v11
	v_exp_f32_e32 v1, v1
	v_cvt_i32_f32_e32 v12, v12
	v_exp_f32_e32 v9, v3
	v_cmp_nlt_f32_e32 vcc, s1, v8
	v_ldexp_f32 v1, v1, v10
	v_cndmask_b32_e32 v1, 0, v1, vcc
	v_ldexp_f32 v9, v9, v12
	v_cmp_nlt_f32_e32 vcc, s1, v4
	v_cndmask_b32_e32 v10, 0, v9, vcc
	v_cmp_ngt_f32_e32 vcc, s3, v8
	v_cndmask_b32_e32 v9, v5, v1, vcc
	v_cmp_ngt_f32_e32 vcc, s3, v4
	v_cndmask_b32_e32 v8, v5, v10, vcc
	v_pk_add_f32 v[8:9], v[8:9], 1.0 op_sel_hi:[1,0]
	v_div_scale_f32 v1, s[0:1], v9, v9, 1.0
	v_div_scale_f32 v10, s[0:1], v8, v8, 1.0
	v_rcp_f32_e32 v11, v1
	v_rcp_f32_e32 v12, v10
	v_div_scale_f32 v4, vcc, 1.0, v9, 1.0
	v_fma_f32 v18, -v1, v11, 1.0
	v_fma_f32 v19, -v10, v12, 1.0
	v_fmac_f32_e32 v11, v18, v11
	v_div_scale_f32 v13, s[0:1], 1.0, v8, 1.0
	v_fmac_f32_e32 v12, v19, v12
	v_mul_f32_e32 v18, v4, v11
	v_cvt_f32_u32_sdwa v3, v2 dst_sel:DWORD dst_unused:UNUSED_PAD src0_sel:WORD_1
	v_cvt_f32_u32_sdwa v2, v2 dst_sel:DWORD dst_unused:UNUSED_PAD src0_sel:WORD_0
	v_mul_f32_e32 v19, v13, v12
	v_fma_f32 v20, -v1, v18, v4
	v_fma_f32 v21, -v10, v19, v13
	v_fmac_f32_e32 v18, v20, v11
	v_fmac_f32_e32 v19, v21, v12
	v_fma_f32 v1, -v1, v18, v4
	v_fma_f32 v4, -v10, v19, v13
	v_div_fmas_f32 v1, v1, v11, v18
	s_mov_b64 vcc, s[0:1]
	v_div_fixup_f32 v9, v1, v9, 1.0
	v_div_fmas_f32 v1, v4, v12, v19
	v_cmp_lt_f32_e32 vcc, v2, v3
	v_div_fixup_f32 v8, v1, v8, 1.0
	v_cndmask_b32_e32 v4, v2, v3, vcc
	global_store_dwordx2 v[6:7], v[8:9], off
	s_cbranch_scc1 .LBB223_8
; %bb.5:
	v_sub_f32_e32 v1, v4, v4
	v_mul_f32_e32 v7, 0x3fb8aa3b, v1
	s_mov_b32 s11, 0x3fb8aa3b
	v_rndne_f32_e32 v8, v7
	v_sub_f32_e32 v9, v7, v8
	v_fma_f32 v7, v1, s11, -v7
	v_fmac_f32_e32 v7, 0x32a5705f, v1
	v_add_f32_e32 v7, v9, v7
	v_exp_f32_e32 v7, v7
	v_cvt_i32_f32_e32 v8, v8
	v_cndmask_b32_e64 v20, 0, 1, vcc
	v_mul_lo_u32 v6, v17, s2
	v_cmp_le_i32_e64 s[0:1], s9, v20
	v_cmp_gt_i32_e64 s[2:3], s10, v20
	s_mov_b32 s20, 0xc2ce8ed0
	s_and_b64 s[22:23], s[0:1], s[2:3]
	v_ldexp_f32 v7, v7, v8
	v_cmp_ngt_f32_e64 s[0:1], s20, v1
	s_mov_b32 s21, 0x42b17218
	s_load_dwordx4 s[4:7], s[4:5], 0x20
	v_cndmask_b32_e64 v7, 0, v7, s[0:1]
	v_cmp_nlt_f32_e64 s[0:1], s21, v1
	v_ashrrev_i32_e32 v1, 31, v0
	v_lshlrev_b64 v[10:11], 2, v[0:1]
	v_cndmask_b32_e64 v14, v5, v7, s[0:1]
	v_mov_b32_e32 v1, s13
	v_add_co_u32_e64 v12, s[0:1], s12, v10
	v_addc_co_u32_e64 v13, s[2:3], v1, v11, s[0:1]
	v_ashrrev_i32_e32 v7, 31, v6
	v_subrev_u32_e32 v1, s9, v20
	s_and_b64 s[2:3], s[14:15], s[22:23]
	v_lshlrev_b64 v[8:9], 2, v[6:7]
	v_mul_lo_u32 v18, v17, s8
	v_cndmask_b32_e64 v1, 2, v1, s[2:3]
	s_waitcnt lgkmcnt(0)
	v_mov_b32_e32 v7, s5
	v_add_co_u32_e64 v6, s[2:3], s4, v8
	v_addc_co_u32_e64 v7, s[2:3], v7, v9, s[2:3]
	v_ashrrev_i32_e32 v19, 31, v18
	global_store_dword v[6:7], v1, off
	v_lshlrev_b64 v[6:7], 2, v[18:19]
	v_mov_b32_e32 v1, s7
	v_add_co_u32_e64 v18, s[2:3], s6, v6
	v_addc_co_u32_e64 v19, s[2:3], v1, v7, s[2:3]
	v_mov_b32_e32 v1, 0xff800000
	v_cndmask_b32_e32 v2, v1, v2, vcc
	v_cmp_ne_u32_e32 vcc, 1, v20
	s_cmp_eq_u32 s8, 1
	v_cndmask_b32_e32 v3, v1, v3, vcc
	global_store_dword v[12:13], v14, off
	global_store_dword v[18:19], v17, off
	s_cbranch_scc1 .LBB223_8
; %bb.6:
	v_mov_b32_e32 v10, s7
	v_add_co_u32_e32 v6, vcc, s6, v6
	v_addc_co_u32_e32 v7, vcc, v7, v10, vcc
	v_add_co_u32_e32 v6, vcc, 4, v6
	v_addc_co_u32_e32 v7, vcc, 0, v7, vcc
	v_mov_b32_e32 v10, s5
	v_add_co_u32_e32 v8, vcc, s4, v8
	v_addc_co_u32_e32 v9, vcc, v9, v10, vcc
	v_add_co_u32_e32 v8, vcc, 4, v8
	v_mov_b32_e32 v10, s13
	v_addc_co_u32_e32 v9, vcc, 0, v9, vcc
	v_addc_co_u32_e64 v11, vcc, v11, v10, s[0:1]
	v_add_co_u32_e32 v10, vcc, 4, v12
	s_add_i32 s19, s19, s18
	v_addc_co_u32_e32 v11, vcc, 0, v11, vcc
	s_add_i32 s2, s8, -1
	v_add3_u32 v12, s19, v16, v15
	v_mov_b32_e32 v13, 0x7f800000
.LBB223_7:                              ; =>This Inner Loop Header: Depth=1
	v_cmp_gt_f32_e32 vcc, v3, v2
	v_cndmask_b32_e32 v15, v2, v3, vcc
	v_cndmask_b32_e64 v16, 0, 1, vcc
	v_sub_f32_e32 v15, v15, v4
	v_cndmask_b32_e32 v3, v3, v1, vcc
	v_cndmask_b32_e32 v2, v1, v2, vcc
	v_cmp_le_i32_e32 vcc, s9, v16
	v_cmp_gt_i32_e64 s[0:1], s10, v16
	v_mul_f32_e32 v17, 0x3fb8aa3b, v15
	s_and_b64 s[0:1], vcc, s[0:1]
	v_fma_f32 v18, v15, s11, -v17
	v_rndne_f32_e32 v19, v17
	v_subrev_u32_e32 v16, s9, v16
	v_fmac_f32_e32 v18, 0x32a5705f, v15
	v_sub_f32_e32 v17, v17, v19
	s_and_b64 vcc, s[14:15], s[0:1]
	v_cndmask_b32_e32 v16, 2, v16, vcc
	v_add_f32_e32 v17, v17, v18
	v_cvt_i32_f32_e32 v19, v19
	global_store_dword v[8:9], v16, off
	global_store_dword v[6:7], v12, off
	v_add_co_u32_e32 v6, vcc, 4, v6
	v_exp_f32_e32 v16, v17
	v_addc_co_u32_e32 v7, vcc, 0, v7, vcc
	v_add_co_u32_e32 v8, vcc, 4, v8
	v_addc_co_u32_e32 v9, vcc, 0, v9, vcc
	v_ldexp_f32 v16, v16, v19
	v_cmp_ngt_f32_e32 vcc, s20, v15
	v_cndmask_b32_e32 v16, 0, v16, vcc
	v_cmp_nlt_f32_e32 vcc, s21, v15
	v_cndmask_b32_e32 v15, v13, v16, vcc
	s_add_i32 s2, s2, -1
	global_store_dword v[10:11], v15, off
	v_add_co_u32_e32 v10, vcc, 4, v10
	v_add_u32_e32 v12, s18, v12
	s_cmp_eq_u32 s2, 0
	v_add_f32_e32 v14, v14, v15
	v_addc_co_u32_e32 v11, vcc, 0, v11, vcc
	s_cbranch_scc0 .LBB223_7
.LBB223_8:
	v_pk_add_f32 v[2:3], v[2:3], v[4:5] op_sel_hi:[1,0] neg_lo:[0,1] neg_hi:[0,1]
	s_mov_b32 s0, 0x3fb8aa3b
	v_mul_f32_e32 v1, 0x3fb8aa3b, v3
	v_fma_f32 v4, v3, s0, -v1
	v_rndne_f32_e32 v6, v1
	v_fmac_f32_e32 v4, 0x32a5705f, v3
	v_sub_f32_e32 v1, v1, v6
	v_add_f32_e32 v1, v1, v4
	v_exp_f32_e32 v1, v1
	v_cvt_i32_f32_e32 v4, v6
	s_mov_b32 s1, 0xc2ce8ed0
	v_cmp_ngt_f32_e32 vcc, s1, v3
	v_ldexp_f32 v1, v1, v4
	v_mul_f32_e32 v4, 0x3fb8aa3b, v2
	v_fma_f32 v6, v2, s0, -v4
	v_rndne_f32_e32 v7, v4
	v_fmac_f32_e32 v6, 0x32a5705f, v2
	v_sub_f32_e32 v4, v4, v7
	v_add_f32_e32 v4, v4, v6
	v_exp_f32_e32 v4, v4
	v_cvt_i32_f32_e32 v6, v7
	s_mov_b32 s0, 0x42b17218
	v_cndmask_b32_e32 v1, 0, v1, vcc
	v_cmp_nlt_f32_e32 vcc, s0, v3
	v_cndmask_b32_e32 v1, v5, v1, vcc
	v_ldexp_f32 v3, v4, v6
	v_cmp_ngt_f32_e32 vcc, s1, v2
	v_cndmask_b32_e32 v3, 0, v3, vcc
	v_cmp_nlt_f32_e32 vcc, s0, v2
	v_cndmask_b32_e32 v2, v5, v3, vcc
	v_add_f32_e32 v1, v2, v1
	v_add_f32_e32 v1, v14, v1
	v_cmp_neq_f32_e32 vcc, 0, v1
	s_and_b64 exec, exec, vcc
	s_cbranch_execz .LBB223_19
; %bb.9:
	s_andn2_b64 vcc, exec, s[16:17]
	s_cbranch_vccnz .LBB223_19
; %bb.10:
	v_div_scale_f32 v2, s[0:1], v1, v1, 1.0
	v_rcp_f32_e32 v3, v2
	v_div_scale_f32 v4, vcc, 1.0, v1, 1.0
	s_cmp_gt_u32 s8, 3
	v_fma_f32 v5, -v2, v3, 1.0
	v_fmac_f32_e32 v3, v5, v3
	v_mul_f32_e32 v5, v4, v3
	v_fma_f32 v6, -v2, v5, v4
	v_fmac_f32_e32 v5, v6, v3
	v_fma_f32 v2, -v2, v5, v4
	v_div_fmas_f32 v2, v2, v3, v5
	v_div_fixup_f32 v2, v2, v1, 1.0
	v_ashrrev_i32_e32 v1, 31, v0
	s_cbranch_scc0 .LBB223_14
; %bb.11:
	v_lshlrev_b64 v[4:5], 2, v[0:1]
	v_mov_b32_e32 v6, s13
	v_add_co_u32_e32 v4, vcc, s12, v4
	v_addc_co_u32_e32 v5, vcc, v5, v6, vcc
	s_and_b32 s4, s8, 0x7ffffffc
	v_add_co_u32_e32 v4, vcc, 8, v4
	v_mov_b32_e32 v3, v2
	v_addc_co_u32_e32 v5, vcc, 0, v5, vcc
	s_mov_b32 s0, s4
.LBB223_12:                             ; =>This Inner Loop Header: Depth=1
	global_load_dwordx4 v[6:9], v[4:5], off offset:-8
	s_add_i32 s0, s0, -4
	s_cmp_lg_u32 s0, 0
	s_waitcnt vmcnt(0)
	v_pk_mul_f32 v[6:7], v[2:3], v[6:7]
	v_pk_mul_f32 v[8:9], v[2:3], v[8:9]
	global_store_dwordx4 v[4:5], v[6:9], off offset:-8
	v_add_co_u32_e32 v4, vcc, 16, v4
	v_addc_co_u32_e32 v5, vcc, 0, v5, vcc
	s_cbranch_scc1 .LBB223_12
; %bb.13:
	s_cmp_lg_u32 s4, s8
	s_cselect_b64 s[0:1], -1, 0
	s_branch .LBB223_16
.LBB223_14:
	s_mov_b64 s[0:1], 0
                                        ; implicit-def: $sgpr4
	s_cbranch_execz .LBB223_16
; %bb.15:
	s_mov_b64 s[0:1], -1
	s_mov_b32 s4, 0
.LBB223_16:
	s_andn2_b64 vcc, exec, s[0:1]
	s_cbranch_vccnz .LBB223_19
; %bb.17:
	v_add_co_u32_e32 v0, vcc, s4, v0
	v_addc_co_u32_e32 v1, vcc, 0, v1, vcc
	v_lshlrev_b64 v[0:1], 2, v[0:1]
	v_mov_b32_e32 v3, s13
	v_add_co_u32_e32 v0, vcc, s12, v0
	s_sub_i32 s0, s8, s4
	v_addc_co_u32_e32 v1, vcc, v3, v1, vcc
.LBB223_18:                             ; =>This Inner Loop Header: Depth=1
	global_load_dword v3, v[0:1], off
	s_add_i32 s0, s0, -1
	s_cmp_lg_u32 s0, 0
	s_waitcnt vmcnt(0)
	v_mul_f32_e32 v3, v2, v3
	global_store_dword v[0:1], v3, off
	v_add_co_u32_e32 v0, vcc, 4, v0
	v_addc_co_u32_e32 v1, vcc, 0, v1, vcc
	s_cbranch_scc1 .LBB223_18
.LBB223_19:
	s_endpgm
	.section	.rodata,"a",@progbits
	.p2align	6, 0x0
	.amdhsa_kernel _ZN4vllm3moe17topkGatingSoftmaxItLi2ELi2ELi8ELi4ELb0ELi2ELNS0_23SharedExpertScoringFuncE1EEEvPKT_PKbPfiPiS9_iiiiii
		.amdhsa_group_segment_fixed_size 0
		.amdhsa_private_segment_fixed_size 0
		.amdhsa_kernarg_size 72
		.amdhsa_user_sgpr_count 6
		.amdhsa_user_sgpr_private_segment_buffer 1
		.amdhsa_user_sgpr_dispatch_ptr 0
		.amdhsa_user_sgpr_queue_ptr 0
		.amdhsa_user_sgpr_kernarg_segment_ptr 1
		.amdhsa_user_sgpr_dispatch_id 0
		.amdhsa_user_sgpr_flat_scratch_init 0
		.amdhsa_user_sgpr_kernarg_preload_length 0
		.amdhsa_user_sgpr_kernarg_preload_offset 0
		.amdhsa_user_sgpr_private_segment_size 0
		.amdhsa_uses_dynamic_stack 0
		.amdhsa_system_sgpr_private_segment_wavefront_offset 0
		.amdhsa_system_sgpr_workgroup_id_x 1
		.amdhsa_system_sgpr_workgroup_id_y 0
		.amdhsa_system_sgpr_workgroup_id_z 0
		.amdhsa_system_sgpr_workgroup_info 0
		.amdhsa_system_vgpr_workitem_id 1
		.amdhsa_next_free_vgpr 22
		.amdhsa_next_free_sgpr 24
		.amdhsa_accum_offset 24
		.amdhsa_reserve_vcc 1
		.amdhsa_reserve_flat_scratch 0
		.amdhsa_float_round_mode_32 0
		.amdhsa_float_round_mode_16_64 0
		.amdhsa_float_denorm_mode_32 3
		.amdhsa_float_denorm_mode_16_64 3
		.amdhsa_dx10_clamp 1
		.amdhsa_ieee_mode 1
		.amdhsa_fp16_overflow 0
		.amdhsa_tg_split 0
		.amdhsa_exception_fp_ieee_invalid_op 0
		.amdhsa_exception_fp_denorm_src 0
		.amdhsa_exception_fp_ieee_div_zero 0
		.amdhsa_exception_fp_ieee_overflow 0
		.amdhsa_exception_fp_ieee_underflow 0
		.amdhsa_exception_fp_ieee_inexact 0
		.amdhsa_exception_int_div_zero 0
	.end_amdhsa_kernel
	.section	.text._ZN4vllm3moe17topkGatingSoftmaxItLi2ELi2ELi8ELi4ELb0ELi2ELNS0_23SharedExpertScoringFuncE1EEEvPKT_PKbPfiPiS9_iiiiii,"axG",@progbits,_ZN4vllm3moe17topkGatingSoftmaxItLi2ELi2ELi8ELi4ELb0ELi2ELNS0_23SharedExpertScoringFuncE1EEEvPKT_PKbPfiPiS9_iiiiii,comdat
.Lfunc_end223:
	.size	_ZN4vllm3moe17topkGatingSoftmaxItLi2ELi2ELi8ELi4ELb0ELi2ELNS0_23SharedExpertScoringFuncE1EEEvPKT_PKbPfiPiS9_iiiiii, .Lfunc_end223-_ZN4vllm3moe17topkGatingSoftmaxItLi2ELi2ELi8ELi4ELb0ELi2ELNS0_23SharedExpertScoringFuncE1EEEvPKT_PKbPfiPiS9_iiiiii
                                        ; -- End function
	.section	.AMDGPU.csdata,"",@progbits
; Kernel info:
; codeLenInByte = 1732
; NumSgprs: 28
; NumVgprs: 22
; NumAgprs: 0
; TotalNumVgprs: 22
; ScratchSize: 0
; MemoryBound: 0
; FloatMode: 240
; IeeeMode: 1
; LDSByteSize: 0 bytes/workgroup (compile time only)
; SGPRBlocks: 3
; VGPRBlocks: 2
; NumSGPRsForWavesPerEU: 28
; NumVGPRsForWavesPerEU: 22
; AccumOffset: 24
; Occupancy: 8
; WaveLimiterHint : 0
; COMPUTE_PGM_RSRC2:SCRATCH_EN: 0
; COMPUTE_PGM_RSRC2:USER_SGPR: 6
; COMPUTE_PGM_RSRC2:TRAP_HANDLER: 0
; COMPUTE_PGM_RSRC2:TGID_X_EN: 1
; COMPUTE_PGM_RSRC2:TGID_Y_EN: 0
; COMPUTE_PGM_RSRC2:TGID_Z_EN: 0
; COMPUTE_PGM_RSRC2:TIDIG_COMP_CNT: 1
; COMPUTE_PGM_RSRC3_GFX90A:ACCUM_OFFSET: 5
; COMPUTE_PGM_RSRC3_GFX90A:TG_SPLIT: 0
	.section	.text._ZN4vllm3moe17topkGatingSoftmaxItLi2ELi2ELi8ELi4ELb1ELi4ELNS0_23SharedExpertScoringFuncE1EEEvPKT_PKbPfiPiS9_iiiiii,"axG",@progbits,_ZN4vllm3moe17topkGatingSoftmaxItLi2ELi2ELi8ELi4ELb1ELi4ELNS0_23SharedExpertScoringFuncE1EEEvPKT_PKbPfiPiS9_iiiiii,comdat
	.protected	_ZN4vllm3moe17topkGatingSoftmaxItLi2ELi2ELi8ELi4ELb1ELi4ELNS0_23SharedExpertScoringFuncE1EEEvPKT_PKbPfiPiS9_iiiiii ; -- Begin function _ZN4vllm3moe17topkGatingSoftmaxItLi2ELi2ELi8ELi4ELb1ELi4ELNS0_23SharedExpertScoringFuncE1EEEvPKT_PKbPfiPiS9_iiiiii
	.globl	_ZN4vllm3moe17topkGatingSoftmaxItLi2ELi2ELi8ELi4ELb1ELi4ELNS0_23SharedExpertScoringFuncE1EEEvPKT_PKbPfiPiS9_iiiiii
	.p2align	8
	.type	_ZN4vllm3moe17topkGatingSoftmaxItLi2ELi2ELi8ELi4ELb1ELi4ELNS0_23SharedExpertScoringFuncE1EEEvPKT_PKbPfiPiS9_iiiiii,@function
_ZN4vllm3moe17topkGatingSoftmaxItLi2ELi2ELi8ELi4ELb1ELi4ELNS0_23SharedExpertScoringFuncE1EEEvPKT_PKbPfiPiS9_iiiiii: ; @_ZN4vllm3moe17topkGatingSoftmaxItLi2ELi2ELi8ELi4ELb1ELi4ELNS0_23SharedExpertScoringFuncE1EEEvPKT_PKbPfiPiS9_iiiiii
; %bb.0:
	s_load_dword s20, s[4:5], 0x18
	v_bfe_u32 v1, v0, 10, 10
	s_lshl_b32 s21, s6, 9
	v_lshlrev_b32_e32 v13, 6, v1
	v_and_b32_e32 v14, 0x3ff, v0
	v_add3_u32 v15, v13, v14, s21
	s_waitcnt lgkmcnt(0)
	v_cmp_gt_i32_e32 vcc, s20, v15
	s_and_saveexec_b64 s[0:1], vcc
	s_cbranch_execz .LBB224_19
; %bb.1:
	s_load_dwordx4 s[0:3], s[4:5], 0x0
	s_load_dwordx2 s[12:13], s[4:5], 0x10
	s_waitcnt lgkmcnt(0)
	s_cmp_eq_u64 s[2:3], 0
	s_cbranch_scc1 .LBB224_3
; %bb.2:
	v_ashrrev_i32_e32 v1, 31, v15
	v_mov_b32_e32 v2, s3
	v_add_co_u32_e32 v0, vcc, s2, v15
	v_addc_co_u32_e32 v1, vcc, v2, v1, vcc
	global_load_ubyte v0, v[0:1], off
	s_waitcnt vmcnt(0)
	v_and_b32_e32 v0, 1, v0
	v_cmp_eq_u32_e32 vcc, 1, v0
	s_xor_b64 s[2:3], vcc, -1
	s_orn2_b64 s[14:15], s[2:3], exec
	s_branch .LBB224_4
.LBB224_3:
	s_mov_b64 s[14:15], -1
.LBB224_4:
	s_load_dwordx2 s[16:17], s[4:5], 0x40
	s_load_dwordx4 s[8:11], s[4:5], 0x30
	v_mov_b32_e32 v2, s1
	v_mov_b32_e32 v5, s13
	s_mov_b32 s1, 0x42ce8ed0
	s_waitcnt lgkmcnt(0)
	v_mul_lo_u32 v0, v15, s17
	v_ashrrev_i32_e32 v1, 31, v0
	v_lshlrev_b64 v[0:1], 1, v[0:1]
	v_add_co_u32_e32 v0, vcc, s0, v0
	v_addc_co_u32_e32 v1, vcc, v2, v1, vcc
	global_load_dwordx3 v[0:2], v[0:1], off
	v_mul_lo_u32 v4, v15, s11
	v_add_u32_e32 v6, s8, v4
	v_ashrrev_i32_e32 v7, 31, v6
	v_lshlrev_b64 v[6:7], 2, v[6:7]
	v_add_co_u32_e32 v10, vcc, s12, v6
	v_addc_co_u32_e32 v11, vcc, v5, v7, vcc
	s_mov_b32 s0, 0xbfb8aa3b
	s_mov_b32 s2, 0xc2b17218
	v_mov_b32_e32 v3, 0x7f800000
	s_cmp_gt_i32 s8, 0
	v_mov_b32_e32 v12, 0
	s_cselect_b64 s[18:19], -1, 0
	s_cmp_lt_i32 s8, 1
	s_waitcnt vmcnt(0)
	v_cvt_f32_u32_sdwa v5, v1 dst_sel:DWORD dst_unused:UNUSED_PAD src0_sel:WORD_1
	v_cvt_f32_u32_sdwa v1, v1 dst_sel:DWORD dst_unused:UNUSED_PAD src0_sel:WORD_0
	v_cvt_f32_u32_sdwa v8, v2 dst_sel:DWORD dst_unused:UNUSED_PAD src0_sel:WORD_1
	v_cvt_f32_u32_sdwa v2, v2 dst_sel:DWORD dst_unused:UNUSED_PAD src0_sel:WORD_0
	v_mul_f32_e32 v6, 0xbfb8aa3b, v5
	v_mul_f32_e32 v7, 0xbfb8aa3b, v1
	v_fma_f32 v17, v5, s0, -v6
	v_rndne_f32_e32 v18, v6
	v_mul_f32_e32 v9, 0xbfb8aa3b, v8
	v_fma_f32 v19, v1, s0, -v7
	v_rndne_f32_e32 v20, v7
	v_fmac_f32_e32 v17, 0xb2a5705f, v5
	v_sub_f32_e32 v6, v6, v18
	v_mul_f32_e32 v16, 0xbfb8aa3b, v2
	v_fma_f32 v21, v8, s0, -v9
	v_rndne_f32_e32 v22, v9
	v_fmac_f32_e32 v19, 0xb2a5705f, v1
	v_sub_f32_e32 v7, v7, v20
	v_add_f32_e32 v6, v6, v17
	v_fma_f32 v23, v2, s0, -v16
	v_rndne_f32_e32 v24, v16
	v_cvt_i32_f32_e32 v18, v18
	v_fmac_f32_e32 v21, 0xb2a5705f, v8
	v_sub_f32_e32 v9, v9, v22
	v_add_f32_e32 v7, v7, v19
	v_exp_f32_e32 v6, v6
	v_cvt_i32_f32_e32 v20, v20
	v_fmac_f32_e32 v23, 0xb2a5705f, v2
	v_sub_f32_e32 v16, v16, v24
	v_add_f32_e32 v9, v9, v21
	v_exp_f32_e32 v7, v7
	v_cvt_i32_f32_e32 v22, v22
	v_add_f32_e32 v16, v16, v23
	v_exp_f32_e32 v9, v9
	v_cvt_i32_f32_e32 v24, v24
	v_exp_f32_e32 v16, v16
	v_ldexp_f32 v6, v6, v18
	v_cmp_nlt_f32_e32 vcc, s1, v5
	v_ldexp_f32 v7, v7, v20
	v_cndmask_b32_e32 v6, 0, v6, vcc
	v_cmp_nlt_f32_e32 vcc, s1, v1
	v_ldexp_f32 v9, v9, v22
	v_cndmask_b32_e32 v17, 0, v7, vcc
	v_cmp_nlt_f32_e32 vcc, s1, v8
	v_ldexp_f32 v16, v16, v24
	v_cndmask_b32_e32 v9, 0, v9, vcc
	v_cmp_nlt_f32_e32 vcc, s1, v2
	v_cndmask_b32_e32 v16, 0, v16, vcc
	v_cmp_ngt_f32_e32 vcc, s2, v5
	v_cndmask_b32_e32 v7, v3, v6, vcc
	v_cmp_ngt_f32_e32 vcc, s2, v1
	v_cndmask_b32_e32 v6, v3, v17, vcc
	v_pk_add_f32 v[6:7], v[6:7], 1.0 op_sel_hi:[1,0]
	v_div_scale_f32 v1, s[0:1], v7, v7, 1.0
	v_cmp_ngt_f32_e32 vcc, s2, v8
	v_div_scale_f32 v5, s[0:1], v6, v6, 1.0
	v_rcp_f32_e32 v18, v1
	v_cndmask_b32_e32 v9, v3, v9, vcc
	v_cmp_ngt_f32_e32 vcc, s2, v2
	v_rcp_f32_e32 v19, v5
	v_cndmask_b32_e32 v8, v3, v16, vcc
	v_pk_add_f32 v[8:9], v[8:9], 1.0 op_sel_hi:[1,0]
	v_div_scale_f32 v17, s[2:3], v9, v9, 1.0
	v_fma_f32 v22, -v1, v18, 1.0
	v_div_scale_f32 v2, vcc, 1.0, v7, 1.0
	v_rcp_f32_e32 v20, v17
	v_fma_f32 v23, -v5, v19, 1.0
	v_fmac_f32_e32 v18, v22, v18
	v_div_scale_f32 v16, s[0:1], 1.0, v6, 1.0
	v_fmac_f32_e32 v19, v23, v19
	v_mul_f32_e32 v22, v2, v18
	v_mul_f32_e32 v23, v16, v19
	v_fma_f32 v25, -v1, v22, v2
	v_fma_f32 v26, -v5, v23, v16
	v_fmac_f32_e32 v22, v25, v18
	v_fma_f32 v24, -v17, v20, 1.0
	v_fmac_f32_e32 v23, v26, v19
	v_fma_f32 v1, -v1, v22, v2
	v_div_scale_f32 v21, s[2:3], 1.0, v9, 1.0
	v_fmac_f32_e32 v20, v24, v20
	v_fma_f32 v2, -v5, v23, v16
	v_div_fmas_f32 v1, v1, v18, v22
	s_mov_b64 vcc, s[0:1]
	v_mul_f32_e32 v24, v21, v20
	v_div_fixup_f32 v7, v1, v7, 1.0
	v_div_fmas_f32 v1, v2, v19, v23
	v_div_scale_f32 v2, s[0:1], v8, v8, 1.0
	v_div_fixup_f32 v6, v1, v6, 1.0
	v_fma_f32 v1, -v17, v24, v21
	v_rcp_f32_e32 v5, v2
	v_fmac_f32_e32 v24, v1, v20
	v_fma_f32 v1, -v17, v24, v21
	s_mov_b64 vcc, s[2:3]
	v_div_fmas_f32 v1, v1, v20, v24
	v_div_fixup_f32 v9, v1, v9, 1.0
	v_fma_f32 v1, -v2, v5, 1.0
	v_fmac_f32_e32 v5, v1, v5
	v_div_scale_f32 v1, vcc, 1.0, v8, 1.0
	v_mul_f32_e32 v16, v1, v5
	v_fma_f32 v17, -v2, v16, v1
	v_fmac_f32_e32 v16, v17, v5
	v_fma_f32 v1, -v2, v16, v1
	v_div_fmas_f32 v1, v1, v5, v16
	v_div_fixup_f32 v8, v1, v8, 1.0
	global_store_dwordx4 v[10:11], v[6:9], off
	s_cbranch_scc1 .LBB224_8
; %bb.5:
	v_cvt_f32_u32_sdwa v1, v0 dst_sel:DWORD dst_unused:UNUSED_PAD src0_sel:WORD_1
	v_cvt_f32_u32_sdwa v0, v0 dst_sel:DWORD dst_unused:UNUSED_PAD src0_sel:WORD_0
	s_mov_b32 s11, 0x3fb8aa3b
	v_mul_lo_u32 v2, v15, s16
	s_mov_b32 s16, 0xc2ce8ed0
	v_cmp_lt_f32_e32 vcc, v0, v1
	v_cndmask_b32_e32 v16, v0, v1, vcc
	v_sub_f32_e32 v5, v16, v16
	v_mul_f32_e32 v6, 0x3fb8aa3b, v5
	v_fma_f32 v7, v5, s11, -v6
	v_rndne_f32_e32 v8, v6
	v_fmac_f32_e32 v7, 0x32a5705f, v5
	v_sub_f32_e32 v6, v6, v8
	v_add_f32_e32 v6, v6, v7
	v_exp_f32_e32 v6, v6
	v_cvt_i32_f32_e32 v7, v8
	v_cndmask_b32_e64 v17, 0, 1, vcc
	v_cmp_le_i32_e64 s[0:1], s9, v17
	v_cmp_gt_i32_e64 s[2:3], s10, v17
	s_and_b64 s[22:23], s[0:1], s[2:3]
	v_ldexp_f32 v6, v6, v7
	v_cmp_ngt_f32_e64 s[0:1], s16, v5
	s_mov_b32 s17, 0x42b17218
	v_cndmask_b32_e64 v6, 0, v6, s[0:1]
	v_cmp_nlt_f32_e64 s[0:1], s17, v5
	v_ashrrev_i32_e32 v5, 31, v4
	v_lshlrev_b64 v[8:9], 2, v[4:5]
	s_load_dwordx4 s[4:7], s[4:5], 0x20
	v_cndmask_b32_e64 v12, v3, v6, s[0:1]
	v_mov_b32_e32 v3, s13
	v_add_co_u32_e64 v10, s[0:1], s12, v8
	v_addc_co_u32_e64 v11, s[2:3], v3, v9, s[0:1]
	v_subrev_u32_e32 v3, s9, v17
	s_and_b64 s[2:3], s[14:15], s[22:23]
	v_cndmask_b32_e64 v5, 2, v3, s[2:3]
	v_ashrrev_i32_e32 v3, 31, v2
	v_lshlrev_b64 v[6:7], 2, v[2:3]
	v_mul_lo_u32 v18, v15, s8
	s_waitcnt lgkmcnt(0)
	v_mov_b32_e32 v3, s5
	v_add_co_u32_e64 v2, s[2:3], s4, v6
	v_addc_co_u32_e64 v3, s[2:3], v3, v7, s[2:3]
	v_ashrrev_i32_e32 v19, 31, v18
	global_store_dword v[2:3], v5, off
	v_lshlrev_b64 v[2:3], 2, v[18:19]
	v_mov_b32_e32 v5, s7
	v_add_co_u32_e64 v18, s[2:3], s6, v2
	v_addc_co_u32_e64 v19, s[2:3], v5, v3, s[2:3]
	s_cmp_eq_u32 s8, 1
	global_store_dword v[10:11], v12, off
	global_store_dword v[18:19], v15, off
	s_cbranch_scc1 .LBB224_8
; %bb.6:
	v_mov_b32_e32 v5, 0xff800000
	v_cndmask_b32_e32 v0, v5, v0, vcc
	v_cmp_ne_u32_e32 vcc, 1, v17
	v_cndmask_b32_e32 v1, v5, v1, vcc
	v_mov_b32_e32 v8, s7
	v_add_co_u32_e32 v2, vcc, s6, v2
	v_addc_co_u32_e32 v3, vcc, v3, v8, vcc
	v_add_co_u32_e32 v2, vcc, 4, v2
	v_addc_co_u32_e32 v3, vcc, 0, v3, vcc
	v_mov_b32_e32 v8, s5
	v_add_co_u32_e32 v6, vcc, s4, v6
	v_addc_co_u32_e32 v7, vcc, v7, v8, vcc
	v_add_co_u32_e32 v6, vcc, 4, v6
	v_mov_b32_e32 v8, s13
	v_addc_co_u32_e32 v7, vcc, 0, v7, vcc
	v_addc_co_u32_e64 v9, vcc, v9, v8, s[0:1]
	v_add_co_u32_e32 v8, vcc, 4, v10
	s_add_i32 s21, s21, s20
	v_addc_co_u32_e32 v9, vcc, 0, v9, vcc
	s_add_i32 s2, s8, -1
	v_add3_u32 v10, s21, v14, v13
	v_mov_b32_e32 v11, 0x7f800000
.LBB224_7:                              ; =>This Inner Loop Header: Depth=1
	v_cmp_gt_f32_e32 vcc, v1, v0
	v_cndmask_b32_e32 v13, v0, v1, vcc
	v_cndmask_b32_e64 v14, 0, 1, vcc
	v_sub_f32_e32 v13, v13, v16
	v_cndmask_b32_e32 v1, v1, v5, vcc
	v_cndmask_b32_e32 v0, v5, v0, vcc
	v_cmp_le_i32_e32 vcc, s9, v14
	v_cmp_gt_i32_e64 s[0:1], s10, v14
	v_mul_f32_e32 v15, 0x3fb8aa3b, v13
	s_and_b64 s[0:1], vcc, s[0:1]
	v_fma_f32 v17, v13, s11, -v15
	v_rndne_f32_e32 v18, v15
	v_subrev_u32_e32 v14, s9, v14
	v_fmac_f32_e32 v17, 0x32a5705f, v13
	v_sub_f32_e32 v15, v15, v18
	s_and_b64 vcc, s[14:15], s[0:1]
	v_cndmask_b32_e32 v14, 2, v14, vcc
	v_add_f32_e32 v15, v15, v17
	v_cvt_i32_f32_e32 v18, v18
	global_store_dword v[6:7], v14, off
	global_store_dword v[2:3], v10, off
	v_add_co_u32_e32 v2, vcc, 4, v2
	v_exp_f32_e32 v14, v15
	v_addc_co_u32_e32 v3, vcc, 0, v3, vcc
	v_add_co_u32_e32 v6, vcc, 4, v6
	v_addc_co_u32_e32 v7, vcc, 0, v7, vcc
	v_ldexp_f32 v14, v14, v18
	v_cmp_ngt_f32_e32 vcc, s16, v13
	v_cndmask_b32_e32 v14, 0, v14, vcc
	v_cmp_nlt_f32_e32 vcc, s17, v13
	v_cndmask_b32_e32 v13, v11, v14, vcc
	s_add_i32 s2, s2, -1
	global_store_dword v[8:9], v13, off
	v_add_co_u32_e32 v8, vcc, 4, v8
	v_add_u32_e32 v10, s20, v10
	s_cmp_eq_u32 s2, 0
	v_add_f32_e32 v12, v12, v13
	v_addc_co_u32_e32 v9, vcc, 0, v9, vcc
	s_cbranch_scc0 .LBB224_7
.LBB224_8:
	v_cmp_neq_f32_e32 vcc, 0, v12
	s_and_b64 exec, exec, vcc
	s_cbranch_execz .LBB224_19
; %bb.9:
	s_andn2_b64 vcc, exec, s[18:19]
	s_cbranch_vccnz .LBB224_19
; %bb.10:
	v_div_scale_f32 v0, s[0:1], v12, v12, 1.0
	v_rcp_f32_e32 v1, v0
	v_div_scale_f32 v2, vcc, 1.0, v12, 1.0
	s_cmp_gt_u32 s8, 3
	v_fma_f32 v3, -v0, v1, 1.0
	v_fmac_f32_e32 v1, v3, v1
	v_mul_f32_e32 v3, v2, v1
	v_fma_f32 v5, -v0, v3, v2
	v_fmac_f32_e32 v3, v5, v1
	v_fma_f32 v0, -v0, v3, v2
	v_div_fmas_f32 v0, v0, v1, v3
	v_div_fixup_f32 v0, v0, v12, 1.0
	v_ashrrev_i32_e32 v5, 31, v4
	s_cbranch_scc0 .LBB224_14
; %bb.11:
	v_lshlrev_b64 v[2:3], 2, v[4:5]
	v_mov_b32_e32 v6, s13
	v_add_co_u32_e32 v2, vcc, s12, v2
	v_addc_co_u32_e32 v3, vcc, v3, v6, vcc
	s_and_b32 s4, s8, 0x7ffffffc
	v_add_co_u32_e32 v2, vcc, 8, v2
	v_mov_b32_e32 v1, v0
	v_addc_co_u32_e32 v3, vcc, 0, v3, vcc
	s_mov_b32 s0, s4
.LBB224_12:                             ; =>This Inner Loop Header: Depth=1
	global_load_dwordx4 v[6:9], v[2:3], off offset:-8
	s_add_i32 s0, s0, -4
	s_cmp_lg_u32 s0, 0
	s_waitcnt vmcnt(0)
	v_pk_mul_f32 v[6:7], v[0:1], v[6:7]
	v_pk_mul_f32 v[8:9], v[0:1], v[8:9]
	global_store_dwordx4 v[2:3], v[6:9], off offset:-8
	v_add_co_u32_e32 v2, vcc, 16, v2
	v_addc_co_u32_e32 v3, vcc, 0, v3, vcc
	s_cbranch_scc1 .LBB224_12
; %bb.13:
	s_cmp_lg_u32 s4, s8
	s_cselect_b64 s[0:1], -1, 0
	s_branch .LBB224_16
.LBB224_14:
	s_mov_b64 s[0:1], 0
                                        ; implicit-def: $sgpr4
	s_cbranch_execz .LBB224_16
; %bb.15:
	s_mov_b64 s[0:1], -1
	s_mov_b32 s4, 0
.LBB224_16:
	s_andn2_b64 vcc, exec, s[0:1]
	s_cbranch_vccnz .LBB224_19
; %bb.17:
	v_add_co_u32_e32 v2, vcc, s4, v4
	v_addc_co_u32_e32 v3, vcc, 0, v5, vcc
	v_lshlrev_b64 v[2:3], 2, v[2:3]
	v_mov_b32_e32 v1, s13
	v_add_co_u32_e32 v2, vcc, s12, v2
	s_sub_i32 s0, s8, s4
	v_addc_co_u32_e32 v3, vcc, v1, v3, vcc
.LBB224_18:                             ; =>This Inner Loop Header: Depth=1
	global_load_dword v1, v[2:3], off
	s_add_i32 s0, s0, -1
	s_cmp_lg_u32 s0, 0
	s_waitcnt vmcnt(0)
	v_mul_f32_e32 v1, v0, v1
	global_store_dword v[2:3], v1, off
	v_add_co_u32_e32 v2, vcc, 4, v2
	v_addc_co_u32_e32 v3, vcc, 0, v3, vcc
	s_cbranch_scc1 .LBB224_18
.LBB224_19:
	s_endpgm
	.section	.rodata,"a",@progbits
	.p2align	6, 0x0
	.amdhsa_kernel _ZN4vllm3moe17topkGatingSoftmaxItLi2ELi2ELi8ELi4ELb1ELi4ELNS0_23SharedExpertScoringFuncE1EEEvPKT_PKbPfiPiS9_iiiiii
		.amdhsa_group_segment_fixed_size 0
		.amdhsa_private_segment_fixed_size 0
		.amdhsa_kernarg_size 72
		.amdhsa_user_sgpr_count 6
		.amdhsa_user_sgpr_private_segment_buffer 1
		.amdhsa_user_sgpr_dispatch_ptr 0
		.amdhsa_user_sgpr_queue_ptr 0
		.amdhsa_user_sgpr_kernarg_segment_ptr 1
		.amdhsa_user_sgpr_dispatch_id 0
		.amdhsa_user_sgpr_flat_scratch_init 0
		.amdhsa_user_sgpr_kernarg_preload_length 0
		.amdhsa_user_sgpr_kernarg_preload_offset 0
		.amdhsa_user_sgpr_private_segment_size 0
		.amdhsa_uses_dynamic_stack 0
		.amdhsa_system_sgpr_private_segment_wavefront_offset 0
		.amdhsa_system_sgpr_workgroup_id_x 1
		.amdhsa_system_sgpr_workgroup_id_y 0
		.amdhsa_system_sgpr_workgroup_id_z 0
		.amdhsa_system_sgpr_workgroup_info 0
		.amdhsa_system_vgpr_workitem_id 1
		.amdhsa_next_free_vgpr 27
		.amdhsa_next_free_sgpr 24
		.amdhsa_accum_offset 28
		.amdhsa_reserve_vcc 1
		.amdhsa_reserve_flat_scratch 0
		.amdhsa_float_round_mode_32 0
		.amdhsa_float_round_mode_16_64 0
		.amdhsa_float_denorm_mode_32 3
		.amdhsa_float_denorm_mode_16_64 3
		.amdhsa_dx10_clamp 1
		.amdhsa_ieee_mode 1
		.amdhsa_fp16_overflow 0
		.amdhsa_tg_split 0
		.amdhsa_exception_fp_ieee_invalid_op 0
		.amdhsa_exception_fp_denorm_src 0
		.amdhsa_exception_fp_ieee_div_zero 0
		.amdhsa_exception_fp_ieee_overflow 0
		.amdhsa_exception_fp_ieee_underflow 0
		.amdhsa_exception_fp_ieee_inexact 0
		.amdhsa_exception_int_div_zero 0
	.end_amdhsa_kernel
	.section	.text._ZN4vllm3moe17topkGatingSoftmaxItLi2ELi2ELi8ELi4ELb1ELi4ELNS0_23SharedExpertScoringFuncE1EEEvPKT_PKbPfiPiS9_iiiiii,"axG",@progbits,_ZN4vllm3moe17topkGatingSoftmaxItLi2ELi2ELi8ELi4ELb1ELi4ELNS0_23SharedExpertScoringFuncE1EEEvPKT_PKbPfiPiS9_iiiiii,comdat
.Lfunc_end224:
	.size	_ZN4vllm3moe17topkGatingSoftmaxItLi2ELi2ELi8ELi4ELb1ELi4ELNS0_23SharedExpertScoringFuncE1EEEvPKT_PKbPfiPiS9_iiiiii, .Lfunc_end224-_ZN4vllm3moe17topkGatingSoftmaxItLi2ELi2ELi8ELi4ELb1ELi4ELNS0_23SharedExpertScoringFuncE1EEEvPKT_PKbPfiPiS9_iiiiii
                                        ; -- End function
	.section	.AMDGPU.csdata,"",@progbits
; Kernel info:
; codeLenInByte = 1864
; NumSgprs: 28
; NumVgprs: 27
; NumAgprs: 0
; TotalNumVgprs: 27
; ScratchSize: 0
; MemoryBound: 0
; FloatMode: 240
; IeeeMode: 1
; LDSByteSize: 0 bytes/workgroup (compile time only)
; SGPRBlocks: 3
; VGPRBlocks: 3
; NumSGPRsForWavesPerEU: 28
; NumVGPRsForWavesPerEU: 27
; AccumOffset: 28
; Occupancy: 8
; WaveLimiterHint : 0
; COMPUTE_PGM_RSRC2:SCRATCH_EN: 0
; COMPUTE_PGM_RSRC2:USER_SGPR: 6
; COMPUTE_PGM_RSRC2:TRAP_HANDLER: 0
; COMPUTE_PGM_RSRC2:TGID_X_EN: 1
; COMPUTE_PGM_RSRC2:TGID_Y_EN: 0
; COMPUTE_PGM_RSRC2:TGID_Z_EN: 0
; COMPUTE_PGM_RSRC2:TIDIG_COMP_CNT: 1
; COMPUTE_PGM_RSRC3_GFX90A:ACCUM_OFFSET: 6
; COMPUTE_PGM_RSRC3_GFX90A:TG_SPLIT: 0
	.section	.text._ZN4vllm3moe17topkGatingSoftmaxItLi2ELi2ELi8ELi4ELb0ELi4ELNS0_23SharedExpertScoringFuncE1EEEvPKT_PKbPfiPiS9_iiiiii,"axG",@progbits,_ZN4vllm3moe17topkGatingSoftmaxItLi2ELi2ELi8ELi4ELb0ELi4ELNS0_23SharedExpertScoringFuncE1EEEvPKT_PKbPfiPiS9_iiiiii,comdat
	.protected	_ZN4vllm3moe17topkGatingSoftmaxItLi2ELi2ELi8ELi4ELb0ELi4ELNS0_23SharedExpertScoringFuncE1EEEvPKT_PKbPfiPiS9_iiiiii ; -- Begin function _ZN4vllm3moe17topkGatingSoftmaxItLi2ELi2ELi8ELi4ELb0ELi4ELNS0_23SharedExpertScoringFuncE1EEEvPKT_PKbPfiPiS9_iiiiii
	.globl	_ZN4vllm3moe17topkGatingSoftmaxItLi2ELi2ELi8ELi4ELb0ELi4ELNS0_23SharedExpertScoringFuncE1EEEvPKT_PKbPfiPiS9_iiiiii
	.p2align	8
	.type	_ZN4vllm3moe17topkGatingSoftmaxItLi2ELi2ELi8ELi4ELb0ELi4ELNS0_23SharedExpertScoringFuncE1EEEvPKT_PKbPfiPiS9_iiiiii,@function
_ZN4vllm3moe17topkGatingSoftmaxItLi2ELi2ELi8ELi4ELb0ELi4ELNS0_23SharedExpertScoringFuncE1EEEvPKT_PKbPfiPiS9_iiiiii: ; @_ZN4vllm3moe17topkGatingSoftmaxItLi2ELi2ELi8ELi4ELb0ELi4ELNS0_23SharedExpertScoringFuncE1EEEvPKT_PKbPfiPiS9_iiiiii
; %bb.0:
	s_load_dword s18, s[4:5], 0x18
	v_bfe_u32 v1, v0, 10, 10
	s_lshl_b32 s19, s6, 9
	v_lshlrev_b32_e32 v15, 6, v1
	v_and_b32_e32 v16, 0x3ff, v0
	v_add3_u32 v17, v15, v16, s19
	s_waitcnt lgkmcnt(0)
	v_cmp_gt_i32_e32 vcc, s18, v17
	s_and_saveexec_b64 s[0:1], vcc
	s_cbranch_execz .LBB225_19
; %bb.1:
	s_load_dwordx4 s[0:3], s[4:5], 0x0
	s_load_dwordx2 s[12:13], s[4:5], 0x10
	s_waitcnt lgkmcnt(0)
	s_cmp_eq_u64 s[2:3], 0
	s_cbranch_scc1 .LBB225_3
; %bb.2:
	v_ashrrev_i32_e32 v1, 31, v17
	v_mov_b32_e32 v2, s3
	v_add_co_u32_e32 v0, vcc, s2, v17
	v_addc_co_u32_e32 v1, vcc, v2, v1, vcc
	global_load_ubyte v0, v[0:1], off
	s_waitcnt vmcnt(0)
	v_and_b32_e32 v0, 1, v0
	v_cmp_eq_u32_e32 vcc, 1, v0
	s_xor_b64 s[2:3], vcc, -1
	s_orn2_b64 s[14:15], s[2:3], exec
	s_branch .LBB225_4
.LBB225_3:
	s_mov_b64 s[14:15], -1
.LBB225_4:
	s_load_dwordx2 s[2:3], s[4:5], 0x40
	s_load_dwordx4 s[8:11], s[4:5], 0x30
	v_mov_b32_e32 v2, s1
	s_mov_b32 s1, 0x42ce8ed0
	v_mov_b32_e32 v5, 0x7f800000
	s_waitcnt lgkmcnt(0)
	v_mul_lo_u32 v0, v17, s3
	v_ashrrev_i32_e32 v1, 31, v0
	v_lshlrev_b64 v[0:1], 1, v[0:1]
	v_add_co_u32_e32 v0, vcc, s0, v0
	v_addc_co_u32_e32 v1, vcc, v2, v1, vcc
	global_load_dwordx3 v[6:8], v[0:1], off
	v_mul_lo_u32 v0, v17, s11
	v_add_u32_e32 v2, s8, v0
	v_ashrrev_i32_e32 v3, 31, v2
	v_lshlrev_b64 v[2:3], 2, v[2:3]
	v_mov_b32_e32 v1, s13
	v_add_co_u32_e32 v10, vcc, s12, v2
	v_addc_co_u32_e32 v11, vcc, v1, v3, vcc
	s_mov_b32 s0, 0xbfb8aa3b
	s_mov_b32 s3, 0xc2b17218
	s_cmp_gt_i32 s8, 0
	v_mov_b32_e32 v14, 0
	s_cselect_b64 s[16:17], -1, 0
	s_cmp_lt_i32 s8, 1
	s_waitcnt vmcnt(0)
	v_cvt_f32_u32_sdwa v1, v7 dst_sel:DWORD dst_unused:UNUSED_PAD src0_sel:WORD_1
	v_cvt_f32_u32_sdwa v4, v7 dst_sel:DWORD dst_unused:UNUSED_PAD src0_sel:WORD_0
	v_cvt_f32_u32_sdwa v9, v8 dst_sel:DWORD dst_unused:UNUSED_PAD src0_sel:WORD_1
	v_cvt_f32_u32_sdwa v8, v8 dst_sel:DWORD dst_unused:UNUSED_PAD src0_sel:WORD_0
	;; [unrolled: 2-line block ×3, first 2 shown]
	v_mul_f32_e32 v6, 0xbfb8aa3b, v1
	v_mul_f32_e32 v7, 0xbfb8aa3b, v4
	v_fma_f32 v18, v1, s0, -v6
	v_rndne_f32_e32 v19, v6
	v_mul_f32_e32 v12, 0xbfb8aa3b, v9
	v_fma_f32 v20, v4, s0, -v7
	v_rndne_f32_e32 v21, v7
	v_fmac_f32_e32 v18, 0xb2a5705f, v1
	v_sub_f32_e32 v6, v6, v19
	v_mul_f32_e32 v13, 0xbfb8aa3b, v8
	v_fma_f32 v22, v9, s0, -v12
	v_rndne_f32_e32 v23, v12
	v_fmac_f32_e32 v20, 0xb2a5705f, v4
	v_sub_f32_e32 v7, v7, v21
	v_add_f32_e32 v6, v6, v18
	v_fma_f32 v24, v8, s0, -v13
	v_rndne_f32_e32 v25, v13
	v_cvt_i32_f32_e32 v19, v19
	v_fmac_f32_e32 v22, 0xb2a5705f, v9
	v_sub_f32_e32 v12, v12, v23
	v_add_f32_e32 v7, v7, v20
	v_exp_f32_e32 v6, v6
	v_cvt_i32_f32_e32 v21, v21
	v_fmac_f32_e32 v24, 0xb2a5705f, v8
	v_sub_f32_e32 v13, v13, v25
	v_add_f32_e32 v12, v12, v22
	v_exp_f32_e32 v7, v7
	v_cvt_i32_f32_e32 v23, v23
	v_add_f32_e32 v13, v13, v24
	v_exp_f32_e32 v12, v12
	v_cvt_i32_f32_e32 v25, v25
	v_exp_f32_e32 v13, v13
	v_ldexp_f32 v6, v6, v19
	v_cmp_nlt_f32_e32 vcc, s1, v1
	v_ldexp_f32 v7, v7, v21
	v_cndmask_b32_e32 v6, 0, v6, vcc
	v_cmp_nlt_f32_e32 vcc, s1, v4
	v_ldexp_f32 v12, v12, v23
	v_cndmask_b32_e32 v18, 0, v7, vcc
	;; [unrolled: 3-line block ×3, first 2 shown]
	v_cmp_nlt_f32_e32 vcc, s1, v8
	v_cndmask_b32_e32 v13, 0, v13, vcc
	v_cmp_ngt_f32_e32 vcc, s3, v1
	v_cndmask_b32_e32 v7, v5, v6, vcc
	v_cmp_ngt_f32_e32 vcc, s3, v4
	;; [unrolled: 2-line block ×4, first 2 shown]
	v_pk_add_f32 v[6:7], v[6:7], 1.0 op_sel_hi:[1,0]
	v_cndmask_b32_e32 v8, v5, v13, vcc
	v_div_scale_f32 v1, s[0:1], v7, v7, 1.0
	v_pk_add_f32 v[8:9], v[8:9], 1.0 op_sel_hi:[1,0]
	v_div_scale_f32 v12, s[0:1], v6, v6, 1.0
	v_rcp_f32_e32 v18, v1
	v_div_scale_f32 v13, s[0:1], v9, v9, 1.0
	v_rcp_f32_e32 v19, v12
	v_rcp_f32_e32 v20, v13
	v_fma_f32 v22, -v1, v18, 1.0
	v_div_scale_f32 v4, vcc, 1.0, v7, 1.0
	v_fma_f32 v23, -v12, v19, 1.0
	v_fmac_f32_e32 v18, v22, v18
	v_div_scale_f32 v21, s[0:1], 1.0, v6, 1.0
	v_fma_f32 v24, -v13, v20, 1.0
	v_fmac_f32_e32 v19, v23, v19
	v_mul_f32_e32 v22, v4, v18
	v_fmac_f32_e32 v20, v24, v20
	v_mul_f32_e32 v23, v21, v19
	v_fma_f32 v24, -v1, v22, v4
	v_fma_f32 v25, -v12, v23, v21
	v_fmac_f32_e32 v22, v24, v18
	v_fmac_f32_e32 v23, v25, v19
	v_fma_f32 v1, -v1, v22, v4
	v_fma_f32 v4, -v12, v23, v21
	v_div_fmas_f32 v1, v1, v18, v22
	s_mov_b64 vcc, s[0:1]
	v_div_fixup_f32 v7, v1, v7, 1.0
	v_div_fmas_f32 v1, v4, v19, v23
	v_div_fixup_f32 v6, v1, v6, 1.0
	v_div_scale_f32 v1, vcc, 1.0, v9, 1.0
	v_mul_f32_e32 v4, v1, v20
	v_fma_f32 v12, -v13, v4, v1
	v_fmac_f32_e32 v4, v12, v20
	v_div_scale_f32 v12, s[0:1], v8, v8, 1.0
	v_fma_f32 v1, -v13, v4, v1
	v_rcp_f32_e32 v13, v12
	v_div_fmas_f32 v1, v1, v20, v4
	v_div_fixup_f32 v9, v1, v9, 1.0
	v_fma_f32 v1, -v12, v13, 1.0
	v_fmac_f32_e32 v13, v1, v13
	v_div_scale_f32 v1, vcc, 1.0, v8, 1.0
	v_mul_f32_e32 v4, v1, v13
	v_fma_f32 v18, -v12, v4, v1
	v_fmac_f32_e32 v4, v18, v13
	v_fma_f32 v1, -v12, v4, v1
	v_div_fmas_f32 v1, v1, v13, v4
	v_cmp_lt_f32_e32 vcc, v2, v3
	v_div_fixup_f32 v8, v1, v8, 1.0
	v_cndmask_b32_e32 v4, v2, v3, vcc
	global_store_dwordx4 v[10:11], v[6:9], off
	s_cbranch_scc1 .LBB225_8
; %bb.5:
	v_sub_f32_e32 v1, v4, v4
	v_mul_f32_e32 v7, 0x3fb8aa3b, v1
	s_mov_b32 s11, 0x3fb8aa3b
	v_rndne_f32_e32 v8, v7
	v_sub_f32_e32 v9, v7, v8
	v_fma_f32 v7, v1, s11, -v7
	v_fmac_f32_e32 v7, 0x32a5705f, v1
	v_add_f32_e32 v7, v9, v7
	v_exp_f32_e32 v7, v7
	v_cvt_i32_f32_e32 v8, v8
	v_cndmask_b32_e64 v20, 0, 1, vcc
	v_mul_lo_u32 v6, v17, s2
	v_cmp_le_i32_e64 s[0:1], s9, v20
	v_cmp_gt_i32_e64 s[2:3], s10, v20
	s_mov_b32 s20, 0xc2ce8ed0
	s_and_b64 s[22:23], s[0:1], s[2:3]
	v_ldexp_f32 v7, v7, v8
	v_cmp_ngt_f32_e64 s[0:1], s20, v1
	s_mov_b32 s21, 0x42b17218
	s_load_dwordx4 s[4:7], s[4:5], 0x20
	v_cndmask_b32_e64 v7, 0, v7, s[0:1]
	v_cmp_nlt_f32_e64 s[0:1], s21, v1
	v_ashrrev_i32_e32 v1, 31, v0
	v_lshlrev_b64 v[10:11], 2, v[0:1]
	v_cndmask_b32_e64 v14, v5, v7, s[0:1]
	v_mov_b32_e32 v1, s13
	v_add_co_u32_e64 v12, s[0:1], s12, v10
	v_addc_co_u32_e64 v13, s[2:3], v1, v11, s[0:1]
	v_ashrrev_i32_e32 v7, 31, v6
	v_subrev_u32_e32 v1, s9, v20
	s_and_b64 s[2:3], s[14:15], s[22:23]
	v_lshlrev_b64 v[8:9], 2, v[6:7]
	v_mul_lo_u32 v18, v17, s8
	v_cndmask_b32_e64 v1, 2, v1, s[2:3]
	s_waitcnt lgkmcnt(0)
	v_mov_b32_e32 v7, s5
	v_add_co_u32_e64 v6, s[2:3], s4, v8
	v_addc_co_u32_e64 v7, s[2:3], v7, v9, s[2:3]
	v_ashrrev_i32_e32 v19, 31, v18
	global_store_dword v[6:7], v1, off
	v_lshlrev_b64 v[6:7], 2, v[18:19]
	v_mov_b32_e32 v1, s7
	v_add_co_u32_e64 v18, s[2:3], s6, v6
	v_addc_co_u32_e64 v19, s[2:3], v1, v7, s[2:3]
	v_mov_b32_e32 v1, 0xff800000
	v_cndmask_b32_e32 v2, v1, v2, vcc
	v_cmp_ne_u32_e32 vcc, 1, v20
	s_cmp_eq_u32 s8, 1
	v_cndmask_b32_e32 v3, v1, v3, vcc
	global_store_dword v[12:13], v14, off
	global_store_dword v[18:19], v17, off
	s_cbranch_scc1 .LBB225_8
; %bb.6:
	v_mov_b32_e32 v10, s7
	v_add_co_u32_e32 v6, vcc, s6, v6
	v_addc_co_u32_e32 v7, vcc, v7, v10, vcc
	v_add_co_u32_e32 v6, vcc, 4, v6
	v_addc_co_u32_e32 v7, vcc, 0, v7, vcc
	v_mov_b32_e32 v10, s5
	v_add_co_u32_e32 v8, vcc, s4, v8
	v_addc_co_u32_e32 v9, vcc, v9, v10, vcc
	v_add_co_u32_e32 v8, vcc, 4, v8
	v_mov_b32_e32 v10, s13
	v_addc_co_u32_e32 v9, vcc, 0, v9, vcc
	v_addc_co_u32_e64 v11, vcc, v11, v10, s[0:1]
	v_add_co_u32_e32 v10, vcc, 4, v12
	s_add_i32 s19, s19, s18
	v_addc_co_u32_e32 v11, vcc, 0, v11, vcc
	s_add_i32 s2, s8, -1
	v_add3_u32 v12, s19, v16, v15
	v_mov_b32_e32 v13, 0x7f800000
.LBB225_7:                              ; =>This Inner Loop Header: Depth=1
	v_cmp_gt_f32_e32 vcc, v3, v2
	v_cndmask_b32_e32 v15, v2, v3, vcc
	v_cndmask_b32_e64 v16, 0, 1, vcc
	v_sub_f32_e32 v15, v15, v4
	v_cndmask_b32_e32 v3, v3, v1, vcc
	v_cndmask_b32_e32 v2, v1, v2, vcc
	v_cmp_le_i32_e32 vcc, s9, v16
	v_cmp_gt_i32_e64 s[0:1], s10, v16
	v_mul_f32_e32 v17, 0x3fb8aa3b, v15
	s_and_b64 s[0:1], vcc, s[0:1]
	v_fma_f32 v18, v15, s11, -v17
	v_rndne_f32_e32 v19, v17
	v_subrev_u32_e32 v16, s9, v16
	v_fmac_f32_e32 v18, 0x32a5705f, v15
	v_sub_f32_e32 v17, v17, v19
	s_and_b64 vcc, s[14:15], s[0:1]
	v_cndmask_b32_e32 v16, 2, v16, vcc
	v_add_f32_e32 v17, v17, v18
	v_cvt_i32_f32_e32 v19, v19
	global_store_dword v[8:9], v16, off
	global_store_dword v[6:7], v12, off
	v_add_co_u32_e32 v6, vcc, 4, v6
	v_exp_f32_e32 v16, v17
	v_addc_co_u32_e32 v7, vcc, 0, v7, vcc
	v_add_co_u32_e32 v8, vcc, 4, v8
	v_addc_co_u32_e32 v9, vcc, 0, v9, vcc
	v_ldexp_f32 v16, v16, v19
	v_cmp_ngt_f32_e32 vcc, s20, v15
	v_cndmask_b32_e32 v16, 0, v16, vcc
	v_cmp_nlt_f32_e32 vcc, s21, v15
	v_cndmask_b32_e32 v15, v13, v16, vcc
	s_add_i32 s2, s2, -1
	global_store_dword v[10:11], v15, off
	v_add_co_u32_e32 v10, vcc, 4, v10
	v_add_u32_e32 v12, s18, v12
	s_cmp_eq_u32 s2, 0
	v_add_f32_e32 v14, v14, v15
	v_addc_co_u32_e32 v11, vcc, 0, v11, vcc
	s_cbranch_scc0 .LBB225_7
.LBB225_8:
	v_pk_add_f32 v[2:3], v[2:3], v[4:5] op_sel_hi:[1,0] neg_lo:[0,1] neg_hi:[0,1]
	s_mov_b32 s0, 0x3fb8aa3b
	v_mul_f32_e32 v1, 0x3fb8aa3b, v3
	v_fma_f32 v4, v3, s0, -v1
	v_rndne_f32_e32 v6, v1
	v_fmac_f32_e32 v4, 0x32a5705f, v3
	v_sub_f32_e32 v1, v1, v6
	v_add_f32_e32 v1, v1, v4
	v_exp_f32_e32 v1, v1
	v_cvt_i32_f32_e32 v4, v6
	s_mov_b32 s1, 0xc2ce8ed0
	v_cmp_ngt_f32_e32 vcc, s1, v3
	v_ldexp_f32 v1, v1, v4
	v_mul_f32_e32 v4, 0x3fb8aa3b, v2
	v_fma_f32 v6, v2, s0, -v4
	v_rndne_f32_e32 v7, v4
	v_fmac_f32_e32 v6, 0x32a5705f, v2
	v_sub_f32_e32 v4, v4, v7
	v_add_f32_e32 v4, v4, v6
	v_exp_f32_e32 v4, v4
	v_cvt_i32_f32_e32 v6, v7
	s_mov_b32 s0, 0x42b17218
	v_cndmask_b32_e32 v1, 0, v1, vcc
	v_cmp_nlt_f32_e32 vcc, s0, v3
	v_cndmask_b32_e32 v1, v5, v1, vcc
	v_ldexp_f32 v3, v4, v6
	v_cmp_ngt_f32_e32 vcc, s1, v2
	v_cndmask_b32_e32 v3, 0, v3, vcc
	v_cmp_nlt_f32_e32 vcc, s0, v2
	v_cndmask_b32_e32 v2, v5, v3, vcc
	v_add_f32_e32 v1, v2, v1
	v_add_f32_e32 v1, v14, v1
	v_cmp_neq_f32_e32 vcc, 0, v1
	s_and_b64 exec, exec, vcc
	s_cbranch_execz .LBB225_19
; %bb.9:
	s_andn2_b64 vcc, exec, s[16:17]
	s_cbranch_vccnz .LBB225_19
; %bb.10:
	v_div_scale_f32 v2, s[0:1], v1, v1, 1.0
	v_rcp_f32_e32 v3, v2
	v_div_scale_f32 v4, vcc, 1.0, v1, 1.0
	s_cmp_gt_u32 s8, 3
	v_fma_f32 v5, -v2, v3, 1.0
	v_fmac_f32_e32 v3, v5, v3
	v_mul_f32_e32 v5, v4, v3
	v_fma_f32 v6, -v2, v5, v4
	v_fmac_f32_e32 v5, v6, v3
	v_fma_f32 v2, -v2, v5, v4
	v_div_fmas_f32 v2, v2, v3, v5
	v_div_fixup_f32 v2, v2, v1, 1.0
	v_ashrrev_i32_e32 v1, 31, v0
	s_cbranch_scc0 .LBB225_14
; %bb.11:
	v_lshlrev_b64 v[4:5], 2, v[0:1]
	v_mov_b32_e32 v6, s13
	v_add_co_u32_e32 v4, vcc, s12, v4
	v_addc_co_u32_e32 v5, vcc, v5, v6, vcc
	s_and_b32 s4, s8, 0x7ffffffc
	v_add_co_u32_e32 v4, vcc, 8, v4
	v_mov_b32_e32 v3, v2
	v_addc_co_u32_e32 v5, vcc, 0, v5, vcc
	s_mov_b32 s0, s4
.LBB225_12:                             ; =>This Inner Loop Header: Depth=1
	global_load_dwordx4 v[6:9], v[4:5], off offset:-8
	s_add_i32 s0, s0, -4
	s_cmp_lg_u32 s0, 0
	s_waitcnt vmcnt(0)
	v_pk_mul_f32 v[6:7], v[2:3], v[6:7]
	v_pk_mul_f32 v[8:9], v[2:3], v[8:9]
	global_store_dwordx4 v[4:5], v[6:9], off offset:-8
	v_add_co_u32_e32 v4, vcc, 16, v4
	v_addc_co_u32_e32 v5, vcc, 0, v5, vcc
	s_cbranch_scc1 .LBB225_12
; %bb.13:
	s_cmp_lg_u32 s4, s8
	s_cselect_b64 s[0:1], -1, 0
	s_branch .LBB225_16
.LBB225_14:
	s_mov_b64 s[0:1], 0
                                        ; implicit-def: $sgpr4
	s_cbranch_execz .LBB225_16
; %bb.15:
	s_mov_b64 s[0:1], -1
	s_mov_b32 s4, 0
.LBB225_16:
	s_andn2_b64 vcc, exec, s[0:1]
	s_cbranch_vccnz .LBB225_19
; %bb.17:
	v_add_co_u32_e32 v0, vcc, s4, v0
	v_addc_co_u32_e32 v1, vcc, 0, v1, vcc
	v_lshlrev_b64 v[0:1], 2, v[0:1]
	v_mov_b32_e32 v3, s13
	v_add_co_u32_e32 v0, vcc, s12, v0
	s_sub_i32 s0, s8, s4
	v_addc_co_u32_e32 v1, vcc, v3, v1, vcc
.LBB225_18:                             ; =>This Inner Loop Header: Depth=1
	global_load_dword v3, v[0:1], off
	s_add_i32 s0, s0, -1
	s_cmp_lg_u32 s0, 0
	s_waitcnt vmcnt(0)
	v_mul_f32_e32 v3, v2, v3
	global_store_dword v[0:1], v3, off
	v_add_co_u32_e32 v0, vcc, 4, v0
	v_addc_co_u32_e32 v1, vcc, 0, v1, vcc
	s_cbranch_scc1 .LBB225_18
.LBB225_19:
	s_endpgm
	.section	.rodata,"a",@progbits
	.p2align	6, 0x0
	.amdhsa_kernel _ZN4vllm3moe17topkGatingSoftmaxItLi2ELi2ELi8ELi4ELb0ELi4ELNS0_23SharedExpertScoringFuncE1EEEvPKT_PKbPfiPiS9_iiiiii
		.amdhsa_group_segment_fixed_size 0
		.amdhsa_private_segment_fixed_size 0
		.amdhsa_kernarg_size 72
		.amdhsa_user_sgpr_count 6
		.amdhsa_user_sgpr_private_segment_buffer 1
		.amdhsa_user_sgpr_dispatch_ptr 0
		.amdhsa_user_sgpr_queue_ptr 0
		.amdhsa_user_sgpr_kernarg_segment_ptr 1
		.amdhsa_user_sgpr_dispatch_id 0
		.amdhsa_user_sgpr_flat_scratch_init 0
		.amdhsa_user_sgpr_kernarg_preload_length 0
		.amdhsa_user_sgpr_kernarg_preload_offset 0
		.amdhsa_user_sgpr_private_segment_size 0
		.amdhsa_uses_dynamic_stack 0
		.amdhsa_system_sgpr_private_segment_wavefront_offset 0
		.amdhsa_system_sgpr_workgroup_id_x 1
		.amdhsa_system_sgpr_workgroup_id_y 0
		.amdhsa_system_sgpr_workgroup_id_z 0
		.amdhsa_system_sgpr_workgroup_info 0
		.amdhsa_system_vgpr_workitem_id 1
		.amdhsa_next_free_vgpr 26
		.amdhsa_next_free_sgpr 24
		.amdhsa_accum_offset 28
		.amdhsa_reserve_vcc 1
		.amdhsa_reserve_flat_scratch 0
		.amdhsa_float_round_mode_32 0
		.amdhsa_float_round_mode_16_64 0
		.amdhsa_float_denorm_mode_32 3
		.amdhsa_float_denorm_mode_16_64 3
		.amdhsa_dx10_clamp 1
		.amdhsa_ieee_mode 1
		.amdhsa_fp16_overflow 0
		.amdhsa_tg_split 0
		.amdhsa_exception_fp_ieee_invalid_op 0
		.amdhsa_exception_fp_denorm_src 0
		.amdhsa_exception_fp_ieee_div_zero 0
		.amdhsa_exception_fp_ieee_overflow 0
		.amdhsa_exception_fp_ieee_underflow 0
		.amdhsa_exception_fp_ieee_inexact 0
		.amdhsa_exception_int_div_zero 0
	.end_amdhsa_kernel
	.section	.text._ZN4vllm3moe17topkGatingSoftmaxItLi2ELi2ELi8ELi4ELb0ELi4ELNS0_23SharedExpertScoringFuncE1EEEvPKT_PKbPfiPiS9_iiiiii,"axG",@progbits,_ZN4vllm3moe17topkGatingSoftmaxItLi2ELi2ELi8ELi4ELb0ELi4ELNS0_23SharedExpertScoringFuncE1EEEvPKT_PKbPfiPiS9_iiiiii,comdat
.Lfunc_end225:
	.size	_ZN4vllm3moe17topkGatingSoftmaxItLi2ELi2ELi8ELi4ELb0ELi4ELNS0_23SharedExpertScoringFuncE1EEEvPKT_PKbPfiPiS9_iiiiii, .Lfunc_end225-_ZN4vllm3moe17topkGatingSoftmaxItLi2ELi2ELi8ELi4ELb0ELi4ELNS0_23SharedExpertScoringFuncE1EEEvPKT_PKbPfiPiS9_iiiiii
                                        ; -- End function
	.section	.AMDGPU.csdata,"",@progbits
; Kernel info:
; codeLenInByte = 2036
; NumSgprs: 28
; NumVgprs: 26
; NumAgprs: 0
; TotalNumVgprs: 26
; ScratchSize: 0
; MemoryBound: 0
; FloatMode: 240
; IeeeMode: 1
; LDSByteSize: 0 bytes/workgroup (compile time only)
; SGPRBlocks: 3
; VGPRBlocks: 3
; NumSGPRsForWavesPerEU: 28
; NumVGPRsForWavesPerEU: 26
; AccumOffset: 28
; Occupancy: 8
; WaveLimiterHint : 0
; COMPUTE_PGM_RSRC2:SCRATCH_EN: 0
; COMPUTE_PGM_RSRC2:USER_SGPR: 6
; COMPUTE_PGM_RSRC2:TRAP_HANDLER: 0
; COMPUTE_PGM_RSRC2:TGID_X_EN: 1
; COMPUTE_PGM_RSRC2:TGID_Y_EN: 0
; COMPUTE_PGM_RSRC2:TGID_Z_EN: 0
; COMPUTE_PGM_RSRC2:TIDIG_COMP_CNT: 1
; COMPUTE_PGM_RSRC3_GFX90A:ACCUM_OFFSET: 6
; COMPUTE_PGM_RSRC3_GFX90A:TG_SPLIT: 0
	.section	.text._ZN4vllm3moe17topkGatingSoftmaxItLi2ELi2ELi8ELi4ELb1ELi8ELNS0_23SharedExpertScoringFuncE1EEEvPKT_PKbPfiPiS9_iiiiii,"axG",@progbits,_ZN4vllm3moe17topkGatingSoftmaxItLi2ELi2ELi8ELi4ELb1ELi8ELNS0_23SharedExpertScoringFuncE1EEEvPKT_PKbPfiPiS9_iiiiii,comdat
	.protected	_ZN4vllm3moe17topkGatingSoftmaxItLi2ELi2ELi8ELi4ELb1ELi8ELNS0_23SharedExpertScoringFuncE1EEEvPKT_PKbPfiPiS9_iiiiii ; -- Begin function _ZN4vllm3moe17topkGatingSoftmaxItLi2ELi2ELi8ELi4ELb1ELi8ELNS0_23SharedExpertScoringFuncE1EEEvPKT_PKbPfiPiS9_iiiiii
	.globl	_ZN4vllm3moe17topkGatingSoftmaxItLi2ELi2ELi8ELi4ELb1ELi8ELNS0_23SharedExpertScoringFuncE1EEEvPKT_PKbPfiPiS9_iiiiii
	.p2align	8
	.type	_ZN4vllm3moe17topkGatingSoftmaxItLi2ELi2ELi8ELi4ELb1ELi8ELNS0_23SharedExpertScoringFuncE1EEEvPKT_PKbPfiPiS9_iiiiii,@function
_ZN4vllm3moe17topkGatingSoftmaxItLi2ELi2ELi8ELi4ELb1ELi8ELNS0_23SharedExpertScoringFuncE1EEEvPKT_PKbPfiPiS9_iiiiii: ; @_ZN4vllm3moe17topkGatingSoftmaxItLi2ELi2ELi8ELi4ELb1ELi8ELNS0_23SharedExpertScoringFuncE1EEEvPKT_PKbPfiPiS9_iiiiii
; %bb.0:
	s_load_dword s20, s[4:5], 0x18
	v_bfe_u32 v1, v0, 10, 10
	s_lshl_b32 s21, s6, 9
	v_lshlrev_b32_e32 v13, 6, v1
	v_and_b32_e32 v14, 0x3ff, v0
	v_add3_u32 v15, v13, v14, s21
	s_waitcnt lgkmcnt(0)
	v_cmp_gt_i32_e32 vcc, s20, v15
	s_and_saveexec_b64 s[0:1], vcc
	s_cbranch_execz .LBB226_19
; %bb.1:
	s_load_dwordx4 s[0:3], s[4:5], 0x0
	s_load_dwordx2 s[12:13], s[4:5], 0x10
	s_waitcnt lgkmcnt(0)
	s_cmp_eq_u64 s[2:3], 0
	s_cbranch_scc1 .LBB226_3
; %bb.2:
	v_ashrrev_i32_e32 v1, 31, v15
	v_mov_b32_e32 v2, s3
	v_add_co_u32_e32 v0, vcc, s2, v15
	v_addc_co_u32_e32 v1, vcc, v2, v1, vcc
	global_load_ubyte v0, v[0:1], off
	s_waitcnt vmcnt(0)
	v_and_b32_e32 v0, 1, v0
	v_cmp_eq_u32_e32 vcc, 1, v0
	s_xor_b64 s[2:3], vcc, -1
	s_orn2_b64 s[14:15], s[2:3], exec
	s_branch .LBB226_4
.LBB226_3:
	s_mov_b64 s[14:15], -1
.LBB226_4:
	s_load_dwordx2 s[16:17], s[4:5], 0x40
	s_load_dwordx4 s[8:11], s[4:5], 0x30
	v_mov_b32_e32 v2, s1
	v_mov_b32_e32 v10, s13
	s_mov_b32 s7, 0xbfb8aa3b
	s_waitcnt lgkmcnt(0)
	v_mul_lo_u32 v0, v15, s17
	v_ashrrev_i32_e32 v1, 31, v0
	v_lshlrev_b64 v[0:1], 1, v[0:1]
	v_add_co_u32_e32 v8, vcc, s0, v0
	v_addc_co_u32_e32 v9, vcc, v2, v1, vcc
	global_load_dwordx4 v[0:3], v[8:9], off
	global_load_dword v16, v[8:9], off offset:16
	v_mul_lo_u32 v4, v15, s11
	v_add_u32_e32 v6, s8, v4
	v_ashrrev_i32_e32 v7, 31, v6
	v_lshlrev_b64 v[6:7], 2, v[6:7]
	v_add_co_u32_e32 v6, vcc, s12, v6
	v_addc_co_u32_e32 v7, vcc, v10, v7, vcc
	s_mov_b32 s6, 0x42ce8ed0
	s_mov_b32 s17, 0xc2b17218
	v_mov_b32_e32 v5, 0x7f800000
	s_cmp_gt_i32 s8, 0
	v_mov_b32_e32 v12, 0
	s_cselect_b64 s[18:19], -1, 0
	s_cmp_lt_i32 s8, 1
	s_waitcnt vmcnt(1)
	v_cvt_f32_u32_sdwa v8, v1 dst_sel:DWORD dst_unused:UNUSED_PAD src0_sel:WORD_1
	v_cvt_f32_u32_sdwa v1, v1 dst_sel:DWORD dst_unused:UNUSED_PAD src0_sel:WORD_0
	v_cvt_f32_u32_sdwa v10, v2 dst_sel:DWORD dst_unused:UNUSED_PAD src0_sel:WORD_1
	v_cvt_f32_u32_sdwa v2, v2 dst_sel:DWORD dst_unused:UNUSED_PAD src0_sel:WORD_0
	v_mul_f32_e32 v9, 0xbfb8aa3b, v8
	v_mul_f32_e32 v11, 0xbfb8aa3b, v1
	v_fma_f32 v19, v8, s7, -v9
	v_rndne_f32_e32 v20, v9
	v_mul_f32_e32 v17, 0xbfb8aa3b, v10
	v_fma_f32 v21, v1, s7, -v11
	v_rndne_f32_e32 v22, v11
	v_fmac_f32_e32 v19, 0xb2a5705f, v8
	v_sub_f32_e32 v9, v9, v20
	v_mul_f32_e32 v18, 0xbfb8aa3b, v2
	v_fma_f32 v23, v10, s7, -v17
	v_rndne_f32_e32 v24, v17
	v_fmac_f32_e32 v21, 0xb2a5705f, v1
	v_sub_f32_e32 v11, v11, v22
	v_add_f32_e32 v9, v9, v19
	v_fma_f32 v25, v2, s7, -v18
	v_rndne_f32_e32 v26, v18
	v_cvt_i32_f32_e32 v20, v20
	v_fmac_f32_e32 v23, 0xb2a5705f, v10
	v_sub_f32_e32 v17, v17, v24
	v_add_f32_e32 v11, v11, v21
	v_exp_f32_e32 v9, v9
	v_cvt_i32_f32_e32 v22, v22
	v_fmac_f32_e32 v25, 0xb2a5705f, v2
	v_sub_f32_e32 v18, v18, v26
	v_add_f32_e32 v17, v17, v23
	v_exp_f32_e32 v11, v11
	v_cvt_i32_f32_e32 v24, v24
	v_add_f32_e32 v18, v18, v25
	v_exp_f32_e32 v17, v17
	v_cvt_i32_f32_e32 v26, v26
	v_exp_f32_e32 v18, v18
	v_ldexp_f32 v9, v9, v20
	v_cmp_nlt_f32_e32 vcc, s6, v8
	v_ldexp_f32 v11, v11, v22
	v_cndmask_b32_e32 v9, 0, v9, vcc
	v_cmp_nlt_f32_e32 vcc, s6, v1
	v_ldexp_f32 v17, v17, v24
	v_cndmask_b32_e32 v11, 0, v11, vcc
	;; [unrolled: 3-line block ×3, first 2 shown]
	v_cmp_nlt_f32_e32 vcc, s6, v2
	v_cndmask_b32_e32 v18, 0, v18, vcc
	v_cmp_ngt_f32_e32 vcc, s17, v8
	v_cndmask_b32_e32 v9, v5, v9, vcc
	v_cmp_ngt_f32_e32 vcc, s17, v1
	;; [unrolled: 2-line block ×4, first 2 shown]
	v_pk_add_f32 v[8:9], v[8:9], 1.0 op_sel_hi:[1,0]
	v_cndmask_b32_e32 v10, v5, v18, vcc
	v_div_scale_f32 v1, s[0:1], v9, v9, 1.0
	v_pk_add_f32 v[10:11], v[10:11], 1.0 op_sel_hi:[1,0]
	v_div_scale_f32 v17, s[0:1], v8, v8, 1.0
	v_rcp_f32_e32 v20, v1
	v_div_scale_f32 v19, s[2:3], v11, v11, 1.0
	v_rcp_f32_e32 v21, v17
	v_rcp_f32_e32 v22, v19
	v_fma_f32 v24, -v1, v20, 1.0
	v_div_scale_f32 v2, vcc, 1.0, v9, 1.0
	v_fma_f32 v25, -v17, v21, 1.0
	v_fmac_f32_e32 v20, v24, v20
	v_div_scale_f32 v18, s[0:1], 1.0, v8, 1.0
	v_fma_f32 v26, -v19, v22, 1.0
	v_fmac_f32_e32 v21, v25, v21
	v_mul_f32_e32 v24, v2, v20
	v_fmac_f32_e32 v22, v26, v22
	v_mul_f32_e32 v25, v18, v21
	v_fma_f32 v26, -v1, v24, v2
	v_fma_f32 v27, -v17, v25, v18
	v_fmac_f32_e32 v24, v26, v20
	v_fmac_f32_e32 v25, v27, v21
	v_fma_f32 v1, -v1, v24, v2
	v_fma_f32 v2, -v17, v25, v18
	v_div_fmas_f32 v1, v1, v20, v24
	s_mov_b64 vcc, s[0:1]
	v_div_scale_f32 v23, s[2:3], 1.0, v11, 1.0
	v_div_fixup_f32 v9, v1, v9, 1.0
	v_div_fmas_f32 v1, v2, v21, v25
	v_div_fixup_f32 v8, v1, v8, 1.0
	v_mul_f32_e32 v1, v23, v22
	v_div_scale_f32 v17, s[0:1], v10, v10, 1.0
	v_fma_f32 v2, -v19, v1, v23
	v_rcp_f32_e32 v18, v17
	v_fmac_f32_e32 v1, v2, v22
	v_fma_f32 v2, -v19, v1, v23
	s_mov_b64 vcc, s[2:3]
	v_div_fmas_f32 v1, v2, v22, v1
	v_div_fixup_f32 v11, v1, v11, 1.0
	v_fma_f32 v1, -v17, v18, 1.0
	v_fmac_f32_e32 v18, v1, v18
	v_cvt_f32_u32_sdwa v1, v3 dst_sel:DWORD dst_unused:UNUSED_PAD src0_sel:WORD_1
	v_div_scale_f32 v2, vcc, 1.0, v10, 1.0
	v_mul_f32_e32 v19, v2, v18
	v_mul_f32_e32 v21, 0xbfb8aa3b, v1
	v_fma_f32 v22, v1, s7, -v21
	v_rndne_f32_e32 v23, v21
	v_fmac_f32_e32 v22, 0xb2a5705f, v1
	v_sub_f32_e32 v21, v21, v23
	v_add_f32_e32 v21, v21, v22
	v_cvt_i32_f32_e32 v22, v23
	v_cvt_f32_u32_sdwa v23, v3 dst_sel:DWORD dst_unused:UNUSED_PAD src0_sel:WORD_0
	v_exp_f32_e32 v21, v21
	v_fma_f32 v20, -v17, v19, v2
	v_fmac_f32_e32 v19, v20, v18
	v_mul_f32_e32 v3, 0xbfb8aa3b, v23
	v_fma_f32 v17, -v17, v19, v2
	v_ldexp_f32 v2, v21, v22
	v_fma_f32 v20, v23, s7, -v3
	v_rndne_f32_e32 v21, v3
	v_fmac_f32_e32 v20, 0xb2a5705f, v23
	v_sub_f32_e32 v3, v3, v21
	v_add_f32_e32 v3, v3, v20
	v_exp_f32_e32 v20, v3
	v_cvt_i32_f32_e32 v21, v21
	v_cmp_nlt_f32_e64 s[0:1], s6, v1
	v_cndmask_b32_e64 v2, 0, v2, s[0:1]
	v_cmp_ngt_f32_e64 s[0:1], s17, v1
	v_cndmask_b32_e64 v3, v5, v2, s[0:1]
	v_ldexp_f32 v1, v20, v21
	v_cmp_nlt_f32_e64 s[0:1], s6, v23
	v_cndmask_b32_e64 v1, 0, v1, s[0:1]
	v_cmp_ngt_f32_e64 s[0:1], s17, v23
	v_cndmask_b32_e64 v2, v5, v1, s[0:1]
	v_pk_add_f32 v[2:3], v[2:3], 1.0 op_sel_hi:[1,0]
	v_div_scale_f32 v1, s[0:1], v3, v3, 1.0
	v_rcp_f32_e32 v20, v1
	v_div_fmas_f32 v17, v17, v18, v19
	v_div_fixup_f32 v10, v17, v10, 1.0
	global_store_dwordx4 v[6:7], v[8:11], off
	s_nop 0
	v_fma_f32 v8, -v1, v20, 1.0
	v_fmac_f32_e32 v20, v8, v20
	v_div_scale_f32 v8, vcc, 1.0, v3, 1.0
	v_mul_f32_e32 v9, v8, v20
	v_fma_f32 v10, -v1, v9, v8
	v_fmac_f32_e32 v9, v10, v20
	v_fma_f32 v1, -v1, v9, v8
	v_div_scale_f32 v8, s[0:1], v2, v2, 1.0
	v_rcp_f32_e32 v17, v8
	v_div_fmas_f32 v1, v1, v20, v9
	v_div_fixup_f32 v9, v1, v3, 1.0
	v_div_scale_f32 v3, vcc, 1.0, v2, 1.0
	v_fma_f32 v1, -v8, v17, 1.0
	v_fmac_f32_e32 v17, v1, v17
	s_waitcnt vmcnt(1)
	v_cvt_f32_u32_sdwa v1, v16 dst_sel:DWORD dst_unused:UNUSED_PAD src0_sel:WORD_1
	v_cvt_f32_u32_sdwa v16, v16 dst_sel:DWORD dst_unused:UNUSED_PAD src0_sel:WORD_0
	v_mul_f32_e32 v18, v3, v17
	v_fma_f32 v10, -v8, v18, v3
	v_mul_f32_e32 v11, 0xbfb8aa3b, v1
	v_fma_f32 v19, v1, s7, -v11
	v_rndne_f32_e32 v20, v11
	v_fmac_f32_e32 v19, 0xb2a5705f, v1
	v_sub_f32_e32 v11, v11, v20
	v_add_f32_e32 v11, v11, v19
	v_exp_f32_e32 v11, v11
	v_cvt_i32_f32_e32 v19, v20
	v_fmac_f32_e32 v18, v10, v17
	v_mul_f32_e32 v10, 0xbfb8aa3b, v16
	v_fma_f32 v3, -v8, v18, v3
	v_ldexp_f32 v8, v11, v19
	v_fma_f32 v11, v16, s7, -v10
	v_rndne_f32_e32 v19, v10
	v_fmac_f32_e32 v11, 0xb2a5705f, v16
	v_sub_f32_e32 v10, v10, v19
	v_add_f32_e32 v10, v10, v11
	v_exp_f32_e32 v10, v10
	v_cvt_i32_f32_e32 v19, v19
	v_cmp_nlt_f32_e64 s[0:1], s6, v1
	v_cndmask_b32_e64 v8, 0, v8, s[0:1]
	v_cmp_ngt_f32_e64 s[0:1], s17, v1
	v_cndmask_b32_e64 v11, v5, v8, s[0:1]
	v_ldexp_f32 v1, v10, v19
	v_cmp_nlt_f32_e64 s[0:1], s6, v16
	v_cndmask_b32_e64 v1, 0, v1, s[0:1]
	v_cmp_ngt_f32_e64 s[0:1], s17, v16
	v_cndmask_b32_e64 v10, v5, v1, s[0:1]
	v_pk_add_f32 v[10:11], v[10:11], 1.0 op_sel_hi:[1,0]
	v_div_scale_f32 v1, s[0:1], v11, v11, 1.0
	v_rcp_f32_e32 v16, v1
	v_div_fmas_f32 v3, v3, v17, v18
	v_div_fixup_f32 v8, v3, v2, 1.0
	v_fma_f32 v2, -v1, v16, 1.0
	v_fmac_f32_e32 v16, v2, v16
	v_div_scale_f32 v2, vcc, 1.0, v11, 1.0
	v_mul_f32_e32 v3, v2, v16
	v_fma_f32 v17, -v1, v3, v2
	v_fmac_f32_e32 v3, v17, v16
	v_fma_f32 v1, -v1, v3, v2
	v_div_scale_f32 v2, s[0:1], v10, v10, 1.0
	v_rcp_f32_e32 v17, v2
	v_div_fmas_f32 v1, v1, v16, v3
	v_div_fixup_f32 v11, v1, v11, 1.0
	v_fma_f32 v1, -v2, v17, 1.0
	v_fmac_f32_e32 v17, v1, v17
	v_div_scale_f32 v1, vcc, 1.0, v10, 1.0
	v_mul_f32_e32 v3, v1, v17
	v_fma_f32 v16, -v2, v3, v1
	v_fmac_f32_e32 v3, v16, v17
	v_fma_f32 v1, -v2, v3, v1
	v_div_fmas_f32 v1, v1, v17, v3
	v_div_fixup_f32 v10, v1, v10, 1.0
	global_store_dwordx4 v[6:7], v[8:11], off offset:16
	s_cbranch_scc1 .LBB226_8
; %bb.5:
	v_cvt_f32_u32_sdwa v1, v0 dst_sel:DWORD dst_unused:UNUSED_PAD src0_sel:WORD_1
	v_cvt_f32_u32_sdwa v0, v0 dst_sel:DWORD dst_unused:UNUSED_PAD src0_sel:WORD_0
	s_mov_b32 s11, 0x3fb8aa3b
	v_mul_lo_u32 v2, v15, s16
	s_mov_b32 s16, 0xc2ce8ed0
	v_cmp_lt_f32_e32 vcc, v0, v1
	v_cndmask_b32_e32 v16, v0, v1, vcc
	v_sub_f32_e32 v3, v16, v16
	v_mul_f32_e32 v6, 0x3fb8aa3b, v3
	v_fma_f32 v7, v3, s11, -v6
	v_rndne_f32_e32 v8, v6
	v_fmac_f32_e32 v7, 0x32a5705f, v3
	v_sub_f32_e32 v6, v6, v8
	v_add_f32_e32 v6, v6, v7
	v_exp_f32_e32 v6, v6
	v_cvt_i32_f32_e32 v7, v8
	v_cndmask_b32_e64 v17, 0, 1, vcc
	v_cmp_le_i32_e64 s[0:1], s9, v17
	v_cmp_gt_i32_e64 s[2:3], s10, v17
	s_and_b64 s[22:23], s[0:1], s[2:3]
	v_ldexp_f32 v6, v6, v7
	v_cmp_ngt_f32_e64 s[0:1], s16, v3
	s_mov_b32 s17, 0x42b17218
	v_cndmask_b32_e64 v6, 0, v6, s[0:1]
	v_cmp_nlt_f32_e64 s[0:1], s17, v3
	v_cndmask_b32_e64 v12, v5, v6, s[0:1]
	v_ashrrev_i32_e32 v5, 31, v4
	v_lshlrev_b64 v[8:9], 2, v[4:5]
	s_load_dwordx4 s[4:7], s[4:5], 0x20
	v_mov_b32_e32 v3, s13
	v_add_co_u32_e64 v10, s[0:1], s12, v8
	v_addc_co_u32_e64 v11, s[2:3], v3, v9, s[0:1]
	v_subrev_u32_e32 v3, s9, v17
	s_and_b64 s[2:3], s[14:15], s[22:23]
	v_cndmask_b32_e64 v5, 2, v3, s[2:3]
	v_ashrrev_i32_e32 v3, 31, v2
	v_lshlrev_b64 v[6:7], 2, v[2:3]
	v_mul_lo_u32 v18, v15, s8
	s_waitcnt lgkmcnt(0)
	v_mov_b32_e32 v3, s5
	v_add_co_u32_e64 v2, s[2:3], s4, v6
	v_addc_co_u32_e64 v3, s[2:3], v3, v7, s[2:3]
	v_ashrrev_i32_e32 v19, 31, v18
	global_store_dword v[2:3], v5, off
	v_lshlrev_b64 v[2:3], 2, v[18:19]
	v_mov_b32_e32 v5, s7
	v_add_co_u32_e64 v18, s[2:3], s6, v2
	v_addc_co_u32_e64 v19, s[2:3], v5, v3, s[2:3]
	s_cmp_eq_u32 s8, 1
	global_store_dword v[10:11], v12, off
	global_store_dword v[18:19], v15, off
	s_cbranch_scc1 .LBB226_8
; %bb.6:
	v_mov_b32_e32 v5, 0xff800000
	v_cndmask_b32_e32 v0, v5, v0, vcc
	v_cmp_ne_u32_e32 vcc, 1, v17
	v_cndmask_b32_e32 v1, v5, v1, vcc
	v_mov_b32_e32 v8, s7
	v_add_co_u32_e32 v2, vcc, s6, v2
	v_addc_co_u32_e32 v3, vcc, v3, v8, vcc
	v_add_co_u32_e32 v2, vcc, 4, v2
	v_addc_co_u32_e32 v3, vcc, 0, v3, vcc
	v_mov_b32_e32 v8, s5
	v_add_co_u32_e32 v6, vcc, s4, v6
	v_addc_co_u32_e32 v7, vcc, v7, v8, vcc
	v_add_co_u32_e32 v6, vcc, 4, v6
	v_mov_b32_e32 v8, s13
	v_addc_co_u32_e32 v7, vcc, 0, v7, vcc
	v_addc_co_u32_e64 v9, vcc, v9, v8, s[0:1]
	v_add_co_u32_e32 v8, vcc, 4, v10
	s_add_i32 s21, s21, s20
	v_addc_co_u32_e32 v9, vcc, 0, v9, vcc
	s_add_i32 s2, s8, -1
	v_add3_u32 v10, s21, v14, v13
	v_mov_b32_e32 v11, 0x7f800000
.LBB226_7:                              ; =>This Inner Loop Header: Depth=1
	v_cmp_gt_f32_e32 vcc, v1, v0
	v_cndmask_b32_e32 v13, v0, v1, vcc
	v_cndmask_b32_e64 v14, 0, 1, vcc
	v_sub_f32_e32 v13, v13, v16
	v_cndmask_b32_e32 v1, v1, v5, vcc
	v_cndmask_b32_e32 v0, v5, v0, vcc
	v_cmp_le_i32_e32 vcc, s9, v14
	v_cmp_gt_i32_e64 s[0:1], s10, v14
	v_mul_f32_e32 v15, 0x3fb8aa3b, v13
	s_and_b64 s[0:1], vcc, s[0:1]
	v_fma_f32 v17, v13, s11, -v15
	v_rndne_f32_e32 v18, v15
	v_subrev_u32_e32 v14, s9, v14
	v_fmac_f32_e32 v17, 0x32a5705f, v13
	v_sub_f32_e32 v15, v15, v18
	s_and_b64 vcc, s[14:15], s[0:1]
	v_cndmask_b32_e32 v14, 2, v14, vcc
	v_add_f32_e32 v15, v15, v17
	v_cvt_i32_f32_e32 v18, v18
	global_store_dword v[6:7], v14, off
	global_store_dword v[2:3], v10, off
	v_add_co_u32_e32 v2, vcc, 4, v2
	v_exp_f32_e32 v14, v15
	v_addc_co_u32_e32 v3, vcc, 0, v3, vcc
	v_add_co_u32_e32 v6, vcc, 4, v6
	v_addc_co_u32_e32 v7, vcc, 0, v7, vcc
	v_ldexp_f32 v14, v14, v18
	v_cmp_ngt_f32_e32 vcc, s16, v13
	v_cndmask_b32_e32 v14, 0, v14, vcc
	v_cmp_nlt_f32_e32 vcc, s17, v13
	v_cndmask_b32_e32 v13, v11, v14, vcc
	s_add_i32 s2, s2, -1
	global_store_dword v[8:9], v13, off
	v_add_co_u32_e32 v8, vcc, 4, v8
	v_add_u32_e32 v10, s20, v10
	s_cmp_eq_u32 s2, 0
	v_add_f32_e32 v12, v12, v13
	v_addc_co_u32_e32 v9, vcc, 0, v9, vcc
	s_cbranch_scc0 .LBB226_7
.LBB226_8:
	v_cmp_neq_f32_e32 vcc, 0, v12
	s_and_b64 exec, exec, vcc
	s_cbranch_execz .LBB226_19
; %bb.9:
	s_andn2_b64 vcc, exec, s[18:19]
	s_cbranch_vccnz .LBB226_19
; %bb.10:
	v_div_scale_f32 v0, s[0:1], v12, v12, 1.0
	v_rcp_f32_e32 v1, v0
	v_div_scale_f32 v2, vcc, 1.0, v12, 1.0
	s_cmp_gt_u32 s8, 3
	v_fma_f32 v3, -v0, v1, 1.0
	v_fmac_f32_e32 v1, v3, v1
	v_mul_f32_e32 v3, v2, v1
	v_fma_f32 v5, -v0, v3, v2
	v_fmac_f32_e32 v3, v5, v1
	v_fma_f32 v0, -v0, v3, v2
	v_div_fmas_f32 v0, v0, v1, v3
	v_div_fixup_f32 v0, v0, v12, 1.0
	v_ashrrev_i32_e32 v5, 31, v4
	s_cbranch_scc0 .LBB226_14
; %bb.11:
	v_lshlrev_b64 v[2:3], 2, v[4:5]
	v_mov_b32_e32 v6, s13
	v_add_co_u32_e32 v2, vcc, s12, v2
	v_addc_co_u32_e32 v3, vcc, v3, v6, vcc
	s_and_b32 s4, s8, 0x7ffffffc
	v_add_co_u32_e32 v2, vcc, 8, v2
	v_mov_b32_e32 v1, v0
	v_addc_co_u32_e32 v3, vcc, 0, v3, vcc
	s_mov_b32 s0, s4
.LBB226_12:                             ; =>This Inner Loop Header: Depth=1
	global_load_dwordx4 v[6:9], v[2:3], off offset:-8
	s_add_i32 s0, s0, -4
	s_cmp_lg_u32 s0, 0
	s_waitcnt vmcnt(0)
	v_pk_mul_f32 v[6:7], v[0:1], v[6:7]
	v_pk_mul_f32 v[8:9], v[0:1], v[8:9]
	global_store_dwordx4 v[2:3], v[6:9], off offset:-8
	v_add_co_u32_e32 v2, vcc, 16, v2
	v_addc_co_u32_e32 v3, vcc, 0, v3, vcc
	s_cbranch_scc1 .LBB226_12
; %bb.13:
	s_cmp_lg_u32 s4, s8
	s_cselect_b64 s[0:1], -1, 0
	s_branch .LBB226_16
.LBB226_14:
	s_mov_b64 s[0:1], 0
                                        ; implicit-def: $sgpr4
	s_cbranch_execz .LBB226_16
; %bb.15:
	s_mov_b64 s[0:1], -1
	s_mov_b32 s4, 0
.LBB226_16:
	s_andn2_b64 vcc, exec, s[0:1]
	s_cbranch_vccnz .LBB226_19
; %bb.17:
	v_add_co_u32_e32 v2, vcc, s4, v4
	v_addc_co_u32_e32 v3, vcc, 0, v5, vcc
	v_lshlrev_b64 v[2:3], 2, v[2:3]
	v_mov_b32_e32 v1, s13
	v_add_co_u32_e32 v2, vcc, s12, v2
	s_sub_i32 s0, s8, s4
	v_addc_co_u32_e32 v3, vcc, v1, v3, vcc
.LBB226_18:                             ; =>This Inner Loop Header: Depth=1
	global_load_dword v1, v[2:3], off
	s_add_i32 s0, s0, -1
	s_cmp_lg_u32 s0, 0
	s_waitcnt vmcnt(0)
	v_mul_f32_e32 v1, v0, v1
	global_store_dword v[2:3], v1, off
	v_add_co_u32_e32 v2, vcc, 4, v2
	v_addc_co_u32_e32 v3, vcc, 0, v3, vcc
	s_cbranch_scc1 .LBB226_18
.LBB226_19:
	s_endpgm
	.section	.rodata,"a",@progbits
	.p2align	6, 0x0
	.amdhsa_kernel _ZN4vllm3moe17topkGatingSoftmaxItLi2ELi2ELi8ELi4ELb1ELi8ELNS0_23SharedExpertScoringFuncE1EEEvPKT_PKbPfiPiS9_iiiiii
		.amdhsa_group_segment_fixed_size 0
		.amdhsa_private_segment_fixed_size 0
		.amdhsa_kernarg_size 72
		.amdhsa_user_sgpr_count 6
		.amdhsa_user_sgpr_private_segment_buffer 1
		.amdhsa_user_sgpr_dispatch_ptr 0
		.amdhsa_user_sgpr_queue_ptr 0
		.amdhsa_user_sgpr_kernarg_segment_ptr 1
		.amdhsa_user_sgpr_dispatch_id 0
		.amdhsa_user_sgpr_flat_scratch_init 0
		.amdhsa_user_sgpr_kernarg_preload_length 0
		.amdhsa_user_sgpr_kernarg_preload_offset 0
		.amdhsa_user_sgpr_private_segment_size 0
		.amdhsa_uses_dynamic_stack 0
		.amdhsa_system_sgpr_private_segment_wavefront_offset 0
		.amdhsa_system_sgpr_workgroup_id_x 1
		.amdhsa_system_sgpr_workgroup_id_y 0
		.amdhsa_system_sgpr_workgroup_id_z 0
		.amdhsa_system_sgpr_workgroup_info 0
		.amdhsa_system_vgpr_workitem_id 1
		.amdhsa_next_free_vgpr 28
		.amdhsa_next_free_sgpr 24
		.amdhsa_accum_offset 28
		.amdhsa_reserve_vcc 1
		.amdhsa_reserve_flat_scratch 0
		.amdhsa_float_round_mode_32 0
		.amdhsa_float_round_mode_16_64 0
		.amdhsa_float_denorm_mode_32 3
		.amdhsa_float_denorm_mode_16_64 3
		.amdhsa_dx10_clamp 1
		.amdhsa_ieee_mode 1
		.amdhsa_fp16_overflow 0
		.amdhsa_tg_split 0
		.amdhsa_exception_fp_ieee_invalid_op 0
		.amdhsa_exception_fp_denorm_src 0
		.amdhsa_exception_fp_ieee_div_zero 0
		.amdhsa_exception_fp_ieee_overflow 0
		.amdhsa_exception_fp_ieee_underflow 0
		.amdhsa_exception_fp_ieee_inexact 0
		.amdhsa_exception_int_div_zero 0
	.end_amdhsa_kernel
	.section	.text._ZN4vllm3moe17topkGatingSoftmaxItLi2ELi2ELi8ELi4ELb1ELi8ELNS0_23SharedExpertScoringFuncE1EEEvPKT_PKbPfiPiS9_iiiiii,"axG",@progbits,_ZN4vllm3moe17topkGatingSoftmaxItLi2ELi2ELi8ELi4ELb1ELi8ELNS0_23SharedExpertScoringFuncE1EEEvPKT_PKbPfiPiS9_iiiiii,comdat
.Lfunc_end226:
	.size	_ZN4vllm3moe17topkGatingSoftmaxItLi2ELi2ELi8ELi4ELb1ELi8ELNS0_23SharedExpertScoringFuncE1EEEvPKT_PKbPfiPiS9_iiiiii, .Lfunc_end226-_ZN4vllm3moe17topkGatingSoftmaxItLi2ELi2ELi8ELi4ELb1ELi8ELNS0_23SharedExpertScoringFuncE1EEEvPKT_PKbPfiPiS9_iiiiii
                                        ; -- End function
	.section	.AMDGPU.csdata,"",@progbits
; Kernel info:
; codeLenInByte = 2560
; NumSgprs: 28
; NumVgprs: 28
; NumAgprs: 0
; TotalNumVgprs: 28
; ScratchSize: 0
; MemoryBound: 0
; FloatMode: 240
; IeeeMode: 1
; LDSByteSize: 0 bytes/workgroup (compile time only)
; SGPRBlocks: 3
; VGPRBlocks: 3
; NumSGPRsForWavesPerEU: 28
; NumVGPRsForWavesPerEU: 28
; AccumOffset: 28
; Occupancy: 8
; WaveLimiterHint : 0
; COMPUTE_PGM_RSRC2:SCRATCH_EN: 0
; COMPUTE_PGM_RSRC2:USER_SGPR: 6
; COMPUTE_PGM_RSRC2:TRAP_HANDLER: 0
; COMPUTE_PGM_RSRC2:TGID_X_EN: 1
; COMPUTE_PGM_RSRC2:TGID_Y_EN: 0
; COMPUTE_PGM_RSRC2:TGID_Z_EN: 0
; COMPUTE_PGM_RSRC2:TIDIG_COMP_CNT: 1
; COMPUTE_PGM_RSRC3_GFX90A:ACCUM_OFFSET: 6
; COMPUTE_PGM_RSRC3_GFX90A:TG_SPLIT: 0
	.section	.text._ZN4vllm3moe17topkGatingSoftmaxItLi2ELi2ELi8ELi4ELb0ELi8ELNS0_23SharedExpertScoringFuncE1EEEvPKT_PKbPfiPiS9_iiiiii,"axG",@progbits,_ZN4vllm3moe17topkGatingSoftmaxItLi2ELi2ELi8ELi4ELb0ELi8ELNS0_23SharedExpertScoringFuncE1EEEvPKT_PKbPfiPiS9_iiiiii,comdat
	.protected	_ZN4vllm3moe17topkGatingSoftmaxItLi2ELi2ELi8ELi4ELb0ELi8ELNS0_23SharedExpertScoringFuncE1EEEvPKT_PKbPfiPiS9_iiiiii ; -- Begin function _ZN4vllm3moe17topkGatingSoftmaxItLi2ELi2ELi8ELi4ELb0ELi8ELNS0_23SharedExpertScoringFuncE1EEEvPKT_PKbPfiPiS9_iiiiii
	.globl	_ZN4vllm3moe17topkGatingSoftmaxItLi2ELi2ELi8ELi4ELb0ELi8ELNS0_23SharedExpertScoringFuncE1EEEvPKT_PKbPfiPiS9_iiiiii
	.p2align	8
	.type	_ZN4vllm3moe17topkGatingSoftmaxItLi2ELi2ELi8ELi4ELb0ELi8ELNS0_23SharedExpertScoringFuncE1EEEvPKT_PKbPfiPiS9_iiiiii,@function
_ZN4vllm3moe17topkGatingSoftmaxItLi2ELi2ELi8ELi4ELb0ELi8ELNS0_23SharedExpertScoringFuncE1EEEvPKT_PKbPfiPiS9_iiiiii: ; @_ZN4vllm3moe17topkGatingSoftmaxItLi2ELi2ELi8ELi4ELb0ELi8ELNS0_23SharedExpertScoringFuncE1EEEvPKT_PKbPfiPiS9_iiiiii
; %bb.0:
	s_load_dword s18, s[4:5], 0x18
	v_bfe_u32 v1, v0, 10, 10
	s_lshl_b32 s19, s6, 9
	v_lshlrev_b32_e32 v16, 6, v1
	v_and_b32_e32 v17, 0x3ff, v0
	v_add3_u32 v18, v16, v17, s19
	s_waitcnt lgkmcnt(0)
	v_cmp_gt_i32_e32 vcc, s18, v18
	s_and_saveexec_b64 s[0:1], vcc
	s_cbranch_execz .LBB227_19
; %bb.1:
	s_load_dwordx4 s[0:3], s[4:5], 0x0
	s_load_dwordx2 s[12:13], s[4:5], 0x10
	s_waitcnt lgkmcnt(0)
	s_cmp_eq_u64 s[2:3], 0
	s_cbranch_scc1 .LBB227_3
; %bb.2:
	v_ashrrev_i32_e32 v1, 31, v18
	v_mov_b32_e32 v2, s3
	v_add_co_u32_e32 v0, vcc, s2, v18
	v_addc_co_u32_e32 v1, vcc, v2, v1, vcc
	global_load_ubyte v0, v[0:1], off
	s_waitcnt vmcnt(0)
	v_and_b32_e32 v0, 1, v0
	v_cmp_eq_u32_e32 vcc, 1, v0
	s_xor_b64 s[2:3], vcc, -1
	s_orn2_b64 s[14:15], s[2:3], exec
	s_branch .LBB227_4
.LBB227_3:
	s_mov_b64 s[14:15], -1
.LBB227_4:
	s_load_dwordx2 s[2:3], s[4:5], 0x40
	s_load_dwordx4 s[8:11], s[4:5], 0x30
	v_mov_b32_e32 v2, s1
	v_mov_b32_e32 v5, s13
	s_mov_b32 s6, 0xbfb8aa3b
	s_waitcnt lgkmcnt(0)
	v_mul_lo_u32 v0, v18, s3
	v_ashrrev_i32_e32 v1, 31, v0
	v_lshlrev_b64 v[0:1], 1, v[0:1]
	v_add_co_u32_e32 v6, vcc, s0, v0
	v_addc_co_u32_e32 v7, vcc, v2, v1, vcc
	global_load_dwordx4 v[0:3], v[6:7], off
	v_mul_lo_u32 v4, v18, s11
	v_add_u32_e32 v8, s8, v4
	v_ashrrev_i32_e32 v9, 31, v8
	v_lshlrev_b64 v[8:9], 2, v[8:9]
	v_add_co_u32_e32 v8, vcc, s12, v8
	v_addc_co_u32_e32 v9, vcc, v5, v9, vcc
	global_load_dword v5, v[6:7], off offset:16
	s_mov_b32 s3, 0x42ce8ed0
	s_mov_b32 s7, 0xc2b17218
	v_mov_b32_e32 v14, 0x7f800000
	s_cmp_gt_i32 s8, 0
	v_mov_b32_e32 v15, 0
	s_cselect_b64 s[16:17], -1, 0
	s_cmp_lt_i32 s8, 1
	s_waitcnt vmcnt(1)
	v_cvt_f32_u32_sdwa v7, v0 dst_sel:DWORD dst_unused:UNUSED_PAD src0_sel:WORD_1
	v_cvt_f32_u32_sdwa v6, v0 dst_sel:DWORD dst_unused:UNUSED_PAD src0_sel:WORD_0
	v_cvt_f32_u32_sdwa v0, v1 dst_sel:DWORD dst_unused:UNUSED_PAD src0_sel:WORD_1
	v_cvt_f32_u32_sdwa v10, v1 dst_sel:DWORD dst_unused:UNUSED_PAD src0_sel:WORD_0
	;; [unrolled: 2-line block ×3, first 2 shown]
	v_mul_f32_e32 v1, 0xbfb8aa3b, v0
	v_mul_f32_e32 v12, 0xbfb8aa3b, v10
	v_fma_f32 v20, v0, s6, -v1
	v_rndne_f32_e32 v21, v1
	v_mul_f32_e32 v13, 0xbfb8aa3b, v11
	v_fma_f32 v22, v10, s6, -v12
	v_rndne_f32_e32 v23, v12
	v_fmac_f32_e32 v20, 0xb2a5705f, v0
	v_sub_f32_e32 v1, v1, v21
	v_mul_f32_e32 v19, 0xbfb8aa3b, v2
	v_fma_f32 v24, v11, s6, -v13
	v_rndne_f32_e32 v25, v13
	v_fmac_f32_e32 v22, 0xb2a5705f, v10
	v_sub_f32_e32 v12, v12, v23
	v_add_f32_e32 v1, v1, v20
	v_fma_f32 v26, v2, s6, -v19
	v_rndne_f32_e32 v27, v19
	v_cvt_i32_f32_e32 v21, v21
	v_fmac_f32_e32 v24, 0xb2a5705f, v11
	v_sub_f32_e32 v13, v13, v25
	v_add_f32_e32 v12, v12, v22
	v_exp_f32_e32 v1, v1
	v_cvt_i32_f32_e32 v23, v23
	v_fmac_f32_e32 v26, 0xb2a5705f, v2
	v_sub_f32_e32 v19, v19, v27
	v_add_f32_e32 v13, v13, v24
	v_exp_f32_e32 v12, v12
	v_cvt_i32_f32_e32 v25, v25
	v_add_f32_e32 v19, v19, v26
	v_exp_f32_e32 v13, v13
	v_cvt_i32_f32_e32 v27, v27
	v_exp_f32_e32 v19, v19
	v_ldexp_f32 v1, v1, v21
	v_cmp_nlt_f32_e32 vcc, s3, v0
	v_ldexp_f32 v12, v12, v23
	v_cndmask_b32_e32 v1, 0, v1, vcc
	v_cmp_nlt_f32_e32 vcc, s3, v10
	v_ldexp_f32 v13, v13, v25
	v_cndmask_b32_e32 v12, 0, v12, vcc
	;; [unrolled: 3-line block ×3, first 2 shown]
	v_cmp_nlt_f32_e32 vcc, s3, v2
	v_cndmask_b32_e32 v19, 0, v19, vcc
	v_cmp_ngt_f32_e32 vcc, s7, v0
	v_cndmask_b32_e32 v1, v14, v1, vcc
	v_cmp_ngt_f32_e32 vcc, s7, v10
	;; [unrolled: 2-line block ×4, first 2 shown]
	v_pk_add_f32 v[0:1], v[0:1], 1.0 op_sel_hi:[1,0]
	v_cndmask_b32_e32 v10, v14, v19, vcc
	v_div_scale_f32 v2, s[0:1], v1, v1, 1.0
	v_pk_add_f32 v[12:13], v[10:11], 1.0 op_sel_hi:[1,0]
	v_div_scale_f32 v11, s[0:1], v0, v0, 1.0
	v_rcp_f32_e32 v20, v2
	v_div_scale_f32 v19, s[0:1], v13, v13, 1.0
	v_rcp_f32_e32 v21, v11
	v_rcp_f32_e32 v22, v19
	v_fma_f32 v24, -v2, v20, 1.0
	v_div_scale_f32 v10, vcc, 1.0, v1, 1.0
	v_fma_f32 v25, -v11, v21, 1.0
	v_fmac_f32_e32 v20, v24, v20
	v_div_scale_f32 v23, s[0:1], 1.0, v0, 1.0
	v_fma_f32 v26, -v19, v22, 1.0
	v_fmac_f32_e32 v21, v25, v21
	v_mul_f32_e32 v24, v10, v20
	v_fmac_f32_e32 v22, v26, v22
	v_mul_f32_e32 v25, v23, v21
	v_fma_f32 v26, -v2, v24, v10
	v_fma_f32 v27, -v11, v25, v23
	v_fmac_f32_e32 v24, v26, v20
	v_fmac_f32_e32 v25, v27, v21
	v_fma_f32 v2, -v2, v24, v10
	v_fma_f32 v10, -v11, v25, v23
	v_div_fmas_f32 v2, v2, v20, v24
	s_mov_b64 vcc, s[0:1]
	v_div_fixup_f32 v11, v2, v1, 1.0
	v_div_fmas_f32 v1, v10, v21, v25
	v_div_fixup_f32 v10, v1, v0, 1.0
	v_div_scale_f32 v0, vcc, 1.0, v13, 1.0
	v_mul_f32_e32 v1, v0, v22
	v_fma_f32 v2, -v19, v1, v0
	v_fmac_f32_e32 v1, v2, v22
	v_div_scale_f32 v2, s[0:1], v12, v12, 1.0
	v_fma_f32 v0, -v19, v1, v0
	v_rcp_f32_e32 v19, v2
	v_div_fmas_f32 v0, v0, v22, v1
	v_div_fixup_f32 v13, v0, v13, 1.0
	v_div_scale_f32 v1, vcc, 1.0, v12, 1.0
	v_fma_f32 v0, -v2, v19, 1.0
	v_fmac_f32_e32 v19, v0, v19
	v_cvt_f32_u32_sdwa v0, v3 dst_sel:DWORD dst_unused:UNUSED_PAD src0_sel:WORD_1
	v_cvt_f32_u32_sdwa v3, v3 dst_sel:DWORD dst_unused:UNUSED_PAD src0_sel:WORD_0
	v_mul_f32_e32 v20, v1, v19
	v_fma_f32 v21, -v2, v20, v1
	v_mul_f32_e32 v22, 0xbfb8aa3b, v0
	v_fma_f32 v23, v0, s6, -v22
	v_rndne_f32_e32 v24, v22
	v_fmac_f32_e32 v23, 0xb2a5705f, v0
	v_sub_f32_e32 v22, v22, v24
	v_add_f32_e32 v22, v22, v23
	v_exp_f32_e32 v22, v22
	v_cvt_i32_f32_e32 v23, v24
	v_fmac_f32_e32 v20, v21, v19
	v_mul_f32_e32 v21, 0xbfb8aa3b, v3
	v_fma_f32 v2, -v2, v20, v1
	v_ldexp_f32 v1, v22, v23
	v_fma_f32 v22, v3, s6, -v21
	v_rndne_f32_e32 v23, v21
	v_fmac_f32_e32 v22, 0xb2a5705f, v3
	v_sub_f32_e32 v21, v21, v23
	v_add_f32_e32 v21, v21, v22
	v_exp_f32_e32 v21, v21
	v_cvt_i32_f32_e32 v22, v23
	v_cmp_nlt_f32_e64 s[0:1], s3, v0
	v_cndmask_b32_e64 v1, 0, v1, s[0:1]
	v_cmp_ngt_f32_e64 s[0:1], s7, v0
	v_cndmask_b32_e64 v1, v14, v1, s[0:1]
	v_ldexp_f32 v0, v21, v22
	v_cmp_nlt_f32_e64 s[0:1], s3, v3
	v_cndmask_b32_e64 v0, 0, v0, s[0:1]
	v_cmp_ngt_f32_e64 s[0:1], s7, v3
	v_cndmask_b32_e64 v0, v14, v0, s[0:1]
	v_pk_add_f32 v[0:1], v[0:1], 1.0 op_sel_hi:[1,0]
	v_div_scale_f32 v3, s[0:1], v1, v1, 1.0
	v_rcp_f32_e32 v21, v3
	v_div_fmas_f32 v2, v2, v19, v20
	v_div_fixup_f32 v12, v2, v12, 1.0
	global_store_dwordx4 v[8:9], v[10:13], off
	v_fma_f32 v2, -v3, v21, 1.0
	v_fmac_f32_e32 v21, v2, v21
	v_div_scale_f32 v2, vcc, 1.0, v1, 1.0
	v_mul_f32_e32 v10, v2, v21
	v_fma_f32 v11, -v3, v10, v2
	v_fmac_f32_e32 v10, v11, v21
	v_fma_f32 v2, -v3, v10, v2
	v_div_scale_f32 v3, s[0:1], v0, v0, 1.0
	v_rcp_f32_e32 v11, v3
	v_div_fmas_f32 v2, v2, v21, v10
	v_div_fixup_f32 v1, v2, v1, 1.0
	v_div_scale_f32 v10, vcc, 1.0, v0, 1.0
	v_fma_f32 v2, -v3, v11, 1.0
	v_fmac_f32_e32 v11, v2, v11
	s_waitcnt vmcnt(1)
	v_cvt_f32_u32_sdwa v2, v5 dst_sel:DWORD dst_unused:UNUSED_PAD src0_sel:WORD_1
	v_cvt_f32_u32_sdwa v5, v5 dst_sel:DWORD dst_unused:UNUSED_PAD src0_sel:WORD_0
	v_mul_f32_e32 v12, v10, v11
	v_fma_f32 v13, -v3, v12, v10
	v_mul_f32_e32 v19, 0xbfb8aa3b, v2
	v_fma_f32 v20, v2, s6, -v19
	v_rndne_f32_e32 v21, v19
	v_fmac_f32_e32 v20, 0xb2a5705f, v2
	v_sub_f32_e32 v19, v19, v21
	v_add_f32_e32 v19, v19, v20
	v_exp_f32_e32 v19, v19
	v_cvt_i32_f32_e32 v20, v21
	v_fmac_f32_e32 v12, v13, v11
	v_mul_f32_e32 v13, 0xbfb8aa3b, v5
	v_fma_f32 v10, -v3, v12, v10
	v_ldexp_f32 v3, v19, v20
	v_fma_f32 v19, v5, s6, -v13
	v_rndne_f32_e32 v20, v13
	v_fmac_f32_e32 v19, 0xb2a5705f, v5
	v_sub_f32_e32 v13, v13, v20
	v_add_f32_e32 v13, v13, v19
	v_exp_f32_e32 v13, v13
	v_cvt_i32_f32_e32 v19, v20
	v_cmp_nlt_f32_e64 s[0:1], s3, v2
	v_cndmask_b32_e64 v3, 0, v3, s[0:1]
	v_cmp_ngt_f32_e64 s[0:1], s7, v2
	v_cndmask_b32_e64 v3, v14, v3, s[0:1]
	v_ldexp_f32 v2, v13, v19
	v_cmp_nlt_f32_e64 s[0:1], s3, v5
	v_cndmask_b32_e64 v2, 0, v2, s[0:1]
	v_cmp_ngt_f32_e64 s[0:1], s7, v5
	v_cndmask_b32_e64 v2, v14, v2, s[0:1]
	v_pk_add_f32 v[2:3], v[2:3], 1.0 op_sel_hi:[1,0]
	v_div_scale_f32 v5, s[0:1], v3, v3, 1.0
	v_rcp_f32_e32 v13, v5
	v_div_fmas_f32 v10, v10, v11, v12
	v_div_fixup_f32 v0, v10, v0, 1.0
	v_fma_f32 v10, -v5, v13, 1.0
	v_fmac_f32_e32 v13, v10, v13
	v_div_scale_f32 v10, vcc, 1.0, v3, 1.0
	v_mul_f32_e32 v11, v10, v13
	v_fma_f32 v12, -v5, v11, v10
	v_fmac_f32_e32 v11, v12, v13
	v_fma_f32 v5, -v5, v11, v10
	v_div_scale_f32 v10, s[0:1], v2, v2, 1.0
	v_rcp_f32_e32 v12, v10
	v_div_fmas_f32 v5, v5, v13, v11
	v_div_fixup_f32 v3, v5, v3, 1.0
	v_fma_f32 v5, -v10, v12, 1.0
	v_fmac_f32_e32 v12, v5, v12
	v_div_scale_f32 v5, vcc, 1.0, v2, 1.0
	v_mul_f32_e32 v11, v5, v12
	v_fma_f32 v13, -v10, v11, v5
	v_fmac_f32_e32 v11, v13, v12
	v_fma_f32 v5, -v10, v11, v5
	v_div_fmas_f32 v5, v5, v12, v11
	v_div_fixup_f32 v2, v5, v2, 1.0
	v_cmp_lt_f32_e32 vcc, v6, v7
	global_store_dwordx4 v[8:9], v[0:3], off offset:16
	s_nop 0
	v_cndmask_b32_e32 v0, v6, v7, vcc
	s_cbranch_scc1 .LBB227_8
; %bb.5:
	v_sub_f32_e32 v1, v0, v0
	v_mul_f32_e32 v3, 0x3fb8aa3b, v1
	s_mov_b32 s11, 0x3fb8aa3b
	v_rndne_f32_e32 v5, v3
	v_sub_f32_e32 v8, v3, v5
	v_fma_f32 v3, v1, s11, -v3
	v_fmac_f32_e32 v3, 0x32a5705f, v1
	v_add_f32_e32 v3, v8, v3
	v_exp_f32_e32 v3, v3
	v_cvt_i32_f32_e32 v5, v5
	v_cndmask_b32_e64 v19, 0, 1, vcc
	v_mul_lo_u32 v2, v18, s2
	v_cmp_le_i32_e64 s[0:1], s9, v19
	v_cmp_gt_i32_e64 s[2:3], s10, v19
	s_mov_b32 s20, 0xc2ce8ed0
	s_load_dwordx4 s[4:7], s[4:5], 0x20
	s_and_b64 s[22:23], s[0:1], s[2:3]
	v_ldexp_f32 v3, v3, v5
	v_cmp_ngt_f32_e64 s[0:1], s20, v1
	s_mov_b32 s21, 0x42b17218
	v_ashrrev_i32_e32 v5, 31, v4
	v_cndmask_b32_e64 v3, 0, v3, s[0:1]
	v_cmp_nlt_f32_e64 s[0:1], s21, v1
	v_lshlrev_b64 v[10:11], 2, v[4:5]
	v_cndmask_b32_e64 v15, v14, v3, s[0:1]
	v_mov_b32_e32 v1, s13
	v_add_co_u32_e64 v12, s[0:1], s12, v10
	v_addc_co_u32_e64 v13, s[2:3], v1, v11, s[0:1]
	v_ashrrev_i32_e32 v3, 31, v2
	v_subrev_u32_e32 v1, s9, v19
	s_and_b64 s[2:3], s[14:15], s[22:23]
	v_lshlrev_b64 v[8:9], 2, v[2:3]
	v_mul_lo_u32 v20, v18, s8
	v_cndmask_b32_e64 v1, 2, v1, s[2:3]
	s_waitcnt lgkmcnt(0)
	v_mov_b32_e32 v3, s5
	v_add_co_u32_e64 v2, s[2:3], s4, v8
	v_addc_co_u32_e64 v3, s[2:3], v3, v9, s[2:3]
	v_ashrrev_i32_e32 v21, 31, v20
	global_store_dword v[2:3], v1, off
	v_lshlrev_b64 v[2:3], 2, v[20:21]
	v_mov_b32_e32 v1, s7
	v_add_co_u32_e64 v20, s[2:3], s6, v2
	v_addc_co_u32_e64 v21, s[2:3], v1, v3, s[2:3]
	v_mov_b32_e32 v1, 0xff800000
	v_cndmask_b32_e32 v6, v1, v6, vcc
	v_cmp_ne_u32_e32 vcc, 1, v19
	s_cmp_eq_u32 s8, 1
	v_cndmask_b32_e32 v7, v1, v7, vcc
	global_store_dword v[12:13], v15, off
	global_store_dword v[20:21], v18, off
	s_cbranch_scc1 .LBB227_8
; %bb.6:
	v_mov_b32_e32 v5, s7
	v_add_co_u32_e32 v2, vcc, s6, v2
	v_addc_co_u32_e32 v3, vcc, v3, v5, vcc
	v_add_co_u32_e32 v2, vcc, 4, v2
	v_addc_co_u32_e32 v3, vcc, 0, v3, vcc
	v_mov_b32_e32 v5, s5
	v_add_co_u32_e32 v8, vcc, s4, v8
	v_addc_co_u32_e32 v5, vcc, v9, v5, vcc
	v_add_co_u32_e32 v8, vcc, 4, v8
	v_addc_co_u32_e32 v9, vcc, 0, v5, vcc
	v_mov_b32_e32 v5, s13
	v_addc_co_u32_e64 v5, vcc, v11, v5, s[0:1]
	v_add_co_u32_e32 v10, vcc, 4, v12
	s_add_i32 s19, s19, s18
	v_addc_co_u32_e32 v11, vcc, 0, v5, vcc
	s_add_i32 s2, s8, -1
	v_add3_u32 v5, s19, v17, v16
	v_mov_b32_e32 v12, 0x7f800000
.LBB227_7:                              ; =>This Inner Loop Header: Depth=1
	v_cmp_gt_f32_e32 vcc, v7, v6
	v_cndmask_b32_e32 v13, v6, v7, vcc
	v_cndmask_b32_e64 v16, 0, 1, vcc
	v_sub_f32_e32 v13, v13, v0
	v_cndmask_b32_e32 v7, v7, v1, vcc
	v_cndmask_b32_e32 v6, v1, v6, vcc
	v_cmp_le_i32_e32 vcc, s9, v16
	v_cmp_gt_i32_e64 s[0:1], s10, v16
	v_mul_f32_e32 v17, 0x3fb8aa3b, v13
	s_and_b64 s[0:1], vcc, s[0:1]
	v_fma_f32 v18, v13, s11, -v17
	v_rndne_f32_e32 v19, v17
	v_subrev_u32_e32 v16, s9, v16
	v_fmac_f32_e32 v18, 0x32a5705f, v13
	v_sub_f32_e32 v17, v17, v19
	s_and_b64 vcc, s[14:15], s[0:1]
	v_cndmask_b32_e32 v16, 2, v16, vcc
	v_add_f32_e32 v17, v17, v18
	v_cvt_i32_f32_e32 v19, v19
	global_store_dword v[8:9], v16, off
	global_store_dword v[2:3], v5, off
	v_add_co_u32_e32 v2, vcc, 4, v2
	v_exp_f32_e32 v16, v17
	v_addc_co_u32_e32 v3, vcc, 0, v3, vcc
	v_add_co_u32_e32 v8, vcc, 4, v8
	v_addc_co_u32_e32 v9, vcc, 0, v9, vcc
	v_ldexp_f32 v16, v16, v19
	v_cmp_ngt_f32_e32 vcc, s20, v13
	v_cndmask_b32_e32 v16, 0, v16, vcc
	v_cmp_nlt_f32_e32 vcc, s21, v13
	v_cndmask_b32_e32 v13, v12, v16, vcc
	s_add_i32 s2, s2, -1
	global_store_dword v[10:11], v13, off
	v_add_co_u32_e32 v10, vcc, 4, v10
	v_add_u32_e32 v5, s18, v5
	s_cmp_eq_u32 s2, 0
	v_add_f32_e32 v15, v15, v13
	v_addc_co_u32_e32 v11, vcc, 0, v11, vcc
	s_cbranch_scc0 .LBB227_7
.LBB227_8:
	v_pk_add_f32 v[0:1], v[6:7], v[0:1] op_sel_hi:[1,0] neg_lo:[0,1] neg_hi:[0,1]
	s_mov_b32 s0, 0x3fb8aa3b
	v_mul_f32_e32 v2, 0x3fb8aa3b, v1
	v_fma_f32 v3, v1, s0, -v2
	v_rndne_f32_e32 v5, v2
	v_fmac_f32_e32 v3, 0x32a5705f, v1
	v_sub_f32_e32 v2, v2, v5
	v_add_f32_e32 v2, v2, v3
	v_exp_f32_e32 v2, v2
	v_cvt_i32_f32_e32 v3, v5
	s_mov_b32 s1, 0xc2ce8ed0
	v_cmp_ngt_f32_e32 vcc, s1, v1
	v_ldexp_f32 v2, v2, v3
	v_mul_f32_e32 v3, 0x3fb8aa3b, v0
	v_fma_f32 v5, v0, s0, -v3
	v_rndne_f32_e32 v6, v3
	v_fmac_f32_e32 v5, 0x32a5705f, v0
	v_sub_f32_e32 v3, v3, v6
	v_add_f32_e32 v3, v3, v5
	v_exp_f32_e32 v3, v3
	v_cvt_i32_f32_e32 v5, v6
	s_mov_b32 s0, 0x42b17218
	v_cndmask_b32_e32 v2, 0, v2, vcc
	v_cmp_nlt_f32_e32 vcc, s0, v1
	v_cndmask_b32_e32 v1, v14, v2, vcc
	v_ldexp_f32 v2, v3, v5
	v_cmp_ngt_f32_e32 vcc, s1, v0
	v_cndmask_b32_e32 v2, 0, v2, vcc
	v_cmp_nlt_f32_e32 vcc, s0, v0
	v_cndmask_b32_e32 v0, v14, v2, vcc
	v_add_f32_e32 v0, v0, v1
	v_add_f32_e32 v0, v15, v0
	v_cmp_neq_f32_e32 vcc, 0, v0
	s_and_b64 exec, exec, vcc
	s_cbranch_execz .LBB227_19
; %bb.9:
	s_andn2_b64 vcc, exec, s[16:17]
	s_cbranch_vccnz .LBB227_19
; %bb.10:
	v_div_scale_f32 v1, s[0:1], v0, v0, 1.0
	v_rcp_f32_e32 v2, v1
	v_div_scale_f32 v3, vcc, 1.0, v0, 1.0
	s_cmp_gt_u32 s8, 3
	v_fma_f32 v5, -v1, v2, 1.0
	v_fmac_f32_e32 v2, v5, v2
	v_mul_f32_e32 v5, v3, v2
	v_fma_f32 v6, -v1, v5, v3
	v_fmac_f32_e32 v5, v6, v2
	v_fma_f32 v1, -v1, v5, v3
	v_div_fmas_f32 v1, v1, v2, v5
	v_div_fixup_f32 v0, v1, v0, 1.0
	v_ashrrev_i32_e32 v5, 31, v4
	s_cbranch_scc0 .LBB227_14
; %bb.11:
	v_lshlrev_b64 v[2:3], 2, v[4:5]
	v_mov_b32_e32 v6, s13
	v_add_co_u32_e32 v2, vcc, s12, v2
	v_addc_co_u32_e32 v3, vcc, v3, v6, vcc
	s_and_b32 s4, s8, 0x7ffffffc
	v_add_co_u32_e32 v2, vcc, 8, v2
	v_mov_b32_e32 v1, v0
	v_addc_co_u32_e32 v3, vcc, 0, v3, vcc
	s_mov_b32 s0, s4
.LBB227_12:                             ; =>This Inner Loop Header: Depth=1
	global_load_dwordx4 v[6:9], v[2:3], off offset:-8
	s_add_i32 s0, s0, -4
	s_cmp_lg_u32 s0, 0
	s_waitcnt vmcnt(0)
	v_pk_mul_f32 v[6:7], v[0:1], v[6:7]
	v_pk_mul_f32 v[8:9], v[0:1], v[8:9]
	global_store_dwordx4 v[2:3], v[6:9], off offset:-8
	v_add_co_u32_e32 v2, vcc, 16, v2
	v_addc_co_u32_e32 v3, vcc, 0, v3, vcc
	s_cbranch_scc1 .LBB227_12
; %bb.13:
	s_cmp_lg_u32 s4, s8
	s_cselect_b64 s[0:1], -1, 0
	s_branch .LBB227_16
.LBB227_14:
	s_mov_b64 s[0:1], 0
                                        ; implicit-def: $sgpr4
	s_cbranch_execz .LBB227_16
; %bb.15:
	s_mov_b64 s[0:1], -1
	s_mov_b32 s4, 0
.LBB227_16:
	s_andn2_b64 vcc, exec, s[0:1]
	s_cbranch_vccnz .LBB227_19
; %bb.17:
	v_add_co_u32_e32 v2, vcc, s4, v4
	v_addc_co_u32_e32 v3, vcc, 0, v5, vcc
	v_lshlrev_b64 v[2:3], 2, v[2:3]
	v_mov_b32_e32 v1, s13
	v_add_co_u32_e32 v2, vcc, s12, v2
	s_sub_i32 s0, s8, s4
	v_addc_co_u32_e32 v3, vcc, v1, v3, vcc
.LBB227_18:                             ; =>This Inner Loop Header: Depth=1
	global_load_dword v1, v[2:3], off
	s_add_i32 s0, s0, -1
	s_cmp_lg_u32 s0, 0
	s_waitcnt vmcnt(0)
	v_mul_f32_e32 v1, v0, v1
	global_store_dword v[2:3], v1, off
	v_add_co_u32_e32 v2, vcc, 4, v2
	v_addc_co_u32_e32 v3, vcc, 0, v3, vcc
	s_cbranch_scc1 .LBB227_18
.LBB227_19:
	s_endpgm
	.section	.rodata,"a",@progbits
	.p2align	6, 0x0
	.amdhsa_kernel _ZN4vllm3moe17topkGatingSoftmaxItLi2ELi2ELi8ELi4ELb0ELi8ELNS0_23SharedExpertScoringFuncE1EEEvPKT_PKbPfiPiS9_iiiiii
		.amdhsa_group_segment_fixed_size 0
		.amdhsa_private_segment_fixed_size 0
		.amdhsa_kernarg_size 72
		.amdhsa_user_sgpr_count 6
		.amdhsa_user_sgpr_private_segment_buffer 1
		.amdhsa_user_sgpr_dispatch_ptr 0
		.amdhsa_user_sgpr_queue_ptr 0
		.amdhsa_user_sgpr_kernarg_segment_ptr 1
		.amdhsa_user_sgpr_dispatch_id 0
		.amdhsa_user_sgpr_flat_scratch_init 0
		.amdhsa_user_sgpr_kernarg_preload_length 0
		.amdhsa_user_sgpr_kernarg_preload_offset 0
		.amdhsa_user_sgpr_private_segment_size 0
		.amdhsa_uses_dynamic_stack 0
		.amdhsa_system_sgpr_private_segment_wavefront_offset 0
		.amdhsa_system_sgpr_workgroup_id_x 1
		.amdhsa_system_sgpr_workgroup_id_y 0
		.amdhsa_system_sgpr_workgroup_id_z 0
		.amdhsa_system_sgpr_workgroup_info 0
		.amdhsa_system_vgpr_workitem_id 1
		.amdhsa_next_free_vgpr 28
		.amdhsa_next_free_sgpr 24
		.amdhsa_accum_offset 28
		.amdhsa_reserve_vcc 1
		.amdhsa_reserve_flat_scratch 0
		.amdhsa_float_round_mode_32 0
		.amdhsa_float_round_mode_16_64 0
		.amdhsa_float_denorm_mode_32 3
		.amdhsa_float_denorm_mode_16_64 3
		.amdhsa_dx10_clamp 1
		.amdhsa_ieee_mode 1
		.amdhsa_fp16_overflow 0
		.amdhsa_tg_split 0
		.amdhsa_exception_fp_ieee_invalid_op 0
		.amdhsa_exception_fp_denorm_src 0
		.amdhsa_exception_fp_ieee_div_zero 0
		.amdhsa_exception_fp_ieee_overflow 0
		.amdhsa_exception_fp_ieee_underflow 0
		.amdhsa_exception_fp_ieee_inexact 0
		.amdhsa_exception_int_div_zero 0
	.end_amdhsa_kernel
	.section	.text._ZN4vllm3moe17topkGatingSoftmaxItLi2ELi2ELi8ELi4ELb0ELi8ELNS0_23SharedExpertScoringFuncE1EEEvPKT_PKbPfiPiS9_iiiiii,"axG",@progbits,_ZN4vllm3moe17topkGatingSoftmaxItLi2ELi2ELi8ELi4ELb0ELi8ELNS0_23SharedExpertScoringFuncE1EEEvPKT_PKbPfiPiS9_iiiiii,comdat
.Lfunc_end227:
	.size	_ZN4vllm3moe17topkGatingSoftmaxItLi2ELi2ELi8ELi4ELb0ELi8ELNS0_23SharedExpertScoringFuncE1EEEvPKT_PKbPfiPiS9_iiiiii, .Lfunc_end227-_ZN4vllm3moe17topkGatingSoftmaxItLi2ELi2ELi8ELi4ELb0ELi8ELNS0_23SharedExpertScoringFuncE1EEEvPKT_PKbPfiPiS9_iiiiii
                                        ; -- End function
	.section	.AMDGPU.csdata,"",@progbits
; Kernel info:
; codeLenInByte = 2732
; NumSgprs: 28
; NumVgprs: 28
; NumAgprs: 0
; TotalNumVgprs: 28
; ScratchSize: 0
; MemoryBound: 0
; FloatMode: 240
; IeeeMode: 1
; LDSByteSize: 0 bytes/workgroup (compile time only)
; SGPRBlocks: 3
; VGPRBlocks: 3
; NumSGPRsForWavesPerEU: 28
; NumVGPRsForWavesPerEU: 28
; AccumOffset: 28
; Occupancy: 8
; WaveLimiterHint : 0
; COMPUTE_PGM_RSRC2:SCRATCH_EN: 0
; COMPUTE_PGM_RSRC2:USER_SGPR: 6
; COMPUTE_PGM_RSRC2:TRAP_HANDLER: 0
; COMPUTE_PGM_RSRC2:TGID_X_EN: 1
; COMPUTE_PGM_RSRC2:TGID_Y_EN: 0
; COMPUTE_PGM_RSRC2:TGID_Z_EN: 0
; COMPUTE_PGM_RSRC2:TIDIG_COMP_CNT: 1
; COMPUTE_PGM_RSRC3_GFX90A:ACCUM_OFFSET: 6
; COMPUTE_PGM_RSRC3_GFX90A:TG_SPLIT: 0
	.section	.text._ZN4vllm3moe17topkGatingSoftmaxItLi4ELi4ELi8ELi8ELb1ELi0ELNS0_23SharedExpertScoringFuncE0EEEvPKT_PKbPfiPiS9_iiiiii,"axG",@progbits,_ZN4vllm3moe17topkGatingSoftmaxItLi4ELi4ELi8ELi8ELb1ELi0ELNS0_23SharedExpertScoringFuncE0EEEvPKT_PKbPfiPiS9_iiiiii,comdat
	.protected	_ZN4vllm3moe17topkGatingSoftmaxItLi4ELi4ELi8ELi8ELb1ELi0ELNS0_23SharedExpertScoringFuncE0EEEvPKT_PKbPfiPiS9_iiiiii ; -- Begin function _ZN4vllm3moe17topkGatingSoftmaxItLi4ELi4ELi8ELi8ELb1ELi0ELNS0_23SharedExpertScoringFuncE0EEEvPKT_PKbPfiPiS9_iiiiii
	.globl	_ZN4vllm3moe17topkGatingSoftmaxItLi4ELi4ELi8ELi8ELb1ELi0ELNS0_23SharedExpertScoringFuncE0EEEvPKT_PKbPfiPiS9_iiiiii
	.p2align	8
	.type	_ZN4vllm3moe17topkGatingSoftmaxItLi4ELi4ELi8ELi8ELb1ELi0ELNS0_23SharedExpertScoringFuncE0EEEvPKT_PKbPfiPiS9_iiiiii,@function
_ZN4vllm3moe17topkGatingSoftmaxItLi4ELi4ELi8ELi8ELb1ELi0ELNS0_23SharedExpertScoringFuncE0EEEvPKT_PKbPfiPiS9_iiiiii: ; @_ZN4vllm3moe17topkGatingSoftmaxItLi4ELi4ELi8ELi8ELb1ELi0ELNS0_23SharedExpertScoringFuncE0EEEvPKT_PKbPfiPiS9_iiiiii
; %bb.0:
	s_load_dword s18, s[4:5], 0x18
	v_bfe_u32 v1, v0, 10, 10
	s_lshl_b32 s22, s6, 9
	v_lshlrev_b32_e32 v14, 6, v1
	v_and_b32_e32 v15, 0x3ff, v0
	v_add3_u32 v12, v14, v15, s22
	s_waitcnt lgkmcnt(0)
	v_cmp_gt_i32_e32 vcc, s18, v12
	s_and_saveexec_b64 s[0:1], vcc
	s_cbranch_execz .LBB228_20
; %bb.1:
	s_load_dwordx4 s[0:3], s[4:5], 0x0
	s_load_dwordx2 s[12:13], s[4:5], 0x10
	s_waitcnt lgkmcnt(0)
	s_cmp_eq_u64 s[2:3], 0
	s_cbranch_scc1 .LBB228_3
; %bb.2:
	v_ashrrev_i32_e32 v1, 31, v12
	v_mov_b32_e32 v2, s3
	v_add_co_u32_e32 v0, vcc, s2, v12
	v_addc_co_u32_e32 v1, vcc, v2, v1, vcc
	global_load_ubyte v0, v[0:1], off
	s_waitcnt vmcnt(0)
	v_and_b32_e32 v0, 1, v0
	v_cmp_eq_u32_e32 vcc, 1, v0
	s_xor_b64 s[2:3], vcc, -1
	s_orn2_b64 s[16:17], s[2:3], exec
	s_branch .LBB228_4
.LBB228_3:
	s_mov_b64 s[16:17], -1
.LBB228_4:
	s_load_dwordx4 s[8:11], s[4:5], 0x30
	s_waitcnt lgkmcnt(0)
	s_cmp_gt_i32 s8, 0
	s_cselect_b64 s[14:15], -1, 0
	s_cmp_lt_i32 s8, 1
	s_cbranch_scc1 .LBB228_9
; %bb.5:
	s_load_dwordx2 s[2:3], s[4:5], 0x40
	v_mov_b32_e32 v2, s1
	s_load_dwordx4 s[4:7], s[4:5], 0x20
	v_mov_b32_e32 v6, s13
	s_mov_b32 s19, 0x3fb8aa3b
	s_waitcnt lgkmcnt(0)
	v_mul_lo_u32 v0, v12, s3
	v_ashrrev_i32_e32 v1, 31, v0
	v_lshlrev_b64 v[0:1], 1, v[0:1]
	v_add_co_u32_e32 v0, vcc, s0, v0
	v_addc_co_u32_e32 v1, vcc, v2, v1, vcc
	global_load_dwordx2 v[16:17], v[0:1], off
	v_mul_lo_u32 v0, v12, s11
	v_ashrrev_i32_e32 v1, 31, v0
	v_mul_lo_u32 v2, v12, s8
	v_lshlrev_b64 v[8:9], 2, v[0:1]
	v_ashrrev_i32_e32 v3, 31, v2
	v_add_co_u32_e32 v10, vcc, s12, v8
	v_lshlrev_b64 v[4:5], 2, v[2:3]
	v_addc_co_u32_e64 v11, s[0:1], v6, v9, vcc
	v_mul_lo_u32 v0, v12, s2
	v_mov_b32_e32 v3, s7
	v_ashrrev_i32_e32 v1, 31, v0
	v_add_co_u32_e64 v18, s[0:1], s6, v4
	v_addc_co_u32_e64 v19, s[0:1], v3, v5, s[0:1]
	v_lshlrev_b64 v[6:7], 2, v[0:1]
	v_mov_b32_e32 v2, s5
	v_add_co_u32_e64 v20, s[0:1], s4, v6
	v_addc_co_u32_e64 v21, s[0:1], v2, v7, s[0:1]
	s_mov_b32 s20, 0xc2ce8ed0
	s_mov_b32 s21, 0x42b17218
	v_mov_b32_e32 v13, 0x7f800000
	s_waitcnt vmcnt(0)
	v_cvt_f32_u32_sdwa v1, v16 dst_sel:DWORD dst_unused:UNUSED_PAD src0_sel:WORD_1
	v_cvt_f32_u32_sdwa v0, v16 dst_sel:DWORD dst_unused:UNUSED_PAD src0_sel:WORD_0
	v_cvt_f32_u32_sdwa v2, v17 dst_sel:DWORD dst_unused:UNUSED_PAD src0_sel:WORD_0
	v_cvt_f32_u32_sdwa v3, v17 dst_sel:DWORD dst_unused:UNUSED_PAD src0_sel:WORD_1
	v_cmp_lt_f32_e64 s[0:1], v0, v1
	v_cndmask_b32_e64 v16, v0, v1, s[0:1]
	v_cndmask_b32_e64 v8, 0, 1, s[0:1]
	v_cmp_lt_f32_e64 s[0:1], v16, v2
	v_cndmask_b32_e64 v16, v16, v2, s[0:1]
	v_cndmask_b32_e64 v8, v8, 2, s[0:1]
	v_cmp_lt_f32_e64 s[0:1], v16, v3
	v_cndmask_b32_e64 v17, v16, v3, s[0:1]
	v_sub_f32_e32 v22, v17, v17
	v_mul_f32_e32 v23, 0x3fb8aa3b, v22
	v_fma_f32 v24, v22, s19, -v23
	v_rndne_f32_e32 v25, v23
	v_fmac_f32_e32 v24, 0x32a5705f, v22
	v_sub_f32_e32 v23, v23, v25
	v_cndmask_b32_e64 v8, v8, 3, s[0:1]
	v_add_f32_e32 v23, v23, v24
	v_cmp_le_i32_e64 s[0:1], s9, v8
	v_cmp_gt_i32_e64 s[2:3], s10, v8
	v_cvt_i32_f32_e32 v25, v25
	v_exp_f32_e32 v23, v23
	s_and_b64 s[0:1], s[0:1], s[2:3]
	v_subrev_u32_e32 v16, s9, v8
	s_and_b64 s[0:1], s[16:17], s[0:1]
	v_cndmask_b32_e64 v16, 4, v16, s[0:1]
	global_store_dword v[20:21], v16, off
	v_ldexp_f32 v16, v23, v25
	v_cmp_ngt_f32_e64 s[0:1], s20, v22
	v_cndmask_b32_e64 v16, 0, v16, s[0:1]
	v_cmp_nlt_f32_e64 s[0:1], s21, v22
	s_cmp_eq_u32 s8, 1
	v_cndmask_b32_e64 v16, v13, v16, s[0:1]
	global_store_dword v[10:11], v16, off
	global_store_dword v[18:19], v12, off
	s_cbranch_scc1 .LBB228_8
; %bb.6:
	v_mov_b32_e32 v11, 0xff800000
	v_cmp_ne_u32_e64 s[0:1], 3, v8
	v_cndmask_b32_e64 v3, v11, v3, s[0:1]
	v_cmp_ne_u32_e64 s[0:1], 2, v8
	v_cndmask_b32_e64 v2, v11, v2, s[0:1]
	;; [unrolled: 2-line block ×4, first 2 shown]
	v_mov_b32_e32 v8, s7
	v_add_co_u32_e64 v4, s[0:1], s6, v4
	v_addc_co_u32_e64 v5, s[0:1], v5, v8, s[0:1]
	v_add_co_u32_e64 v4, s[0:1], 4, v4
	v_addc_co_u32_e64 v5, s[0:1], 0, v5, s[0:1]
	v_mov_b32_e32 v8, s5
	v_add_co_u32_e64 v6, s[0:1], s4, v6
	v_addc_co_u32_e64 v7, s[0:1], v7, v8, s[0:1]
	v_mov_b32_e32 v8, s13
	v_addc_co_u32_e32 v9, vcc, v9, v8, vcc
	v_add_co_u32_e64 v6, s[0:1], 4, v6
	v_add_co_u32_e32 v8, vcc, 4, v10
	s_add_i32 s22, s22, s18
	v_addc_co_u32_e64 v7, s[0:1], 0, v7, s[0:1]
	v_addc_co_u32_e32 v9, vcc, 0, v9, vcc
	s_add_i32 s4, s8, -1
	v_add3_u32 v10, s22, v15, v14
.LBB228_7:                              ; =>This Inner Loop Header: Depth=1
	v_cmp_gt_f32_e32 vcc, v1, v0
	v_cndmask_b32_e32 v14, v0, v1, vcc
	v_cmp_gt_f32_e64 s[0:1], v2, v14
	v_cndmask_b32_e64 v14, v14, v2, s[0:1]
	v_cndmask_b32_e64 v15, 0, 1, vcc
	v_cmp_gt_f32_e32 vcc, v3, v14
	v_cndmask_b32_e64 v15, v15, 2, s[0:1]
	v_cndmask_b32_e64 v15, v15, 3, vcc
	v_cndmask_b32_e32 v14, v14, v3, vcc
	v_cmp_ne_u32_e64 s[2:3], 3, v15
	v_sub_f32_e32 v14, v14, v17
	v_cndmask_b32_e64 v3, v11, v3, s[2:3]
	v_cmp_ne_u32_e64 s[2:3], 2, v15
	v_cmp_le_i32_e32 vcc, s9, v15
	v_cmp_gt_i32_e64 s[0:1], s10, v15
	v_mul_f32_e32 v18, 0x3fb8aa3b, v14
	v_cndmask_b32_e64 v2, v11, v2, s[2:3]
	v_cmp_ne_u32_e64 s[2:3], 1, v15
	v_subrev_u32_e32 v19, s9, v15
	v_cndmask_b32_e64 v1, v11, v1, s[2:3]
	v_cmp_ne_u32_e64 s[2:3], 0, v15
	s_and_b64 s[0:1], vcc, s[0:1]
	v_fma_f32 v15, v14, s19, -v18
	v_rndne_f32_e32 v20, v18
	v_fmac_f32_e32 v15, 0x32a5705f, v14
	v_sub_f32_e32 v18, v18, v20
	s_and_b64 vcc, s[16:17], s[0:1]
	v_cndmask_b32_e32 v19, 4, v19, vcc
	v_add_f32_e32 v15, v18, v15
	v_cvt_i32_f32_e32 v20, v20
	global_store_dword v[6:7], v19, off
	global_store_dword v[4:5], v10, off
	v_add_co_u32_e32 v4, vcc, 4, v4
	v_exp_f32_e32 v15, v15
	v_addc_co_u32_e32 v5, vcc, 0, v5, vcc
	v_add_co_u32_e32 v6, vcc, 4, v6
	v_addc_co_u32_e32 v7, vcc, 0, v7, vcc
	v_ldexp_f32 v15, v15, v20
	v_cmp_ngt_f32_e32 vcc, s20, v14
	v_cndmask_b32_e32 v15, 0, v15, vcc
	v_cmp_nlt_f32_e32 vcc, s21, v14
	v_cndmask_b32_e32 v14, v13, v15, vcc
	s_add_i32 s4, s4, -1
	global_store_dword v[8:9], v14, off
	v_add_co_u32_e32 v8, vcc, 4, v8
	v_cndmask_b32_e64 v0, v11, v0, s[2:3]
	v_add_u32_e32 v10, s18, v10
	s_cmp_eq_u32 s4, 0
	v_add_f32_e32 v16, v16, v14
	v_addc_co_u32_e32 v9, vcc, 0, v9, vcc
	s_cbranch_scc0 .LBB228_7
.LBB228_8:
	v_cmp_neq_f32_e32 vcc, 0, v16
	s_and_b64 exec, exec, vcc
	s_cbranch_execnz .LBB228_10
	s_branch .LBB228_20
.LBB228_9:
	v_mov_b32_e32 v16, 0
	v_cmp_neq_f32_e32 vcc, 0, v16
	s_and_b64 exec, exec, vcc
	s_cbranch_execz .LBB228_20
.LBB228_10:
	s_andn2_b64 vcc, exec, s[14:15]
	s_cbranch_vccnz .LBB228_20
; %bb.11:
	v_div_scale_f32 v0, s[0:1], v16, v16, 1.0
	v_rcp_f32_e32 v1, v0
	v_div_scale_f32 v2, vcc, 1.0, v16, 1.0
	s_cmp_gt_u32 s8, 3
	v_fma_f32 v3, -v0, v1, 1.0
	v_fmac_f32_e32 v1, v3, v1
	v_mul_f32_e32 v3, v2, v1
	v_fma_f32 v4, -v0, v3, v2
	v_fmac_f32_e32 v3, v4, v1
	v_fma_f32 v0, -v0, v3, v2
	v_div_fmas_f32 v0, v0, v1, v3
	v_mul_lo_u32 v2, v12, s11
	v_div_fixup_f32 v0, v0, v16, 1.0
	v_ashrrev_i32_e32 v3, 31, v2
	s_cbranch_scc0 .LBB228_15
; %bb.12:
	v_lshlrev_b64 v[4:5], 2, v[2:3]
	v_mov_b32_e32 v6, s13
	v_add_co_u32_e32 v4, vcc, s12, v4
	v_addc_co_u32_e32 v5, vcc, v5, v6, vcc
	s_and_b32 s4, s8, 0x7ffffffc
	v_add_co_u32_e32 v4, vcc, 8, v4
	v_mov_b32_e32 v1, v0
	v_addc_co_u32_e32 v5, vcc, 0, v5, vcc
	s_mov_b32 s0, s4
.LBB228_13:                             ; =>This Inner Loop Header: Depth=1
	global_load_dwordx4 v[6:9], v[4:5], off offset:-8
	s_add_i32 s0, s0, -4
	s_cmp_lg_u32 s0, 0
	s_waitcnt vmcnt(0)
	v_pk_mul_f32 v[6:7], v[0:1], v[6:7]
	v_pk_mul_f32 v[8:9], v[0:1], v[8:9]
	global_store_dwordx4 v[4:5], v[6:9], off offset:-8
	v_add_co_u32_e32 v4, vcc, 16, v4
	v_addc_co_u32_e32 v5, vcc, 0, v5, vcc
	s_cbranch_scc1 .LBB228_13
; %bb.14:
	s_cmp_lg_u32 s4, s8
	s_cselect_b64 s[0:1], -1, 0
	s_branch .LBB228_17
.LBB228_15:
	s_mov_b64 s[0:1], 0
                                        ; implicit-def: $sgpr4
	s_cbranch_execz .LBB228_17
; %bb.16:
	s_mov_b64 s[0:1], -1
	s_mov_b32 s4, 0
.LBB228_17:
	s_andn2_b64 vcc, exec, s[0:1]
	s_cbranch_vccnz .LBB228_20
; %bb.18:
	v_add_co_u32_e32 v2, vcc, s4, v2
	v_addc_co_u32_e32 v3, vcc, 0, v3, vcc
	v_lshlrev_b64 v[2:3], 2, v[2:3]
	v_mov_b32_e32 v1, s13
	v_add_co_u32_e32 v2, vcc, s12, v2
	s_sub_i32 s0, s8, s4
	v_addc_co_u32_e32 v3, vcc, v1, v3, vcc
.LBB228_19:                             ; =>This Inner Loop Header: Depth=1
	global_load_dword v1, v[2:3], off
	s_add_i32 s0, s0, -1
	s_cmp_lg_u32 s0, 0
	s_waitcnt vmcnt(0)
	v_mul_f32_e32 v1, v0, v1
	global_store_dword v[2:3], v1, off
	v_add_co_u32_e32 v2, vcc, 4, v2
	v_addc_co_u32_e32 v3, vcc, 0, v3, vcc
	s_cbranch_scc1 .LBB228_19
.LBB228_20:
	s_endpgm
	.section	.rodata,"a",@progbits
	.p2align	6, 0x0
	.amdhsa_kernel _ZN4vllm3moe17topkGatingSoftmaxItLi4ELi4ELi8ELi8ELb1ELi0ELNS0_23SharedExpertScoringFuncE0EEEvPKT_PKbPfiPiS9_iiiiii
		.amdhsa_group_segment_fixed_size 0
		.amdhsa_private_segment_fixed_size 0
		.amdhsa_kernarg_size 72
		.amdhsa_user_sgpr_count 6
		.amdhsa_user_sgpr_private_segment_buffer 1
		.amdhsa_user_sgpr_dispatch_ptr 0
		.amdhsa_user_sgpr_queue_ptr 0
		.amdhsa_user_sgpr_kernarg_segment_ptr 1
		.amdhsa_user_sgpr_dispatch_id 0
		.amdhsa_user_sgpr_flat_scratch_init 0
		.amdhsa_user_sgpr_kernarg_preload_length 0
		.amdhsa_user_sgpr_kernarg_preload_offset 0
		.amdhsa_user_sgpr_private_segment_size 0
		.amdhsa_uses_dynamic_stack 0
		.amdhsa_system_sgpr_private_segment_wavefront_offset 0
		.amdhsa_system_sgpr_workgroup_id_x 1
		.amdhsa_system_sgpr_workgroup_id_y 0
		.amdhsa_system_sgpr_workgroup_id_z 0
		.amdhsa_system_sgpr_workgroup_info 0
		.amdhsa_system_vgpr_workitem_id 1
		.amdhsa_next_free_vgpr 26
		.amdhsa_next_free_sgpr 23
		.amdhsa_accum_offset 28
		.amdhsa_reserve_vcc 1
		.amdhsa_reserve_flat_scratch 0
		.amdhsa_float_round_mode_32 0
		.amdhsa_float_round_mode_16_64 0
		.amdhsa_float_denorm_mode_32 3
		.amdhsa_float_denorm_mode_16_64 3
		.amdhsa_dx10_clamp 1
		.amdhsa_ieee_mode 1
		.amdhsa_fp16_overflow 0
		.amdhsa_tg_split 0
		.amdhsa_exception_fp_ieee_invalid_op 0
		.amdhsa_exception_fp_denorm_src 0
		.amdhsa_exception_fp_ieee_div_zero 0
		.amdhsa_exception_fp_ieee_overflow 0
		.amdhsa_exception_fp_ieee_underflow 0
		.amdhsa_exception_fp_ieee_inexact 0
		.amdhsa_exception_int_div_zero 0
	.end_amdhsa_kernel
	.section	.text._ZN4vllm3moe17topkGatingSoftmaxItLi4ELi4ELi8ELi8ELb1ELi0ELNS0_23SharedExpertScoringFuncE0EEEvPKT_PKbPfiPiS9_iiiiii,"axG",@progbits,_ZN4vllm3moe17topkGatingSoftmaxItLi4ELi4ELi8ELi8ELb1ELi0ELNS0_23SharedExpertScoringFuncE0EEEvPKT_PKbPfiPiS9_iiiiii,comdat
.Lfunc_end228:
	.size	_ZN4vllm3moe17topkGatingSoftmaxItLi4ELi4ELi8ELi8ELb1ELi0ELNS0_23SharedExpertScoringFuncE0EEEvPKT_PKbPfiPiS9_iiiiii, .Lfunc_end228-_ZN4vllm3moe17topkGatingSoftmaxItLi4ELi4ELi8ELi8ELb1ELi0ELNS0_23SharedExpertScoringFuncE0EEEvPKT_PKbPfiPiS9_iiiiii
                                        ; -- End function
	.section	.AMDGPU.csdata,"",@progbits
; Kernel info:
; codeLenInByte = 1448
; NumSgprs: 27
; NumVgprs: 26
; NumAgprs: 0
; TotalNumVgprs: 26
; ScratchSize: 0
; MemoryBound: 0
; FloatMode: 240
; IeeeMode: 1
; LDSByteSize: 0 bytes/workgroup (compile time only)
; SGPRBlocks: 3
; VGPRBlocks: 3
; NumSGPRsForWavesPerEU: 27
; NumVGPRsForWavesPerEU: 26
; AccumOffset: 28
; Occupancy: 8
; WaveLimiterHint : 0
; COMPUTE_PGM_RSRC2:SCRATCH_EN: 0
; COMPUTE_PGM_RSRC2:USER_SGPR: 6
; COMPUTE_PGM_RSRC2:TRAP_HANDLER: 0
; COMPUTE_PGM_RSRC2:TGID_X_EN: 1
; COMPUTE_PGM_RSRC2:TGID_Y_EN: 0
; COMPUTE_PGM_RSRC2:TGID_Z_EN: 0
; COMPUTE_PGM_RSRC2:TIDIG_COMP_CNT: 1
; COMPUTE_PGM_RSRC3_GFX90A:ACCUM_OFFSET: 6
; COMPUTE_PGM_RSRC3_GFX90A:TG_SPLIT: 0
	.section	.text._ZN4vllm3moe17topkGatingSoftmaxItLi4ELi4ELi8ELi8ELb0ELi0ELNS0_23SharedExpertScoringFuncE0EEEvPKT_PKbPfiPiS9_iiiiii,"axG",@progbits,_ZN4vllm3moe17topkGatingSoftmaxItLi4ELi4ELi8ELi8ELb0ELi0ELNS0_23SharedExpertScoringFuncE0EEEvPKT_PKbPfiPiS9_iiiiii,comdat
	.protected	_ZN4vllm3moe17topkGatingSoftmaxItLi4ELi4ELi8ELi8ELb0ELi0ELNS0_23SharedExpertScoringFuncE0EEEvPKT_PKbPfiPiS9_iiiiii ; -- Begin function _ZN4vllm3moe17topkGatingSoftmaxItLi4ELi4ELi8ELi8ELb0ELi0ELNS0_23SharedExpertScoringFuncE0EEEvPKT_PKbPfiPiS9_iiiiii
	.globl	_ZN4vllm3moe17topkGatingSoftmaxItLi4ELi4ELi8ELi8ELb0ELi0ELNS0_23SharedExpertScoringFuncE0EEEvPKT_PKbPfiPiS9_iiiiii
	.p2align	8
	.type	_ZN4vllm3moe17topkGatingSoftmaxItLi4ELi4ELi8ELi8ELb0ELi0ELNS0_23SharedExpertScoringFuncE0EEEvPKT_PKbPfiPiS9_iiiiii,@function
_ZN4vllm3moe17topkGatingSoftmaxItLi4ELi4ELi8ELi8ELb0ELi0ELNS0_23SharedExpertScoringFuncE0EEEvPKT_PKbPfiPiS9_iiiiii: ; @_ZN4vllm3moe17topkGatingSoftmaxItLi4ELi4ELi8ELi8ELb0ELi0ELNS0_23SharedExpertScoringFuncE0EEEvPKT_PKbPfiPiS9_iiiiii
; %bb.0:
	s_load_dword s20, s[4:5], 0x18
	v_bfe_u32 v1, v0, 10, 10
	s_lshl_b32 s22, s6, 9
	v_lshlrev_b32_e32 v16, 6, v1
	v_and_b32_e32 v17, 0x3ff, v0
	v_add3_u32 v1, v16, v17, s22
	s_waitcnt lgkmcnt(0)
	v_cmp_gt_i32_e32 vcc, s20, v1
	s_and_saveexec_b64 s[0:1], vcc
	s_cbranch_execz .LBB229_20
; %bb.1:
	s_load_dwordx4 s[0:3], s[4:5], 0x0
	s_load_dwordx2 s[12:13], s[4:5], 0x10
	s_waitcnt lgkmcnt(0)
	s_cmp_eq_u64 s[2:3], 0
	s_cbranch_scc1 .LBB229_3
; %bb.2:
	v_ashrrev_i32_e32 v0, 31, v1
	v_mov_b32_e32 v3, s3
	v_add_co_u32_e32 v2, vcc, s2, v1
	v_addc_co_u32_e32 v3, vcc, v3, v0, vcc
	global_load_ubyte v0, v[2:3], off
	s_waitcnt vmcnt(0)
	v_and_b32_e32 v0, 1, v0
	v_cmp_eq_u32_e32 vcc, 1, v0
	s_xor_b64 s[2:3], vcc, -1
	s_orn2_b64 s[16:17], s[2:3], exec
	s_branch .LBB229_4
.LBB229_3:
	s_mov_b64 s[16:17], -1
.LBB229_4:
	s_load_dwordx2 s[18:19], s[4:5], 0x40
	s_load_dwordx4 s[8:11], s[4:5], 0x30
	v_mov_b32_e32 v0, s1
	s_waitcnt lgkmcnt(0)
	v_mul_lo_u32 v2, v1, s19
	v_ashrrev_i32_e32 v3, 31, v2
	v_lshlrev_b64 v[2:3], 1, v[2:3]
	v_add_co_u32_e32 v2, vcc, s0, v2
	v_addc_co_u32_e32 v3, vcc, v0, v3, vcc
	global_load_dwordx2 v[2:3], v[2:3], off
	s_cmp_gt_i32 s8, 0
	s_cselect_b64 s[14:15], -1, 0
	s_cmp_lt_i32 s8, 1
	s_waitcnt vmcnt(0)
	v_cvt_f32_u32_sdwa v5, v2 dst_sel:DWORD dst_unused:UNUSED_PAD src0_sel:WORD_1
	v_cvt_f32_u32_sdwa v4, v2 dst_sel:DWORD dst_unused:UNUSED_PAD src0_sel:WORD_0
	v_cvt_f32_u32_sdwa v2, v3 dst_sel:DWORD dst_unused:UNUSED_PAD src0_sel:WORD_0
	v_cvt_f32_u32_sdwa v3, v3 dst_sel:DWORD dst_unused:UNUSED_PAD src0_sel:WORD_1
	v_cmp_lt_f32_e32 vcc, v4, v5
	v_cndmask_b32_e32 v0, v4, v5, vcc
	v_cmp_lt_f32_e64 s[0:1], v0, v2
	v_cndmask_b32_e64 v0, v0, v2, s[0:1]
	v_cmp_lt_f32_e64 s[2:3], v0, v3
	v_cndmask_b32_e64 v0, v0, v3, s[2:3]
	s_cbranch_scc1 .LBB229_8
; %bb.5:
	v_sub_f32_e32 v7, v0, v0
	v_mul_f32_e32 v9, 0x3fb8aa3b, v7
	v_mul_lo_u32 v8, v1, s18
	s_mov_b32 s18, 0x3fb8aa3b
	v_rndne_f32_e32 v10, v9
	v_sub_f32_e32 v11, v9, v10
	v_fma_f32 v9, v7, s18, -v9
	v_fmac_f32_e32 v9, 0x32a5705f, v7
	v_add_f32_e32 v9, v11, v9
	v_cndmask_b32_e64 v6, 0, 1, vcc
	v_exp_f32_e32 v9, v9
	v_cvt_i32_f32_e32 v10, v10
	v_cndmask_b32_e64 v6, v6, 2, s[0:1]
	v_cndmask_b32_e64 v20, v6, 3, s[2:3]
	v_cmp_le_i32_e32 vcc, s9, v20
	v_cmp_gt_i32_e64 s[0:1], s10, v20
	s_mov_b32 s19, 0xc2ce8ed0
	v_mul_lo_u32 v6, v1, s11
	s_and_b64 s[2:3], vcc, s[0:1]
	v_ldexp_f32 v9, v9, v10
	v_cmp_ngt_f32_e32 vcc, s19, v7
	s_mov_b32 s21, 0x42b17218
	s_load_dwordx4 s[4:7], s[4:5], 0x20
	v_cndmask_b32_e32 v9, 0, v9, vcc
	v_cmp_nlt_f32_e32 vcc, s21, v7
	v_ashrrev_i32_e32 v7, 31, v6
	v_mov_b32_e32 v15, 0x7f800000
	v_lshlrev_b64 v[10:11], 2, v[6:7]
	v_cndmask_b32_e32 v14, v15, v9, vcc
	v_mov_b32_e32 v6, s13
	v_add_co_u32_e32 v12, vcc, s12, v10
	v_addc_co_u32_e64 v13, s[0:1], v6, v11, vcc
	v_ashrrev_i32_e32 v9, 31, v8
	v_subrev_u32_e32 v6, s9, v20
	s_and_b64 s[0:1], s[16:17], s[2:3]
	v_lshlrev_b64 v[8:9], 2, v[8:9]
	v_mul_lo_u32 v18, v1, s8
	v_cndmask_b32_e64 v10, 4, v6, s[0:1]
	s_waitcnt lgkmcnt(0)
	v_mov_b32_e32 v7, s5
	v_add_co_u32_e64 v6, s[0:1], s4, v8
	v_addc_co_u32_e64 v7, s[0:1], v7, v9, s[0:1]
	v_ashrrev_i32_e32 v19, 31, v18
	global_store_dword v[6:7], v10, off
	v_lshlrev_b64 v[6:7], 2, v[18:19]
	v_mov_b32_e32 v10, s7
	v_add_co_u32_e64 v18, s[0:1], s6, v6
	v_addc_co_u32_e64 v19, s[0:1], v10, v7, s[0:1]
	global_store_dword v[12:13], v14, off
	v_mov_b32_e32 v13, 0xff800000
	v_cmp_ne_u32_e64 s[0:1], 3, v20
	v_cndmask_b32_e64 v3, v13, v3, s[0:1]
	v_cmp_ne_u32_e64 s[0:1], 2, v20
	v_cndmask_b32_e64 v2, v13, v2, s[0:1]
	;; [unrolled: 2-line block ×3, first 2 shown]
	v_cmp_ne_u32_e64 s[0:1], 0, v20
	s_cmp_eq_u32 s8, 1
	v_cndmask_b32_e64 v4, v13, v4, s[0:1]
	global_store_dword v[18:19], v1, off
	s_cbranch_scc1 .LBB229_9
; %bb.6:
	v_mov_b32_e32 v10, s7
	v_add_co_u32_e64 v6, s[0:1], s6, v6
	v_addc_co_u32_e64 v7, s[0:1], v7, v10, s[0:1]
	v_add_co_u32_e64 v6, s[0:1], 4, v6
	v_addc_co_u32_e64 v7, s[0:1], 0, v7, s[0:1]
	v_mov_b32_e32 v10, s5
	v_add_co_u32_e64 v8, s[0:1], s4, v8
	v_addc_co_u32_e64 v9, s[0:1], v9, v10, s[0:1]
	v_mov_b32_e32 v10, s13
	v_addc_co_u32_e32 v11, vcc, v11, v10, vcc
	v_add_co_u32_e64 v8, s[0:1], 4, v8
	v_add_co_u32_e32 v10, vcc, 4, v12
	s_add_i32 s22, s22, s20
	v_addc_co_u32_e64 v9, s[0:1], 0, v9, s[0:1]
	v_addc_co_u32_e32 v11, vcc, 0, v11, vcc
	s_add_i32 s4, s8, -1
	v_add3_u32 v12, s22, v17, v16
.LBB229_7:                              ; =>This Inner Loop Header: Depth=1
	v_cmp_gt_f32_e32 vcc, v5, v4
	v_cndmask_b32_e32 v16, v4, v5, vcc
	v_cmp_gt_f32_e64 s[0:1], v2, v16
	v_cndmask_b32_e64 v16, v16, v2, s[0:1]
	v_cndmask_b32_e64 v17, 0, 1, vcc
	v_cmp_gt_f32_e32 vcc, v3, v16
	v_cndmask_b32_e64 v17, v17, 2, s[0:1]
	v_cndmask_b32_e64 v17, v17, 3, vcc
	v_cndmask_b32_e32 v16, v16, v3, vcc
	v_cmp_ne_u32_e64 s[2:3], 3, v17
	v_sub_f32_e32 v16, v16, v0
	v_cndmask_b32_e64 v3, v13, v3, s[2:3]
	v_cmp_ne_u32_e64 s[2:3], 2, v17
	v_cmp_le_i32_e32 vcc, s9, v17
	v_cmp_gt_i32_e64 s[0:1], s10, v17
	v_mul_f32_e32 v18, 0x3fb8aa3b, v16
	v_cndmask_b32_e64 v2, v13, v2, s[2:3]
	v_cmp_ne_u32_e64 s[2:3], 1, v17
	v_subrev_u32_e32 v19, s9, v17
	v_cndmask_b32_e64 v5, v13, v5, s[2:3]
	v_cmp_ne_u32_e64 s[2:3], 0, v17
	s_and_b64 s[0:1], vcc, s[0:1]
	v_fma_f32 v17, v16, s18, -v18
	v_rndne_f32_e32 v20, v18
	v_fmac_f32_e32 v17, 0x32a5705f, v16
	v_sub_f32_e32 v18, v18, v20
	s_and_b64 vcc, s[16:17], s[0:1]
	v_cndmask_b32_e32 v19, 4, v19, vcc
	v_add_f32_e32 v17, v18, v17
	v_cvt_i32_f32_e32 v20, v20
	global_store_dword v[8:9], v19, off
	global_store_dword v[6:7], v12, off
	v_add_co_u32_e32 v6, vcc, 4, v6
	v_exp_f32_e32 v17, v17
	v_addc_co_u32_e32 v7, vcc, 0, v7, vcc
	v_add_co_u32_e32 v8, vcc, 4, v8
	v_addc_co_u32_e32 v9, vcc, 0, v9, vcc
	v_ldexp_f32 v17, v17, v20
	v_cmp_ngt_f32_e32 vcc, s19, v16
	v_cndmask_b32_e32 v17, 0, v17, vcc
	v_cmp_nlt_f32_e32 vcc, s21, v16
	v_cndmask_b32_e32 v16, v15, v17, vcc
	s_add_i32 s4, s4, -1
	global_store_dword v[10:11], v16, off
	v_add_co_u32_e32 v10, vcc, 4, v10
	v_cndmask_b32_e64 v4, v13, v4, s[2:3]
	v_add_u32_e32 v12, s20, v12
	s_cmp_eq_u32 s4, 0
	v_add_f32_e32 v14, v14, v16
	v_addc_co_u32_e32 v11, vcc, 0, v11, vcc
	s_cbranch_scc0 .LBB229_7
	s_branch .LBB229_9
.LBB229_8:
	v_mov_b32_e32 v14, 0
.LBB229_9:
	v_pk_add_f32 v[4:5], v[4:5], v[0:1] op_sel_hi:[1,0] neg_lo:[0,1] neg_hi:[0,1]
	s_mov_b32 s0, 0x3fb8aa3b
	v_mul_f32_e32 v6, 0x3fb8aa3b, v5
	v_fma_f32 v7, v5, s0, -v6
	v_rndne_f32_e32 v8, v6
	v_fmac_f32_e32 v7, 0x32a5705f, v5
	v_sub_f32_e32 v6, v6, v8
	v_add_f32_e32 v6, v6, v7
	v_exp_f32_e32 v6, v6
	v_cvt_i32_f32_e32 v7, v8
	s_mov_b32 s1, 0xc2ce8ed0
	v_cmp_ngt_f32_e32 vcc, s1, v5
	s_mov_b32 s2, 0x42b17218
	v_ldexp_f32 v6, v6, v7
	v_mul_f32_e32 v7, 0x3fb8aa3b, v4
	v_fma_f32 v8, v4, s0, -v7
	v_rndne_f32_e32 v9, v7
	v_fmac_f32_e32 v8, 0x32a5705f, v4
	v_sub_f32_e32 v7, v7, v9
	v_add_f32_e32 v7, v7, v8
	v_exp_f32_e32 v7, v7
	v_cvt_i32_f32_e32 v8, v9
	v_cndmask_b32_e32 v6, 0, v6, vcc
	v_mov_b32_e32 v9, 0x7f800000
	v_cmp_nlt_f32_e32 vcc, s2, v5
	v_sub_f32_e32 v2, v2, v0
	v_cndmask_b32_e32 v5, v9, v6, vcc
	v_ldexp_f32 v6, v7, v8
	v_mul_f32_e32 v7, 0x3fb8aa3b, v2
	v_fma_f32 v8, v2, s0, -v7
	v_rndne_f32_e32 v10, v7
	v_fmac_f32_e32 v8, 0x32a5705f, v2
	v_sub_f32_e32 v7, v7, v10
	v_add_f32_e32 v7, v7, v8
	v_exp_f32_e32 v7, v7
	v_cvt_i32_f32_e32 v8, v10
	v_cmp_ngt_f32_e32 vcc, s1, v4
	v_cndmask_b32_e32 v6, 0, v6, vcc
	v_cmp_nlt_f32_e32 vcc, s2, v4
	v_sub_f32_e32 v0, v3, v0
	v_cndmask_b32_e32 v4, v9, v6, vcc
	v_mul_f32_e32 v3, 0x3fb8aa3b, v0
	v_add_f32_e32 v4, v4, v5
	v_ldexp_f32 v5, v7, v8
	v_fma_f32 v6, v0, s0, -v3
	v_rndne_f32_e32 v7, v3
	v_fmac_f32_e32 v6, 0x32a5705f, v0
	v_sub_f32_e32 v3, v3, v7
	v_add_f32_e32 v3, v3, v6
	v_exp_f32_e32 v3, v3
	v_cvt_i32_f32_e32 v6, v7
	v_cmp_ngt_f32_e32 vcc, s1, v2
	v_cndmask_b32_e32 v5, 0, v5, vcc
	v_cmp_nlt_f32_e32 vcc, s2, v2
	v_cndmask_b32_e32 v2, v9, v5, vcc
	v_ldexp_f32 v3, v3, v6
	v_cmp_ngt_f32_e32 vcc, s1, v0
	v_cndmask_b32_e32 v3, 0, v3, vcc
	v_cmp_nlt_f32_e32 vcc, s2, v0
	v_add_f32_e32 v2, v4, v2
	v_cndmask_b32_e32 v0, v9, v3, vcc
	v_add_f32_e32 v0, v2, v0
	v_add_f32_e32 v0, v14, v0
	v_cmp_neq_f32_e32 vcc, 0, v0
	s_and_b64 exec, exec, vcc
	s_cbranch_execz .LBB229_20
; %bb.10:
	s_andn2_b64 vcc, exec, s[14:15]
	s_cbranch_vccnz .LBB229_20
; %bb.11:
	v_div_scale_f32 v2, s[0:1], v0, v0, 1.0
	v_rcp_f32_e32 v3, v2
	v_div_scale_f32 v4, vcc, 1.0, v0, 1.0
	s_cmp_gt_u32 s8, 3
	v_fma_f32 v5, -v2, v3, 1.0
	v_fmac_f32_e32 v3, v5, v3
	v_mul_f32_e32 v5, v4, v3
	v_fma_f32 v6, -v2, v5, v4
	v_fmac_f32_e32 v5, v6, v3
	v_fma_f32 v2, -v2, v5, v4
	v_div_fmas_f32 v2, v2, v3, v5
	v_div_fixup_f32 v0, v2, v0, 1.0
	v_mul_lo_u32 v2, v1, s11
	v_ashrrev_i32_e32 v3, 31, v2
	s_cbranch_scc0 .LBB229_15
; %bb.12:
	v_lshlrev_b64 v[4:5], 2, v[2:3]
	v_mov_b32_e32 v6, s13
	v_add_co_u32_e32 v4, vcc, s12, v4
	v_addc_co_u32_e32 v5, vcc, v5, v6, vcc
	s_and_b32 s4, s8, 0x7ffffffc
	v_add_co_u32_e32 v4, vcc, 8, v4
	v_mov_b32_e32 v1, v0
	v_addc_co_u32_e32 v5, vcc, 0, v5, vcc
	s_mov_b32 s0, s4
.LBB229_13:                             ; =>This Inner Loop Header: Depth=1
	global_load_dwordx4 v[6:9], v[4:5], off offset:-8
	s_add_i32 s0, s0, -4
	s_cmp_lg_u32 s0, 0
	s_waitcnt vmcnt(0)
	v_pk_mul_f32 v[6:7], v[0:1], v[6:7]
	v_pk_mul_f32 v[8:9], v[0:1], v[8:9]
	global_store_dwordx4 v[4:5], v[6:9], off offset:-8
	v_add_co_u32_e32 v4, vcc, 16, v4
	v_addc_co_u32_e32 v5, vcc, 0, v5, vcc
	s_cbranch_scc1 .LBB229_13
; %bb.14:
	s_cmp_lg_u32 s4, s8
	s_cselect_b64 s[0:1], -1, 0
	s_branch .LBB229_17
.LBB229_15:
	s_mov_b64 s[0:1], 0
                                        ; implicit-def: $sgpr4
	s_cbranch_execz .LBB229_17
; %bb.16:
	s_mov_b64 s[0:1], -1
	s_mov_b32 s4, 0
.LBB229_17:
	s_andn2_b64 vcc, exec, s[0:1]
	s_cbranch_vccnz .LBB229_20
; %bb.18:
	v_add_co_u32_e32 v2, vcc, s4, v2
	v_addc_co_u32_e32 v3, vcc, 0, v3, vcc
	v_lshlrev_b64 v[2:3], 2, v[2:3]
	v_mov_b32_e32 v1, s13
	v_add_co_u32_e32 v2, vcc, s12, v2
	s_sub_i32 s0, s8, s4
	v_addc_co_u32_e32 v3, vcc, v1, v3, vcc
.LBB229_19:                             ; =>This Inner Loop Header: Depth=1
	global_load_dword v1, v[2:3], off
	s_add_i32 s0, s0, -1
	s_cmp_lg_u32 s0, 0
	s_waitcnt vmcnt(0)
	v_mul_f32_e32 v1, v0, v1
	global_store_dword v[2:3], v1, off
	v_add_co_u32_e32 v2, vcc, 4, v2
	v_addc_co_u32_e32 v3, vcc, 0, v3, vcc
	s_cbranch_scc1 .LBB229_19
.LBB229_20:
	s_endpgm
	.section	.rodata,"a",@progbits
	.p2align	6, 0x0
	.amdhsa_kernel _ZN4vllm3moe17topkGatingSoftmaxItLi4ELi4ELi8ELi8ELb0ELi0ELNS0_23SharedExpertScoringFuncE0EEEvPKT_PKbPfiPiS9_iiiiii
		.amdhsa_group_segment_fixed_size 0
		.amdhsa_private_segment_fixed_size 0
		.amdhsa_kernarg_size 72
		.amdhsa_user_sgpr_count 6
		.amdhsa_user_sgpr_private_segment_buffer 1
		.amdhsa_user_sgpr_dispatch_ptr 0
		.amdhsa_user_sgpr_queue_ptr 0
		.amdhsa_user_sgpr_kernarg_segment_ptr 1
		.amdhsa_user_sgpr_dispatch_id 0
		.amdhsa_user_sgpr_flat_scratch_init 0
		.amdhsa_user_sgpr_kernarg_preload_length 0
		.amdhsa_user_sgpr_kernarg_preload_offset 0
		.amdhsa_user_sgpr_private_segment_size 0
		.amdhsa_uses_dynamic_stack 0
		.amdhsa_system_sgpr_private_segment_wavefront_offset 0
		.amdhsa_system_sgpr_workgroup_id_x 1
		.amdhsa_system_sgpr_workgroup_id_y 0
		.amdhsa_system_sgpr_workgroup_id_z 0
		.amdhsa_system_sgpr_workgroup_info 0
		.amdhsa_system_vgpr_workitem_id 1
		.amdhsa_next_free_vgpr 21
		.amdhsa_next_free_sgpr 23
		.amdhsa_accum_offset 24
		.amdhsa_reserve_vcc 1
		.amdhsa_reserve_flat_scratch 0
		.amdhsa_float_round_mode_32 0
		.amdhsa_float_round_mode_16_64 0
		.amdhsa_float_denorm_mode_32 3
		.amdhsa_float_denorm_mode_16_64 3
		.amdhsa_dx10_clamp 1
		.amdhsa_ieee_mode 1
		.amdhsa_fp16_overflow 0
		.amdhsa_tg_split 0
		.amdhsa_exception_fp_ieee_invalid_op 0
		.amdhsa_exception_fp_denorm_src 0
		.amdhsa_exception_fp_ieee_div_zero 0
		.amdhsa_exception_fp_ieee_overflow 0
		.amdhsa_exception_fp_ieee_underflow 0
		.amdhsa_exception_fp_ieee_inexact 0
		.amdhsa_exception_int_div_zero 0
	.end_amdhsa_kernel
	.section	.text._ZN4vllm3moe17topkGatingSoftmaxItLi4ELi4ELi8ELi8ELb0ELi0ELNS0_23SharedExpertScoringFuncE0EEEvPKT_PKbPfiPiS9_iiiiii,"axG",@progbits,_ZN4vllm3moe17topkGatingSoftmaxItLi4ELi4ELi8ELi8ELb0ELi0ELNS0_23SharedExpertScoringFuncE0EEEvPKT_PKbPfiPiS9_iiiiii,comdat
.Lfunc_end229:
	.size	_ZN4vllm3moe17topkGatingSoftmaxItLi4ELi4ELi8ELi8ELb0ELi0ELNS0_23SharedExpertScoringFuncE0EEEvPKT_PKbPfiPiS9_iiiiii, .Lfunc_end229-_ZN4vllm3moe17topkGatingSoftmaxItLi4ELi4ELi8ELi8ELb0ELi0ELNS0_23SharedExpertScoringFuncE0EEEvPKT_PKbPfiPiS9_iiiiii
                                        ; -- End function
	.section	.AMDGPU.csdata,"",@progbits
; Kernel info:
; codeLenInByte = 1744
; NumSgprs: 27
; NumVgprs: 21
; NumAgprs: 0
; TotalNumVgprs: 21
; ScratchSize: 0
; MemoryBound: 0
; FloatMode: 240
; IeeeMode: 1
; LDSByteSize: 0 bytes/workgroup (compile time only)
; SGPRBlocks: 3
; VGPRBlocks: 2
; NumSGPRsForWavesPerEU: 27
; NumVGPRsForWavesPerEU: 21
; AccumOffset: 24
; Occupancy: 8
; WaveLimiterHint : 0
; COMPUTE_PGM_RSRC2:SCRATCH_EN: 0
; COMPUTE_PGM_RSRC2:USER_SGPR: 6
; COMPUTE_PGM_RSRC2:TRAP_HANDLER: 0
; COMPUTE_PGM_RSRC2:TGID_X_EN: 1
; COMPUTE_PGM_RSRC2:TGID_Y_EN: 0
; COMPUTE_PGM_RSRC2:TGID_Z_EN: 0
; COMPUTE_PGM_RSRC2:TIDIG_COMP_CNT: 1
; COMPUTE_PGM_RSRC3_GFX90A:ACCUM_OFFSET: 5
; COMPUTE_PGM_RSRC3_GFX90A:TG_SPLIT: 0
	.section	.text._ZN4vllm3moe17topkGatingSoftmaxItLi4ELi4ELi8ELi8ELb1ELi1ELNS0_23SharedExpertScoringFuncE1EEEvPKT_PKbPfiPiS9_iiiiii,"axG",@progbits,_ZN4vllm3moe17topkGatingSoftmaxItLi4ELi4ELi8ELi8ELb1ELi1ELNS0_23SharedExpertScoringFuncE1EEEvPKT_PKbPfiPiS9_iiiiii,comdat
	.protected	_ZN4vllm3moe17topkGatingSoftmaxItLi4ELi4ELi8ELi8ELb1ELi1ELNS0_23SharedExpertScoringFuncE1EEEvPKT_PKbPfiPiS9_iiiiii ; -- Begin function _ZN4vllm3moe17topkGatingSoftmaxItLi4ELi4ELi8ELi8ELb1ELi1ELNS0_23SharedExpertScoringFuncE1EEEvPKT_PKbPfiPiS9_iiiiii
	.globl	_ZN4vllm3moe17topkGatingSoftmaxItLi4ELi4ELi8ELi8ELb1ELi1ELNS0_23SharedExpertScoringFuncE1EEEvPKT_PKbPfiPiS9_iiiiii
	.p2align	8
	.type	_ZN4vllm3moe17topkGatingSoftmaxItLi4ELi4ELi8ELi8ELb1ELi1ELNS0_23SharedExpertScoringFuncE1EEEvPKT_PKbPfiPiS9_iiiiii,@function
_ZN4vllm3moe17topkGatingSoftmaxItLi4ELi4ELi8ELi8ELb1ELi1ELNS0_23SharedExpertScoringFuncE1EEEvPKT_PKbPfiPiS9_iiiiii: ; @_ZN4vllm3moe17topkGatingSoftmaxItLi4ELi4ELi8ELi8ELb1ELi1ELNS0_23SharedExpertScoringFuncE1EEEvPKT_PKbPfiPiS9_iiiiii
; %bb.0:
	s_load_dword s18, s[4:5], 0x18
	v_bfe_u32 v1, v0, 10, 10
	s_lshl_b32 s19, s6, 9
	v_lshlrev_b32_e32 v15, 6, v1
	v_and_b32_e32 v16, 0x3ff, v0
	v_add3_u32 v2, v15, v16, s19
	s_waitcnt lgkmcnt(0)
	v_cmp_gt_i32_e32 vcc, s18, v2
	s_and_saveexec_b64 s[0:1], vcc
	s_cbranch_execz .LBB230_19
; %bb.1:
	s_load_dwordx4 s[0:3], s[4:5], 0x0
	s_load_dwordx2 s[12:13], s[4:5], 0x10
	s_waitcnt lgkmcnt(0)
	s_cmp_eq_u64 s[2:3], 0
	s_cbranch_scc1 .LBB230_3
; %bb.2:
	v_ashrrev_i32_e32 v1, 31, v2
	v_mov_b32_e32 v3, s3
	v_add_co_u32_e32 v0, vcc, s2, v2
	v_addc_co_u32_e32 v1, vcc, v3, v1, vcc
	global_load_ubyte v0, v[0:1], off
	s_waitcnt vmcnt(0)
	v_and_b32_e32 v0, 1, v0
	v_cmp_eq_u32_e32 vcc, 1, v0
	s_xor_b64 s[2:3], vcc, -1
	s_orn2_b64 s[14:15], s[2:3], exec
	s_branch .LBB230_4
.LBB230_3:
	s_mov_b64 s[14:15], -1
.LBB230_4:
	s_load_dwordx2 s[2:3], s[4:5], 0x40
	s_load_dwordx4 s[8:11], s[4:5], 0x30
	v_mov_b32_e32 v3, s1
	s_mov_b32 s1, 0xbfb8aa3b
	s_mov_b32 s6, 0xc2b17218
	s_waitcnt lgkmcnt(0)
	v_mul_lo_u32 v0, v2, s3
	v_ashrrev_i32_e32 v1, 31, v0
	v_lshlrev_b64 v[0:1], 1, v[0:1]
	v_add_co_u32_e32 v4, vcc, s0, v0
	v_addc_co_u32_e32 v5, vcc, v3, v1, vcc
	global_load_ushort v6, v[4:5], off offset:8
	global_load_dwordx2 v[0:1], v[4:5], off
	s_mov_b32 s3, 0x42ce8ed0
	v_mov_b32_e32 v3, 0x7f800000
	v_mul_lo_u32 v4, v2, s11
	v_mov_b32_e32 v5, s13
	s_cmp_gt_i32 s8, 0
	s_mov_b32 s0, 0xffff
	v_mov_b32_e32 v14, 0
	s_cselect_b64 s[16:17], -1, 0
	s_cmp_lt_i32 s8, 1
	s_waitcnt vmcnt(1)
	v_cvt_f32_u32_sdwa v8, v6 dst_sel:DWORD dst_unused:UNUSED_PAD src0_sel:WORD_0
	v_add_u32_e32 v6, s8, v4
	v_mul_f32_e32 v7, 0xbfb8aa3b, v8
	v_fma_f32 v9, v8, s1, -v7
	v_rndne_f32_e32 v10, v7
	v_fmac_f32_e32 v9, 0xb2a5705f, v8
	v_sub_f32_e32 v7, v7, v10
	v_add_f32_e32 v7, v7, v9
	v_cvt_i32_f32_e32 v10, v10
	v_exp_f32_e32 v9, v7
	v_cmp_nlt_f32_e32 vcc, s3, v8
	v_ashrrev_i32_e32 v7, 31, v6
	v_lshlrev_b64 v[6:7], 2, v[6:7]
	v_ldexp_f32 v9, v9, v10
	v_cndmask_b32_e32 v9, 0, v9, vcc
	v_cmp_ngt_f32_e32 vcc, s6, v8
	v_cndmask_b32_e32 v8, v3, v9, vcc
	v_add_f32_e32 v8, 1.0, v8
	v_div_scale_f32 v9, s[6:7], v8, v8, 1.0
	v_rcp_f32_e32 v10, v9
	v_add_co_u32_e32 v6, vcc, s12, v6
	v_addc_co_u32_e32 v7, vcc, v5, v7, vcc
	v_fma_f32 v11, -v9, v10, 1.0
	v_div_scale_f32 v5, vcc, 1.0, v8, 1.0
	v_fmac_f32_e32 v10, v11, v10
	v_mul_f32_e32 v11, v5, v10
	v_fma_f32 v12, -v9, v11, v5
	v_fmac_f32_e32 v11, v12, v10
	v_fma_f32 v5, -v9, v11, v5
	v_div_fmas_f32 v5, v5, v10, v11
	v_div_fixup_f32 v5, v5, v8, 1.0
	global_store_dword v[6:7], v5, off
	s_cbranch_scc1 .LBB230_8
; %bb.5:
	s_waitcnt vmcnt(1)
	v_bfi_b32 v0, s0, v0, v0
	v_cvt_f32_u32_sdwa v18, v0 dst_sel:DWORD dst_unused:UNUSED_PAD src0_sel:WORD_1
	v_cvt_f32_u32_sdwa v0, v0 dst_sel:DWORD dst_unused:UNUSED_PAD src0_sel:WORD_0
	v_cvt_f32_u32_sdwa v19, v1 dst_sel:DWORD dst_unused:UNUSED_PAD src0_sel:WORD_1
	v_cvt_f32_u32_sdwa v1, v1 dst_sel:DWORD dst_unused:UNUSED_PAD src0_sel:WORD_0
	s_mov_b32 s11, 0x3fb8aa3b
	v_cmp_lt_f32_e32 vcc, v0, v18
	v_cndmask_b32_e32 v6, v0, v18, vcc
	v_cndmask_b32_e64 v5, 0, 1, vcc
	v_cmp_lt_f32_e32 vcc, v6, v1
	v_cndmask_b32_e32 v6, v6, v1, vcc
	v_cndmask_b32_e64 v5, v5, 2, vcc
	;; [unrolled: 3-line block ×3, first 2 shown]
	v_sub_f32_e32 v5, v17, v17
	v_mul_f32_e32 v7, 0x3fb8aa3b, v5
	v_fma_f32 v8, v5, s11, -v7
	v_rndne_f32_e32 v9, v7
	v_fmac_f32_e32 v8, 0x32a5705f, v5
	v_sub_f32_e32 v7, v7, v9
	v_add_f32_e32 v7, v7, v8
	v_exp_f32_e32 v7, v7
	v_cvt_i32_f32_e32 v8, v9
	v_cmp_le_i32_e32 vcc, s9, v20
	v_cmp_gt_i32_e64 s[0:1], s10, v20
	s_mov_b32 s20, 0xc2ce8ed0
	v_mul_lo_u32 v6, v2, s2
	s_and_b64 s[2:3], vcc, s[0:1]
	v_ldexp_f32 v7, v7, v8
	v_cmp_ngt_f32_e32 vcc, s20, v5
	s_mov_b32 s21, 0x42b17218
	s_load_dwordx4 s[4:7], s[4:5], 0x20
	v_cndmask_b32_e32 v7, 0, v7, vcc
	v_cmp_nlt_f32_e32 vcc, s21, v5
	v_ashrrev_i32_e32 v5, 31, v4
	v_lshlrev_b64 v[10:11], 2, v[4:5]
	v_cndmask_b32_e32 v14, v3, v7, vcc
	v_mov_b32_e32 v3, s13
	v_add_co_u32_e32 v12, vcc, s12, v10
	v_addc_co_u32_e64 v13, s[0:1], v3, v11, vcc
	v_ashrrev_i32_e32 v7, 31, v6
	v_subrev_u32_e32 v3, s9, v20
	s_and_b64 s[0:1], s[14:15], s[2:3]
	v_lshlrev_b64 v[8:9], 2, v[6:7]
	v_mul_lo_u32 v22, v2, s8
	v_cndmask_b32_e64 v3, 4, v3, s[0:1]
	s_waitcnt lgkmcnt(0)
	v_mov_b32_e32 v5, s5
	v_add_co_u32_e64 v6, s[0:1], s4, v8
	v_addc_co_u32_e64 v7, s[0:1], v5, v9, s[0:1]
	v_ashrrev_i32_e32 v23, 31, v22
	global_store_dword v[6:7], v3, off
	v_lshlrev_b64 v[6:7], 2, v[22:23]
	v_mov_b32_e32 v3, s7
	v_add_co_u32_e64 v22, s[0:1], s6, v6
	v_addc_co_u32_e64 v23, s[0:1], v3, v7, s[0:1]
	s_cmp_eq_u32 s8, 1
	global_store_dword v[12:13], v14, off
	global_store_dword v[22:23], v2, off
	s_cbranch_scc1 .LBB230_8
; %bb.6:
	v_mov_b32_e32 v5, 0xff800000
	v_cmp_ne_u32_e64 s[0:1], 3, v20
	v_cndmask_b32_e64 v3, v5, v19, s[0:1]
	v_cmp_ne_u32_e64 s[0:1], 2, v20
	v_cndmask_b32_e64 v2, v5, v1, s[0:1]
	;; [unrolled: 2-line block ×4, first 2 shown]
	v_mov_b32_e32 v10, s7
	v_add_co_u32_e64 v6, s[0:1], s6, v6
	v_addc_co_u32_e64 v7, s[0:1], v7, v10, s[0:1]
	v_add_co_u32_e64 v6, s[0:1], 4, v6
	v_addc_co_u32_e64 v7, s[0:1], 0, v7, s[0:1]
	v_mov_b32_e32 v10, s5
	v_add_co_u32_e64 v8, s[0:1], s4, v8
	v_addc_co_u32_e64 v9, s[0:1], v9, v10, s[0:1]
	v_mov_b32_e32 v10, s13
	v_addc_co_u32_e32 v11, vcc, v11, v10, vcc
	v_add_co_u32_e64 v8, s[0:1], 4, v8
	v_add_co_u32_e32 v10, vcc, 4, v12
	s_add_i32 s19, s19, s18
	v_addc_co_u32_e64 v9, s[0:1], 0, v9, s[0:1]
	v_addc_co_u32_e32 v11, vcc, 0, v11, vcc
	s_add_i32 s4, s8, -1
	v_add3_u32 v12, s19, v16, v15
	v_mov_b32_e32 v13, 0x7f800000
.LBB230_7:                              ; =>This Inner Loop Header: Depth=1
	v_cmp_gt_f32_e32 vcc, v1, v0
	v_cndmask_b32_e32 v15, v0, v1, vcc
	v_cmp_gt_f32_e64 s[0:1], v2, v15
	v_cndmask_b32_e64 v15, v15, v2, s[0:1]
	v_cndmask_b32_e64 v16, 0, 1, vcc
	v_cmp_gt_f32_e32 vcc, v3, v15
	v_cndmask_b32_e64 v16, v16, 2, s[0:1]
	v_cndmask_b32_e64 v16, v16, 3, vcc
	v_cndmask_b32_e32 v15, v15, v3, vcc
	v_cmp_ne_u32_e64 s[2:3], 3, v16
	v_sub_f32_e32 v15, v15, v17
	v_cndmask_b32_e64 v3, v5, v3, s[2:3]
	v_cmp_ne_u32_e64 s[2:3], 2, v16
	v_cmp_le_i32_e32 vcc, s9, v16
	v_cmp_gt_i32_e64 s[0:1], s10, v16
	v_mul_f32_e32 v18, 0x3fb8aa3b, v15
	v_cndmask_b32_e64 v2, v5, v2, s[2:3]
	v_cmp_ne_u32_e64 s[2:3], 1, v16
	v_subrev_u32_e32 v19, s9, v16
	v_cndmask_b32_e64 v1, v5, v1, s[2:3]
	v_cmp_ne_u32_e64 s[2:3], 0, v16
	s_and_b64 s[0:1], vcc, s[0:1]
	v_fma_f32 v16, v15, s11, -v18
	v_rndne_f32_e32 v20, v18
	v_fmac_f32_e32 v16, 0x32a5705f, v15
	v_sub_f32_e32 v18, v18, v20
	s_and_b64 vcc, s[14:15], s[0:1]
	v_cndmask_b32_e32 v19, 4, v19, vcc
	v_add_f32_e32 v16, v18, v16
	v_cvt_i32_f32_e32 v20, v20
	global_store_dword v[8:9], v19, off
	global_store_dword v[6:7], v12, off
	v_add_co_u32_e32 v6, vcc, 4, v6
	v_exp_f32_e32 v16, v16
	v_addc_co_u32_e32 v7, vcc, 0, v7, vcc
	v_add_co_u32_e32 v8, vcc, 4, v8
	v_addc_co_u32_e32 v9, vcc, 0, v9, vcc
	v_ldexp_f32 v16, v16, v20
	v_cmp_ngt_f32_e32 vcc, s20, v15
	v_cndmask_b32_e32 v16, 0, v16, vcc
	v_cmp_nlt_f32_e32 vcc, s21, v15
	v_cndmask_b32_e32 v15, v13, v16, vcc
	s_add_i32 s4, s4, -1
	global_store_dword v[10:11], v15, off
	v_add_co_u32_e32 v10, vcc, 4, v10
	v_cndmask_b32_e64 v0, v5, v0, s[2:3]
	v_add_u32_e32 v12, s18, v12
	s_cmp_eq_u32 s4, 0
	v_add_f32_e32 v14, v14, v15
	v_addc_co_u32_e32 v11, vcc, 0, v11, vcc
	s_cbranch_scc0 .LBB230_7
.LBB230_8:
	v_cmp_neq_f32_e32 vcc, 0, v14
	s_and_b64 exec, exec, vcc
	s_cbranch_execz .LBB230_19
; %bb.9:
	s_andn2_b64 vcc, exec, s[16:17]
	s_cbranch_vccnz .LBB230_19
; %bb.10:
	s_waitcnt vmcnt(1)
	v_div_scale_f32 v0, s[0:1], v14, v14, 1.0
	v_rcp_f32_e32 v1, v0
	v_div_scale_f32 v2, vcc, 1.0, v14, 1.0
	s_cmp_gt_u32 s8, 3
	v_fma_f32 v3, -v0, v1, 1.0
	v_fmac_f32_e32 v1, v3, v1
	v_mul_f32_e32 v3, v2, v1
	v_fma_f32 v5, -v0, v3, v2
	v_fmac_f32_e32 v3, v5, v1
	v_fma_f32 v0, -v0, v3, v2
	v_div_fmas_f32 v0, v0, v1, v3
	v_div_fixup_f32 v0, v0, v14, 1.0
	v_ashrrev_i32_e32 v5, 31, v4
	s_cbranch_scc0 .LBB230_14
; %bb.11:
	v_lshlrev_b64 v[2:3], 2, v[4:5]
	v_mov_b32_e32 v6, s13
	v_add_co_u32_e32 v2, vcc, s12, v2
	v_addc_co_u32_e32 v3, vcc, v3, v6, vcc
	s_and_b32 s4, s8, 0x7ffffffc
	v_add_co_u32_e32 v2, vcc, 8, v2
	v_mov_b32_e32 v1, v0
	v_addc_co_u32_e32 v3, vcc, 0, v3, vcc
	s_mov_b32 s0, s4
.LBB230_12:                             ; =>This Inner Loop Header: Depth=1
	global_load_dwordx4 v[6:9], v[2:3], off offset:-8
	s_add_i32 s0, s0, -4
	s_cmp_lg_u32 s0, 0
	s_waitcnt vmcnt(0)
	v_pk_mul_f32 v[6:7], v[0:1], v[6:7]
	v_pk_mul_f32 v[8:9], v[0:1], v[8:9]
	global_store_dwordx4 v[2:3], v[6:9], off offset:-8
	v_add_co_u32_e32 v2, vcc, 16, v2
	v_addc_co_u32_e32 v3, vcc, 0, v3, vcc
	s_cbranch_scc1 .LBB230_12
; %bb.13:
	s_cmp_lg_u32 s4, s8
	s_cselect_b64 s[0:1], -1, 0
	s_branch .LBB230_16
.LBB230_14:
	s_mov_b64 s[0:1], 0
                                        ; implicit-def: $sgpr4
	s_cbranch_execz .LBB230_16
; %bb.15:
	s_mov_b64 s[0:1], -1
	s_mov_b32 s4, 0
.LBB230_16:
	s_andn2_b64 vcc, exec, s[0:1]
	s_cbranch_vccnz .LBB230_19
; %bb.17:
	v_add_co_u32_e32 v2, vcc, s4, v4
	v_addc_co_u32_e32 v3, vcc, 0, v5, vcc
	v_lshlrev_b64 v[2:3], 2, v[2:3]
	v_mov_b32_e32 v1, s13
	v_add_co_u32_e32 v2, vcc, s12, v2
	s_sub_i32 s0, s8, s4
	v_addc_co_u32_e32 v3, vcc, v1, v3, vcc
.LBB230_18:                             ; =>This Inner Loop Header: Depth=1
	global_load_dword v1, v[2:3], off
	s_add_i32 s0, s0, -1
	s_cmp_lg_u32 s0, 0
	s_waitcnt vmcnt(0)
	v_mul_f32_e32 v1, v0, v1
	global_store_dword v[2:3], v1, off
	v_add_co_u32_e32 v2, vcc, 4, v2
	v_addc_co_u32_e32 v3, vcc, 0, v3, vcc
	s_cbranch_scc1 .LBB230_18
.LBB230_19:
	s_endpgm
	.section	.rodata,"a",@progbits
	.p2align	6, 0x0
	.amdhsa_kernel _ZN4vllm3moe17topkGatingSoftmaxItLi4ELi4ELi8ELi8ELb1ELi1ELNS0_23SharedExpertScoringFuncE1EEEvPKT_PKbPfiPiS9_iiiiii
		.amdhsa_group_segment_fixed_size 0
		.amdhsa_private_segment_fixed_size 0
		.amdhsa_kernarg_size 72
		.amdhsa_user_sgpr_count 6
		.amdhsa_user_sgpr_private_segment_buffer 1
		.amdhsa_user_sgpr_dispatch_ptr 0
		.amdhsa_user_sgpr_queue_ptr 0
		.amdhsa_user_sgpr_kernarg_segment_ptr 1
		.amdhsa_user_sgpr_dispatch_id 0
		.amdhsa_user_sgpr_flat_scratch_init 0
		.amdhsa_user_sgpr_kernarg_preload_length 0
		.amdhsa_user_sgpr_kernarg_preload_offset 0
		.amdhsa_user_sgpr_private_segment_size 0
		.amdhsa_uses_dynamic_stack 0
		.amdhsa_system_sgpr_private_segment_wavefront_offset 0
		.amdhsa_system_sgpr_workgroup_id_x 1
		.amdhsa_system_sgpr_workgroup_id_y 0
		.amdhsa_system_sgpr_workgroup_id_z 0
		.amdhsa_system_sgpr_workgroup_info 0
		.amdhsa_system_vgpr_workitem_id 1
		.amdhsa_next_free_vgpr 24
		.amdhsa_next_free_sgpr 22
		.amdhsa_accum_offset 24
		.amdhsa_reserve_vcc 1
		.amdhsa_reserve_flat_scratch 0
		.amdhsa_float_round_mode_32 0
		.amdhsa_float_round_mode_16_64 0
		.amdhsa_float_denorm_mode_32 3
		.amdhsa_float_denorm_mode_16_64 3
		.amdhsa_dx10_clamp 1
		.amdhsa_ieee_mode 1
		.amdhsa_fp16_overflow 0
		.amdhsa_tg_split 0
		.amdhsa_exception_fp_ieee_invalid_op 0
		.amdhsa_exception_fp_denorm_src 0
		.amdhsa_exception_fp_ieee_div_zero 0
		.amdhsa_exception_fp_ieee_overflow 0
		.amdhsa_exception_fp_ieee_underflow 0
		.amdhsa_exception_fp_ieee_inexact 0
		.amdhsa_exception_int_div_zero 0
	.end_amdhsa_kernel
	.section	.text._ZN4vllm3moe17topkGatingSoftmaxItLi4ELi4ELi8ELi8ELb1ELi1ELNS0_23SharedExpertScoringFuncE1EEEvPKT_PKbPfiPiS9_iiiiii,"axG",@progbits,_ZN4vllm3moe17topkGatingSoftmaxItLi4ELi4ELi8ELi8ELb1ELi1ELNS0_23SharedExpertScoringFuncE1EEEvPKT_PKbPfiPiS9_iiiiii,comdat
.Lfunc_end230:
	.size	_ZN4vllm3moe17topkGatingSoftmaxItLi4ELi4ELi8ELi8ELb1ELi1ELNS0_23SharedExpertScoringFuncE1EEEvPKT_PKbPfiPiS9_iiiiii, .Lfunc_end230-_ZN4vllm3moe17topkGatingSoftmaxItLi4ELi4ELi8ELi8ELb1ELi1ELNS0_23SharedExpertScoringFuncE1EEEvPKT_PKbPfiPiS9_iiiiii
                                        ; -- End function
	.section	.AMDGPU.csdata,"",@progbits
; Kernel info:
; codeLenInByte = 1632
; NumSgprs: 26
; NumVgprs: 24
; NumAgprs: 0
; TotalNumVgprs: 24
; ScratchSize: 0
; MemoryBound: 0
; FloatMode: 240
; IeeeMode: 1
; LDSByteSize: 0 bytes/workgroup (compile time only)
; SGPRBlocks: 3
; VGPRBlocks: 2
; NumSGPRsForWavesPerEU: 26
; NumVGPRsForWavesPerEU: 24
; AccumOffset: 24
; Occupancy: 8
; WaveLimiterHint : 0
; COMPUTE_PGM_RSRC2:SCRATCH_EN: 0
; COMPUTE_PGM_RSRC2:USER_SGPR: 6
; COMPUTE_PGM_RSRC2:TRAP_HANDLER: 0
; COMPUTE_PGM_RSRC2:TGID_X_EN: 1
; COMPUTE_PGM_RSRC2:TGID_Y_EN: 0
; COMPUTE_PGM_RSRC2:TGID_Z_EN: 0
; COMPUTE_PGM_RSRC2:TIDIG_COMP_CNT: 1
; COMPUTE_PGM_RSRC3_GFX90A:ACCUM_OFFSET: 5
; COMPUTE_PGM_RSRC3_GFX90A:TG_SPLIT: 0
	.section	.text._ZN4vllm3moe17topkGatingSoftmaxItLi4ELi4ELi8ELi8ELb0ELi1ELNS0_23SharedExpertScoringFuncE1EEEvPKT_PKbPfiPiS9_iiiiii,"axG",@progbits,_ZN4vllm3moe17topkGatingSoftmaxItLi4ELi4ELi8ELi8ELb0ELi1ELNS0_23SharedExpertScoringFuncE1EEEvPKT_PKbPfiPiS9_iiiiii,comdat
	.protected	_ZN4vllm3moe17topkGatingSoftmaxItLi4ELi4ELi8ELi8ELb0ELi1ELNS0_23SharedExpertScoringFuncE1EEEvPKT_PKbPfiPiS9_iiiiii ; -- Begin function _ZN4vllm3moe17topkGatingSoftmaxItLi4ELi4ELi8ELi8ELb0ELi1ELNS0_23SharedExpertScoringFuncE1EEEvPKT_PKbPfiPiS9_iiiiii
	.globl	_ZN4vllm3moe17topkGatingSoftmaxItLi4ELi4ELi8ELi8ELb0ELi1ELNS0_23SharedExpertScoringFuncE1EEEvPKT_PKbPfiPiS9_iiiiii
	.p2align	8
	.type	_ZN4vllm3moe17topkGatingSoftmaxItLi4ELi4ELi8ELi8ELb0ELi1ELNS0_23SharedExpertScoringFuncE1EEEvPKT_PKbPfiPiS9_iiiiii,@function
_ZN4vllm3moe17topkGatingSoftmaxItLi4ELi4ELi8ELi8ELb0ELi1ELNS0_23SharedExpertScoringFuncE1EEEvPKT_PKbPfiPiS9_iiiiii: ; @_ZN4vllm3moe17topkGatingSoftmaxItLi4ELi4ELi8ELi8ELb0ELi1ELNS0_23SharedExpertScoringFuncE1EEEvPKT_PKbPfiPiS9_iiiiii
; %bb.0:
	s_load_dword s20, s[4:5], 0x18
	v_bfe_u32 v1, v0, 10, 10
	s_lshl_b32 s21, s6, 9
	v_lshlrev_b32_e32 v17, 6, v1
	v_and_b32_e32 v18, 0x3ff, v0
	v_add3_u32 v19, v17, v18, s21
	s_waitcnt lgkmcnt(0)
	v_cmp_gt_i32_e32 vcc, s20, v19
	s_and_saveexec_b64 s[0:1], vcc
	s_cbranch_execz .LBB231_19
; %bb.1:
	s_load_dwordx4 s[0:3], s[4:5], 0x0
	s_load_dwordx2 s[12:13], s[4:5], 0x10
	s_waitcnt lgkmcnt(0)
	s_cmp_eq_u64 s[2:3], 0
	s_cbranch_scc1 .LBB231_3
; %bb.2:
	v_ashrrev_i32_e32 v1, 31, v19
	v_mov_b32_e32 v2, s3
	v_add_co_u32_e32 v0, vcc, s2, v19
	v_addc_co_u32_e32 v1, vcc, v2, v1, vcc
	global_load_ubyte v0, v[0:1], off
	s_waitcnt vmcnt(0)
	v_and_b32_e32 v0, 1, v0
	v_cmp_eq_u32_e32 vcc, 1, v0
	s_xor_b64 s[2:3], vcc, -1
	s_orn2_b64 s[16:17], s[2:3], exec
	s_branch .LBB231_4
.LBB231_3:
	s_mov_b64 s[16:17], -1
.LBB231_4:
	s_load_dwordx2 s[18:19], s[4:5], 0x40
	s_load_dwordx4 s[8:11], s[4:5], 0x30
	v_mov_b32_e32 v2, s1
	s_mov_b32 s2, 0x42ce8ed0
	s_mov_b32 s3, 0xc2b17218
	s_waitcnt lgkmcnt(0)
	v_mul_lo_u32 v0, v19, s19
	v_ashrrev_i32_e32 v1, 31, v0
	v_lshlrev_b64 v[0:1], 1, v[0:1]
	v_add_co_u32_e32 v0, vcc, s0, v0
	v_addc_co_u32_e32 v1, vcc, v2, v1, vcc
	global_load_ushort v4, v[0:1], off offset:8
	global_load_dwordx2 v[8:9], v[0:1], off
	v_mul_lo_u32 v0, v19, s11
	v_add_u32_e32 v2, s8, v0
	v_ashrrev_i32_e32 v3, 31, v2
	v_lshlrev_b64 v[2:3], 2, v[2:3]
	v_mov_b32_e32 v1, s13
	v_add_co_u32_e32 v10, vcc, s12, v2
	v_addc_co_u32_e32 v11, vcc, v1, v3, vcc
	s_mov_b32 s0, 0xbfb8aa3b
	v_mov_b32_e32 v5, 0x7f800000
	s_cmp_gt_i32 s8, 0
	v_mov_b32_e32 v16, 0
	s_cselect_b64 s[14:15], -1, 0
	s_cmp_lt_i32 s8, 1
	s_waitcnt vmcnt(1)
	v_cvt_f32_u32_e32 v1, v4
	s_waitcnt vmcnt(0)
	v_cvt_f32_u32_sdwa v7, v8 dst_sel:DWORD dst_unused:UNUSED_PAD src0_sel:WORD_1
	v_cvt_f32_u32_sdwa v6, v8 dst_sel:DWORD dst_unused:UNUSED_PAD src0_sel:WORD_0
	v_cvt_f32_u32_sdwa v3, v9 dst_sel:DWORD dst_unused:UNUSED_PAD src0_sel:WORD_1
	v_mul_f32_e32 v2, 0xbfb8aa3b, v1
	v_fma_f32 v4, v1, s0, -v2
	v_rndne_f32_e32 v8, v2
	v_fmac_f32_e32 v4, 0xb2a5705f, v1
	v_sub_f32_e32 v2, v2, v8
	v_add_f32_e32 v2, v2, v4
	v_cvt_i32_f32_e32 v8, v8
	v_exp_f32_e32 v4, v2
	v_cmp_nlt_f32_e32 vcc, s2, v1
	v_cvt_f32_u32_sdwa v2, v9 dst_sel:DWORD dst_unused:UNUSED_PAD src0_sel:WORD_0
	v_cmp_lt_f32_e64 s[0:1], v6, v7
	v_ldexp_f32 v4, v4, v8
	v_cndmask_b32_e32 v4, 0, v4, vcc
	v_cmp_ngt_f32_e32 vcc, s3, v1
	v_cndmask_b32_e32 v1, v5, v4, vcc
	v_add_f32_e32 v1, 1.0, v1
	v_div_scale_f32 v4, s[2:3], v1, v1, 1.0
	v_rcp_f32_e32 v8, v4
	v_div_scale_f32 v12, vcc, 1.0, v1, 1.0
	v_cndmask_b32_e64 v9, v6, v7, s[0:1]
	v_fma_f32 v13, -v4, v8, 1.0
	v_fmac_f32_e32 v8, v13, v8
	v_mul_f32_e32 v13, v12, v8
	v_fma_f32 v14, -v4, v13, v12
	v_cmp_lt_f32_e64 s[2:3], v9, v2
	v_fmac_f32_e32 v13, v14, v8
	v_cndmask_b32_e64 v9, v9, v2, s[2:3]
	v_fma_f32 v4, -v4, v13, v12
	v_div_fmas_f32 v4, v4, v8, v13
	v_cmp_lt_f32_e32 vcc, v9, v3
	v_div_fixup_f32 v1, v4, v1, 1.0
	v_cndmask_b32_e32 v4, v9, v3, vcc
	global_store_dword v[10:11], v1, off
	s_cbranch_scc1 .LBB231_8
; %bb.5:
	v_cndmask_b32_e64 v1, 0, 1, s[0:1]
	v_cndmask_b32_e64 v1, v1, 2, s[2:3]
	v_cndmask_b32_e64 v22, v1, 3, vcc
	v_sub_f32_e32 v1, v4, v4
	v_mul_f32_e32 v9, 0x3fb8aa3b, v1
	s_mov_b32 s11, 0x3fb8aa3b
	v_rndne_f32_e32 v10, v9
	v_sub_f32_e32 v11, v9, v10
	v_fma_f32 v9, v1, s11, -v9
	v_fmac_f32_e32 v9, 0x32a5705f, v1
	v_add_f32_e32 v9, v11, v9
	v_exp_f32_e32 v9, v9
	v_cvt_i32_f32_e32 v10, v10
	v_mul_lo_u32 v8, v19, s18
	v_cmp_le_i32_e32 vcc, s9, v22
	v_cmp_gt_i32_e64 s[0:1], s10, v22
	s_mov_b32 s18, 0xc2ce8ed0
	s_and_b64 s[2:3], vcc, s[0:1]
	v_ldexp_f32 v9, v9, v10
	v_cmp_ngt_f32_e32 vcc, s18, v1
	s_mov_b32 s19, 0x42b17218
	s_load_dwordx4 s[4:7], s[4:5], 0x20
	v_cndmask_b32_e32 v9, 0, v9, vcc
	v_cmp_nlt_f32_e32 vcc, s19, v1
	v_ashrrev_i32_e32 v1, 31, v0
	v_lshlrev_b64 v[12:13], 2, v[0:1]
	v_cndmask_b32_e32 v16, v5, v9, vcc
	v_mov_b32_e32 v1, s13
	v_add_co_u32_e32 v14, vcc, s12, v12
	v_addc_co_u32_e64 v15, s[0:1], v1, v13, vcc
	v_ashrrev_i32_e32 v9, 31, v8
	v_subrev_u32_e32 v1, s9, v22
	s_and_b64 s[0:1], s[16:17], s[2:3]
	v_lshlrev_b64 v[10:11], 2, v[8:9]
	v_mul_lo_u32 v20, v19, s8
	v_cndmask_b32_e64 v1, 4, v1, s[0:1]
	s_waitcnt lgkmcnt(0)
	v_mov_b32_e32 v9, s5
	v_add_co_u32_e64 v8, s[0:1], s4, v10
	v_addc_co_u32_e64 v9, s[0:1], v9, v11, s[0:1]
	v_ashrrev_i32_e32 v21, 31, v20
	global_store_dword v[8:9], v1, off
	v_lshlrev_b64 v[8:9], 2, v[20:21]
	v_mov_b32_e32 v1, s7
	v_add_co_u32_e64 v20, s[0:1], s6, v8
	v_addc_co_u32_e64 v21, s[0:1], v1, v9, s[0:1]
	v_mov_b32_e32 v1, 0xff800000
	v_cmp_ne_u32_e64 s[0:1], 3, v22
	v_cndmask_b32_e64 v3, v1, v3, s[0:1]
	v_cmp_ne_u32_e64 s[0:1], 2, v22
	v_cndmask_b32_e64 v2, v1, v2, s[0:1]
	v_cmp_ne_u32_e64 s[0:1], 1, v22
	v_cndmask_b32_e64 v7, v1, v7, s[0:1]
	v_cmp_ne_u32_e64 s[0:1], 0, v22
	s_cmp_eq_u32 s8, 1
	v_cndmask_b32_e64 v6, v1, v6, s[0:1]
	global_store_dword v[14:15], v16, off
	global_store_dword v[20:21], v19, off
	s_cbranch_scc1 .LBB231_8
; %bb.6:
	v_mov_b32_e32 v12, s7
	v_add_co_u32_e64 v8, s[0:1], s6, v8
	v_addc_co_u32_e64 v9, s[0:1], v9, v12, s[0:1]
	v_add_co_u32_e64 v8, s[0:1], 4, v8
	v_addc_co_u32_e64 v9, s[0:1], 0, v9, s[0:1]
	v_mov_b32_e32 v12, s5
	v_add_co_u32_e64 v10, s[0:1], s4, v10
	v_addc_co_u32_e64 v11, s[0:1], v11, v12, s[0:1]
	v_mov_b32_e32 v12, s13
	v_addc_co_u32_e32 v13, vcc, v13, v12, vcc
	v_add_co_u32_e64 v10, s[0:1], 4, v10
	v_add_co_u32_e32 v12, vcc, 4, v14
	s_add_i32 s21, s21, s20
	v_addc_co_u32_e64 v11, s[0:1], 0, v11, s[0:1]
	v_addc_co_u32_e32 v13, vcc, 0, v13, vcc
	s_add_i32 s4, s8, -1
	v_add3_u32 v14, s21, v18, v17
	v_mov_b32_e32 v15, 0x7f800000
.LBB231_7:                              ; =>This Inner Loop Header: Depth=1
	v_cmp_gt_f32_e32 vcc, v7, v6
	v_cndmask_b32_e32 v17, v6, v7, vcc
	v_cmp_gt_f32_e64 s[0:1], v2, v17
	v_cndmask_b32_e64 v17, v17, v2, s[0:1]
	v_cndmask_b32_e64 v18, 0, 1, vcc
	v_cmp_gt_f32_e32 vcc, v3, v17
	v_cndmask_b32_e64 v18, v18, 2, s[0:1]
	v_cndmask_b32_e64 v18, v18, 3, vcc
	v_cndmask_b32_e32 v17, v17, v3, vcc
	v_cmp_ne_u32_e64 s[2:3], 3, v18
	v_sub_f32_e32 v17, v17, v4
	v_cndmask_b32_e64 v3, v1, v3, s[2:3]
	v_cmp_ne_u32_e64 s[2:3], 2, v18
	v_cmp_le_i32_e32 vcc, s9, v18
	v_cmp_gt_i32_e64 s[0:1], s10, v18
	v_mul_f32_e32 v19, 0x3fb8aa3b, v17
	v_cndmask_b32_e64 v2, v1, v2, s[2:3]
	v_cmp_ne_u32_e64 s[2:3], 1, v18
	v_subrev_u32_e32 v20, s9, v18
	v_cndmask_b32_e64 v7, v1, v7, s[2:3]
	v_cmp_ne_u32_e64 s[2:3], 0, v18
	s_and_b64 s[0:1], vcc, s[0:1]
	v_fma_f32 v18, v17, s11, -v19
	v_rndne_f32_e32 v21, v19
	v_fmac_f32_e32 v18, 0x32a5705f, v17
	v_sub_f32_e32 v19, v19, v21
	s_and_b64 vcc, s[16:17], s[0:1]
	v_cndmask_b32_e32 v20, 4, v20, vcc
	v_add_f32_e32 v18, v19, v18
	v_cvt_i32_f32_e32 v21, v21
	global_store_dword v[10:11], v20, off
	global_store_dword v[8:9], v14, off
	v_add_co_u32_e32 v8, vcc, 4, v8
	v_exp_f32_e32 v18, v18
	v_addc_co_u32_e32 v9, vcc, 0, v9, vcc
	v_add_co_u32_e32 v10, vcc, 4, v10
	v_addc_co_u32_e32 v11, vcc, 0, v11, vcc
	v_ldexp_f32 v18, v18, v21
	v_cmp_ngt_f32_e32 vcc, s18, v17
	v_cndmask_b32_e32 v18, 0, v18, vcc
	v_cmp_nlt_f32_e32 vcc, s19, v17
	v_cndmask_b32_e32 v17, v15, v18, vcc
	s_add_i32 s4, s4, -1
	global_store_dword v[12:13], v17, off
	v_add_co_u32_e32 v12, vcc, 4, v12
	v_cndmask_b32_e64 v6, v1, v6, s[2:3]
	v_add_u32_e32 v14, s20, v14
	s_cmp_eq_u32 s4, 0
	v_add_f32_e32 v16, v16, v17
	v_addc_co_u32_e32 v13, vcc, 0, v13, vcc
	s_cbranch_scc0 .LBB231_7
.LBB231_8:
	v_pk_add_f32 v[6:7], v[6:7], v[4:5] op_sel_hi:[1,0] neg_lo:[0,1] neg_hi:[0,1]
	s_mov_b32 s0, 0x3fb8aa3b
	v_mul_f32_e32 v1, 0x3fb8aa3b, v7
	v_fma_f32 v8, v7, s0, -v1
	v_rndne_f32_e32 v9, v1
	v_fmac_f32_e32 v8, 0x32a5705f, v7
	v_sub_f32_e32 v1, v1, v9
	v_add_f32_e32 v1, v1, v8
	v_exp_f32_e32 v1, v1
	v_cvt_i32_f32_e32 v8, v9
	s_mov_b32 s1, 0xc2ce8ed0
	v_cmp_ngt_f32_e32 vcc, s1, v7
	s_mov_b32 s2, 0x42b17218
	v_ldexp_f32 v1, v1, v8
	v_mul_f32_e32 v8, 0x3fb8aa3b, v6
	v_fma_f32 v9, v6, s0, -v8
	v_rndne_f32_e32 v10, v8
	v_fmac_f32_e32 v9, 0x32a5705f, v6
	v_sub_f32_e32 v8, v8, v10
	v_add_f32_e32 v8, v8, v9
	v_exp_f32_e32 v8, v8
	v_cvt_i32_f32_e32 v9, v10
	v_sub_f32_e32 v2, v2, v4
	v_cndmask_b32_e32 v1, 0, v1, vcc
	v_cmp_nlt_f32_e32 vcc, s2, v7
	v_ldexp_f32 v7, v8, v9
	v_mul_f32_e32 v8, 0x3fb8aa3b, v2
	v_fma_f32 v9, v2, s0, -v8
	v_rndne_f32_e32 v10, v8
	v_fmac_f32_e32 v9, 0x32a5705f, v2
	v_sub_f32_e32 v8, v8, v10
	v_add_f32_e32 v8, v8, v9
	v_exp_f32_e32 v8, v8
	v_cvt_i32_f32_e32 v9, v10
	v_cndmask_b32_e32 v1, v5, v1, vcc
	v_cmp_ngt_f32_e32 vcc, s1, v6
	v_cndmask_b32_e32 v7, 0, v7, vcc
	v_cmp_nlt_f32_e32 vcc, s2, v6
	v_sub_f32_e32 v3, v3, v4
	v_cndmask_b32_e32 v6, v5, v7, vcc
	v_mul_f32_e32 v4, 0x3fb8aa3b, v3
	v_add_f32_e32 v1, v6, v1
	v_ldexp_f32 v6, v8, v9
	v_fma_f32 v7, v3, s0, -v4
	v_rndne_f32_e32 v8, v4
	v_fmac_f32_e32 v7, 0x32a5705f, v3
	v_sub_f32_e32 v4, v4, v8
	v_add_f32_e32 v4, v4, v7
	v_exp_f32_e32 v4, v4
	v_cvt_i32_f32_e32 v7, v8
	v_cmp_ngt_f32_e32 vcc, s1, v2
	v_cndmask_b32_e32 v6, 0, v6, vcc
	v_cmp_nlt_f32_e32 vcc, s2, v2
	v_cndmask_b32_e32 v2, v5, v6, vcc
	v_add_f32_e32 v1, v1, v2
	v_ldexp_f32 v2, v4, v7
	v_cmp_ngt_f32_e32 vcc, s1, v3
	v_cndmask_b32_e32 v2, 0, v2, vcc
	v_cmp_nlt_f32_e32 vcc, s2, v3
	v_cndmask_b32_e32 v2, v5, v2, vcc
	v_add_f32_e32 v1, v1, v2
	v_add_f32_e32 v1, v16, v1
	v_cmp_neq_f32_e32 vcc, 0, v1
	s_and_b64 exec, exec, vcc
	s_cbranch_execz .LBB231_19
; %bb.9:
	s_andn2_b64 vcc, exec, s[14:15]
	s_cbranch_vccnz .LBB231_19
; %bb.10:
	v_div_scale_f32 v2, s[0:1], v1, v1, 1.0
	v_rcp_f32_e32 v3, v2
	v_div_scale_f32 v4, vcc, 1.0, v1, 1.0
	s_cmp_gt_u32 s8, 3
	v_fma_f32 v5, -v2, v3, 1.0
	v_fmac_f32_e32 v3, v5, v3
	v_mul_f32_e32 v5, v4, v3
	v_fma_f32 v6, -v2, v5, v4
	v_fmac_f32_e32 v5, v6, v3
	v_fma_f32 v2, -v2, v5, v4
	v_div_fmas_f32 v2, v2, v3, v5
	v_div_fixup_f32 v2, v2, v1, 1.0
	v_ashrrev_i32_e32 v1, 31, v0
	s_cbranch_scc0 .LBB231_14
; %bb.11:
	v_lshlrev_b64 v[4:5], 2, v[0:1]
	v_mov_b32_e32 v6, s13
	v_add_co_u32_e32 v4, vcc, s12, v4
	v_addc_co_u32_e32 v5, vcc, v5, v6, vcc
	s_and_b32 s4, s8, 0x7ffffffc
	v_add_co_u32_e32 v4, vcc, 8, v4
	v_mov_b32_e32 v3, v2
	v_addc_co_u32_e32 v5, vcc, 0, v5, vcc
	s_mov_b32 s0, s4
.LBB231_12:                             ; =>This Inner Loop Header: Depth=1
	global_load_dwordx4 v[6:9], v[4:5], off offset:-8
	s_add_i32 s0, s0, -4
	s_cmp_lg_u32 s0, 0
	s_waitcnt vmcnt(0)
	v_pk_mul_f32 v[6:7], v[2:3], v[6:7]
	v_pk_mul_f32 v[8:9], v[2:3], v[8:9]
	global_store_dwordx4 v[4:5], v[6:9], off offset:-8
	v_add_co_u32_e32 v4, vcc, 16, v4
	v_addc_co_u32_e32 v5, vcc, 0, v5, vcc
	s_cbranch_scc1 .LBB231_12
; %bb.13:
	s_cmp_lg_u32 s4, s8
	s_cselect_b64 s[0:1], -1, 0
	s_branch .LBB231_16
.LBB231_14:
	s_mov_b64 s[0:1], 0
                                        ; implicit-def: $sgpr4
	s_cbranch_execz .LBB231_16
; %bb.15:
	s_mov_b64 s[0:1], -1
	s_mov_b32 s4, 0
.LBB231_16:
	s_andn2_b64 vcc, exec, s[0:1]
	s_cbranch_vccnz .LBB231_19
; %bb.17:
	v_add_co_u32_e32 v0, vcc, s4, v0
	v_addc_co_u32_e32 v1, vcc, 0, v1, vcc
	v_lshlrev_b64 v[0:1], 2, v[0:1]
	v_mov_b32_e32 v3, s13
	v_add_co_u32_e32 v0, vcc, s12, v0
	s_sub_i32 s0, s8, s4
	v_addc_co_u32_e32 v1, vcc, v3, v1, vcc
.LBB231_18:                             ; =>This Inner Loop Header: Depth=1
	global_load_dword v3, v[0:1], off
	s_add_i32 s0, s0, -1
	s_cmp_lg_u32 s0, 0
	s_waitcnt vmcnt(0)
	v_mul_f32_e32 v3, v2, v3
	global_store_dword v[0:1], v3, off
	v_add_co_u32_e32 v0, vcc, 4, v0
	v_addc_co_u32_e32 v1, vcc, 0, v1, vcc
	s_cbranch_scc1 .LBB231_18
.LBB231_19:
	s_endpgm
	.section	.rodata,"a",@progbits
	.p2align	6, 0x0
	.amdhsa_kernel _ZN4vllm3moe17topkGatingSoftmaxItLi4ELi4ELi8ELi8ELb0ELi1ELNS0_23SharedExpertScoringFuncE1EEEvPKT_PKbPfiPiS9_iiiiii
		.amdhsa_group_segment_fixed_size 0
		.amdhsa_private_segment_fixed_size 0
		.amdhsa_kernarg_size 72
		.amdhsa_user_sgpr_count 6
		.amdhsa_user_sgpr_private_segment_buffer 1
		.amdhsa_user_sgpr_dispatch_ptr 0
		.amdhsa_user_sgpr_queue_ptr 0
		.amdhsa_user_sgpr_kernarg_segment_ptr 1
		.amdhsa_user_sgpr_dispatch_id 0
		.amdhsa_user_sgpr_flat_scratch_init 0
		.amdhsa_user_sgpr_kernarg_preload_length 0
		.amdhsa_user_sgpr_kernarg_preload_offset 0
		.amdhsa_user_sgpr_private_segment_size 0
		.amdhsa_uses_dynamic_stack 0
		.amdhsa_system_sgpr_private_segment_wavefront_offset 0
		.amdhsa_system_sgpr_workgroup_id_x 1
		.amdhsa_system_sgpr_workgroup_id_y 0
		.amdhsa_system_sgpr_workgroup_id_z 0
		.amdhsa_system_sgpr_workgroup_info 0
		.amdhsa_system_vgpr_workitem_id 1
		.amdhsa_next_free_vgpr 23
		.amdhsa_next_free_sgpr 22
		.amdhsa_accum_offset 24
		.amdhsa_reserve_vcc 1
		.amdhsa_reserve_flat_scratch 0
		.amdhsa_float_round_mode_32 0
		.amdhsa_float_round_mode_16_64 0
		.amdhsa_float_denorm_mode_32 3
		.amdhsa_float_denorm_mode_16_64 3
		.amdhsa_dx10_clamp 1
		.amdhsa_ieee_mode 1
		.amdhsa_fp16_overflow 0
		.amdhsa_tg_split 0
		.amdhsa_exception_fp_ieee_invalid_op 0
		.amdhsa_exception_fp_denorm_src 0
		.amdhsa_exception_fp_ieee_div_zero 0
		.amdhsa_exception_fp_ieee_overflow 0
		.amdhsa_exception_fp_ieee_underflow 0
		.amdhsa_exception_fp_ieee_inexact 0
		.amdhsa_exception_int_div_zero 0
	.end_amdhsa_kernel
	.section	.text._ZN4vllm3moe17topkGatingSoftmaxItLi4ELi4ELi8ELi8ELb0ELi1ELNS0_23SharedExpertScoringFuncE1EEEvPKT_PKbPfiPiS9_iiiiii,"axG",@progbits,_ZN4vllm3moe17topkGatingSoftmaxItLi4ELi4ELi8ELi8ELb0ELi1ELNS0_23SharedExpertScoringFuncE1EEEvPKT_PKbPfiPiS9_iiiiii,comdat
.Lfunc_end231:
	.size	_ZN4vllm3moe17topkGatingSoftmaxItLi4ELi4ELi8ELi8ELb0ELi1ELNS0_23SharedExpertScoringFuncE1EEEvPKT_PKbPfiPiS9_iiiiii, .Lfunc_end231-_ZN4vllm3moe17topkGatingSoftmaxItLi4ELi4ELi8ELi8ELb0ELi1ELNS0_23SharedExpertScoringFuncE1EEEvPKT_PKbPfiPiS9_iiiiii
                                        ; -- End function
	.section	.AMDGPU.csdata,"",@progbits
; Kernel info:
; codeLenInByte = 1952
; NumSgprs: 26
; NumVgprs: 23
; NumAgprs: 0
; TotalNumVgprs: 23
; ScratchSize: 0
; MemoryBound: 0
; FloatMode: 240
; IeeeMode: 1
; LDSByteSize: 0 bytes/workgroup (compile time only)
; SGPRBlocks: 3
; VGPRBlocks: 2
; NumSGPRsForWavesPerEU: 26
; NumVGPRsForWavesPerEU: 23
; AccumOffset: 24
; Occupancy: 8
; WaveLimiterHint : 0
; COMPUTE_PGM_RSRC2:SCRATCH_EN: 0
; COMPUTE_PGM_RSRC2:USER_SGPR: 6
; COMPUTE_PGM_RSRC2:TRAP_HANDLER: 0
; COMPUTE_PGM_RSRC2:TGID_X_EN: 1
; COMPUTE_PGM_RSRC2:TGID_Y_EN: 0
; COMPUTE_PGM_RSRC2:TGID_Z_EN: 0
; COMPUTE_PGM_RSRC2:TIDIG_COMP_CNT: 1
; COMPUTE_PGM_RSRC3_GFX90A:ACCUM_OFFSET: 5
; COMPUTE_PGM_RSRC3_GFX90A:TG_SPLIT: 0
	.section	.text._ZN4vllm3moe17topkGatingSoftmaxItLi4ELi4ELi8ELi8ELb1ELi2ELNS0_23SharedExpertScoringFuncE1EEEvPKT_PKbPfiPiS9_iiiiii,"axG",@progbits,_ZN4vllm3moe17topkGatingSoftmaxItLi4ELi4ELi8ELi8ELb1ELi2ELNS0_23SharedExpertScoringFuncE1EEEvPKT_PKbPfiPiS9_iiiiii,comdat
	.protected	_ZN4vllm3moe17topkGatingSoftmaxItLi4ELi4ELi8ELi8ELb1ELi2ELNS0_23SharedExpertScoringFuncE1EEEvPKT_PKbPfiPiS9_iiiiii ; -- Begin function _ZN4vllm3moe17topkGatingSoftmaxItLi4ELi4ELi8ELi8ELb1ELi2ELNS0_23SharedExpertScoringFuncE1EEEvPKT_PKbPfiPiS9_iiiiii
	.globl	_ZN4vllm3moe17topkGatingSoftmaxItLi4ELi4ELi8ELi8ELb1ELi2ELNS0_23SharedExpertScoringFuncE1EEEvPKT_PKbPfiPiS9_iiiiii
	.p2align	8
	.type	_ZN4vllm3moe17topkGatingSoftmaxItLi4ELi4ELi8ELi8ELb1ELi2ELNS0_23SharedExpertScoringFuncE1EEEvPKT_PKbPfiPiS9_iiiiii,@function
_ZN4vllm3moe17topkGatingSoftmaxItLi4ELi4ELi8ELi8ELb1ELi2ELNS0_23SharedExpertScoringFuncE1EEEvPKT_PKbPfiPiS9_iiiiii: ; @_ZN4vllm3moe17topkGatingSoftmaxItLi4ELi4ELi8ELi8ELb1ELi2ELNS0_23SharedExpertScoringFuncE1EEEvPKT_PKbPfiPiS9_iiiiii
; %bb.0:
	s_load_dword s18, s[4:5], 0x18
	v_bfe_u32 v1, v0, 10, 10
	s_lshl_b32 s19, s6, 9
	v_lshlrev_b32_e32 v15, 6, v1
	v_and_b32_e32 v16, 0x3ff, v0
	v_add3_u32 v3, v15, v16, s19
	s_waitcnt lgkmcnt(0)
	v_cmp_gt_i32_e32 vcc, s18, v3
	s_and_saveexec_b64 s[0:1], vcc
	s_cbranch_execz .LBB232_19
; %bb.1:
	s_load_dwordx4 s[0:3], s[4:5], 0x0
	s_load_dwordx2 s[12:13], s[4:5], 0x10
	s_waitcnt lgkmcnt(0)
	s_cmp_eq_u64 s[2:3], 0
	s_cbranch_scc1 .LBB232_3
; %bb.2:
	v_ashrrev_i32_e32 v1, 31, v3
	v_mov_b32_e32 v2, s3
	v_add_co_u32_e32 v0, vcc, s2, v3
	v_addc_co_u32_e32 v1, vcc, v2, v1, vcc
	global_load_ubyte v0, v[0:1], off
	s_waitcnt vmcnt(0)
	v_and_b32_e32 v0, 1, v0
	v_cmp_eq_u32_e32 vcc, 1, v0
	s_xor_b64 s[2:3], vcc, -1
	s_orn2_b64 s[14:15], s[2:3], exec
	s_branch .LBB232_4
.LBB232_3:
	s_mov_b64 s[14:15], -1
.LBB232_4:
	s_load_dwordx2 s[2:3], s[4:5], 0x40
	s_load_dwordx4 s[8:11], s[4:5], 0x30
	v_mov_b32_e32 v2, s1
	v_mov_b32_e32 v8, s13
	s_mov_b32 s1, 0x42ce8ed0
	s_waitcnt lgkmcnt(0)
	v_mul_lo_u32 v0, v3, s3
	v_ashrrev_i32_e32 v1, 31, v0
	v_lshlrev_b64 v[0:1], 1, v[0:1]
	v_add_co_u32_e32 v0, vcc, s0, v0
	v_addc_co_u32_e32 v1, vcc, v2, v1, vcc
	global_load_dwordx3 v[0:2], v[0:1], off
	s_mov_b32 s0, 0xbfb8aa3b
	v_mul_lo_u32 v4, v3, s11
	v_add_u32_e32 v6, s8, v4
	v_ashrrev_i32_e32 v7, 31, v6
	v_lshlrev_b64 v[6:7], 2, v[6:7]
	v_add_co_u32_e32 v6, vcc, s12, v6
	v_addc_co_u32_e32 v7, vcc, v8, v7, vcc
	s_mov_b32 s3, 0xc2b17218
	v_mov_b32_e32 v5, 0x7f800000
	s_cmp_gt_i32 s8, 0
	v_mov_b32_e32 v14, 0
	s_cselect_b64 s[16:17], -1, 0
	s_cmp_lt_i32 s8, 1
	s_waitcnt vmcnt(0)
	v_cvt_f32_u32_sdwa v9, v2 dst_sel:DWORD dst_unused:UNUSED_PAD src0_sel:WORD_1
	v_cvt_f32_u32_sdwa v2, v2 dst_sel:DWORD dst_unused:UNUSED_PAD src0_sel:WORD_0
	v_mul_f32_e32 v10, 0xbfb8aa3b, v9
	v_mul_f32_e32 v11, 0xbfb8aa3b, v2
	v_fma_f32 v12, v9, s0, -v10
	v_rndne_f32_e32 v13, v10
	v_fma_f32 v17, v2, s0, -v11
	v_rndne_f32_e32 v18, v11
	v_fmac_f32_e32 v12, 0xb2a5705f, v9
	v_sub_f32_e32 v10, v10, v13
	v_fmac_f32_e32 v17, 0xb2a5705f, v2
	v_sub_f32_e32 v11, v11, v18
	v_add_f32_e32 v10, v10, v12
	v_cvt_i32_f32_e32 v13, v13
	v_add_f32_e32 v11, v11, v17
	v_exp_f32_e32 v10, v10
	v_cvt_i32_f32_e32 v18, v18
	v_exp_f32_e32 v11, v11
	v_cmp_nlt_f32_e32 vcc, s1, v9
	v_ldexp_f32 v8, v10, v13
	v_cndmask_b32_e32 v8, 0, v8, vcc
	v_ldexp_f32 v10, v11, v18
	v_cmp_nlt_f32_e32 vcc, s1, v2
	v_cndmask_b32_e32 v10, 0, v10, vcc
	v_cmp_ngt_f32_e32 vcc, s3, v9
	v_cndmask_b32_e32 v9, v5, v8, vcc
	v_cmp_ngt_f32_e32 vcc, s3, v2
	v_cndmask_b32_e32 v8, v5, v10, vcc
	v_pk_add_f32 v[8:9], v[8:9], 1.0 op_sel_hi:[1,0]
	v_div_scale_f32 v2, s[0:1], v9, v9, 1.0
	v_div_scale_f32 v11, s[0:1], v8, v8, 1.0
	v_rcp_f32_e32 v12, v2
	v_rcp_f32_e32 v13, v11
	v_div_scale_f32 v10, vcc, 1.0, v9, 1.0
	v_fma_f32 v18, -v2, v12, 1.0
	v_fma_f32 v19, -v11, v13, 1.0
	v_fmac_f32_e32 v12, v18, v12
	v_div_scale_f32 v17, s[0:1], 1.0, v8, 1.0
	v_fmac_f32_e32 v13, v19, v13
	v_mul_f32_e32 v18, v10, v12
	v_mul_f32_e32 v19, v17, v13
	v_fma_f32 v20, -v2, v18, v10
	v_fma_f32 v21, -v11, v19, v17
	v_fmac_f32_e32 v18, v20, v12
	v_fmac_f32_e32 v19, v21, v13
	v_fma_f32 v2, -v2, v18, v10
	v_fma_f32 v10, -v11, v19, v17
	v_div_fmas_f32 v2, v2, v12, v18
	s_mov_b64 vcc, s[0:1]
	v_div_fixup_f32 v9, v2, v9, 1.0
	v_div_fmas_f32 v2, v10, v13, v19
	v_div_fixup_f32 v8, v2, v8, 1.0
	global_store_dwordx2 v[6:7], v[8:9], off
	s_cbranch_scc1 .LBB232_8
; %bb.5:
	v_cvt_f32_u32_sdwa v18, v0 dst_sel:DWORD dst_unused:UNUSED_PAD src0_sel:WORD_1
	v_cvt_f32_u32_sdwa v0, v0 dst_sel:DWORD dst_unused:UNUSED_PAD src0_sel:WORD_0
	v_cvt_f32_u32_sdwa v2, v1 dst_sel:DWORD dst_unused:UNUSED_PAD src0_sel:WORD_1
	v_cvt_f32_u32_sdwa v1, v1 dst_sel:DWORD dst_unused:UNUSED_PAD src0_sel:WORD_0
	s_mov_b32 s11, 0x3fb8aa3b
	v_cmp_lt_f32_e32 vcc, v0, v18
	v_cndmask_b32_e32 v7, v0, v18, vcc
	v_cndmask_b32_e64 v6, 0, 1, vcc
	v_cmp_lt_f32_e32 vcc, v7, v1
	v_cndmask_b32_e32 v7, v7, v1, vcc
	v_cndmask_b32_e64 v6, v6, 2, vcc
	v_cmp_lt_f32_e32 vcc, v7, v2
	v_cndmask_b32_e32 v17, v7, v2, vcc
	v_sub_f32_e32 v7, v17, v17
	v_mul_f32_e32 v8, 0x3fb8aa3b, v7
	v_fma_f32 v9, v7, s11, -v8
	v_rndne_f32_e32 v10, v8
	v_fmac_f32_e32 v9, 0x32a5705f, v7
	v_sub_f32_e32 v8, v8, v10
	v_add_f32_e32 v8, v8, v9
	v_exp_f32_e32 v8, v8
	v_cvt_i32_f32_e32 v9, v10
	v_cndmask_b32_e64 v19, v6, 3, vcc
	v_cmp_le_i32_e32 vcc, s9, v19
	v_cmp_gt_i32_e64 s[0:1], s10, v19
	s_mov_b32 s20, 0xc2ce8ed0
	v_mul_lo_u32 v6, v3, s2
	s_and_b64 s[2:3], vcc, s[0:1]
	v_ldexp_f32 v8, v8, v9
	v_cmp_ngt_f32_e32 vcc, s20, v7
	s_mov_b32 s21, 0x42b17218
	v_cndmask_b32_e32 v8, 0, v8, vcc
	v_cmp_nlt_f32_e32 vcc, s21, v7
	s_load_dwordx4 s[4:7], s[4:5], 0x20
	v_cndmask_b32_e32 v14, v5, v8, vcc
	v_ashrrev_i32_e32 v5, 31, v4
	v_lshlrev_b64 v[10:11], 2, v[4:5]
	v_mov_b32_e32 v5, s13
	v_add_co_u32_e32 v12, vcc, s12, v10
	v_addc_co_u32_e64 v13, s[0:1], v5, v11, vcc
	v_ashrrev_i32_e32 v7, 31, v6
	v_subrev_u32_e32 v5, s9, v19
	s_and_b64 s[0:1], s[14:15], s[2:3]
	v_lshlrev_b64 v[8:9], 2, v[6:7]
	v_mul_lo_u32 v20, v3, s8
	v_cndmask_b32_e64 v5, 4, v5, s[0:1]
	s_waitcnt lgkmcnt(0)
	v_mov_b32_e32 v7, s5
	v_add_co_u32_e64 v6, s[0:1], s4, v8
	v_addc_co_u32_e64 v7, s[0:1], v7, v9, s[0:1]
	v_ashrrev_i32_e32 v21, 31, v20
	global_store_dword v[6:7], v5, off
	v_lshlrev_b64 v[6:7], 2, v[20:21]
	v_mov_b32_e32 v5, s7
	v_add_co_u32_e64 v20, s[0:1], s6, v6
	v_addc_co_u32_e64 v21, s[0:1], v5, v7, s[0:1]
	s_cmp_eq_u32 s8, 1
	global_store_dword v[12:13], v14, off
	global_store_dword v[20:21], v3, off
	s_cbranch_scc1 .LBB232_8
; %bb.6:
	v_mov_b32_e32 v5, 0xff800000
	v_cmp_ne_u32_e64 s[0:1], 3, v19
	v_cndmask_b32_e64 v3, v5, v2, s[0:1]
	v_cmp_ne_u32_e64 s[0:1], 2, v19
	v_cndmask_b32_e64 v2, v5, v1, s[0:1]
	;; [unrolled: 2-line block ×4, first 2 shown]
	v_mov_b32_e32 v10, s7
	v_add_co_u32_e64 v6, s[0:1], s6, v6
	v_addc_co_u32_e64 v7, s[0:1], v7, v10, s[0:1]
	v_add_co_u32_e64 v6, s[0:1], 4, v6
	v_addc_co_u32_e64 v7, s[0:1], 0, v7, s[0:1]
	v_mov_b32_e32 v10, s5
	v_add_co_u32_e64 v8, s[0:1], s4, v8
	v_addc_co_u32_e64 v9, s[0:1], v9, v10, s[0:1]
	v_mov_b32_e32 v10, s13
	v_addc_co_u32_e32 v11, vcc, v11, v10, vcc
	v_add_co_u32_e64 v8, s[0:1], 4, v8
	v_add_co_u32_e32 v10, vcc, 4, v12
	s_add_i32 s19, s19, s18
	v_addc_co_u32_e64 v9, s[0:1], 0, v9, s[0:1]
	v_addc_co_u32_e32 v11, vcc, 0, v11, vcc
	s_add_i32 s4, s8, -1
	v_add3_u32 v12, s19, v16, v15
	v_mov_b32_e32 v13, 0x7f800000
.LBB232_7:                              ; =>This Inner Loop Header: Depth=1
	v_cmp_gt_f32_e32 vcc, v1, v0
	v_cndmask_b32_e32 v15, v0, v1, vcc
	v_cmp_gt_f32_e64 s[0:1], v2, v15
	v_cndmask_b32_e64 v15, v15, v2, s[0:1]
	v_cndmask_b32_e64 v16, 0, 1, vcc
	v_cmp_gt_f32_e32 vcc, v3, v15
	v_cndmask_b32_e64 v16, v16, 2, s[0:1]
	v_cndmask_b32_e64 v16, v16, 3, vcc
	v_cndmask_b32_e32 v15, v15, v3, vcc
	v_cmp_ne_u32_e64 s[2:3], 3, v16
	v_sub_f32_e32 v15, v15, v17
	v_cndmask_b32_e64 v3, v5, v3, s[2:3]
	v_cmp_ne_u32_e64 s[2:3], 2, v16
	v_cmp_le_i32_e32 vcc, s9, v16
	v_cmp_gt_i32_e64 s[0:1], s10, v16
	v_mul_f32_e32 v18, 0x3fb8aa3b, v15
	v_cndmask_b32_e64 v2, v5, v2, s[2:3]
	v_cmp_ne_u32_e64 s[2:3], 1, v16
	v_subrev_u32_e32 v19, s9, v16
	v_cndmask_b32_e64 v1, v5, v1, s[2:3]
	v_cmp_ne_u32_e64 s[2:3], 0, v16
	s_and_b64 s[0:1], vcc, s[0:1]
	v_fma_f32 v16, v15, s11, -v18
	v_rndne_f32_e32 v20, v18
	v_fmac_f32_e32 v16, 0x32a5705f, v15
	v_sub_f32_e32 v18, v18, v20
	s_and_b64 vcc, s[14:15], s[0:1]
	v_cndmask_b32_e32 v19, 4, v19, vcc
	v_add_f32_e32 v16, v18, v16
	v_cvt_i32_f32_e32 v20, v20
	global_store_dword v[8:9], v19, off
	global_store_dword v[6:7], v12, off
	v_add_co_u32_e32 v6, vcc, 4, v6
	v_exp_f32_e32 v16, v16
	v_addc_co_u32_e32 v7, vcc, 0, v7, vcc
	v_add_co_u32_e32 v8, vcc, 4, v8
	v_addc_co_u32_e32 v9, vcc, 0, v9, vcc
	v_ldexp_f32 v16, v16, v20
	v_cmp_ngt_f32_e32 vcc, s20, v15
	v_cndmask_b32_e32 v16, 0, v16, vcc
	v_cmp_nlt_f32_e32 vcc, s21, v15
	v_cndmask_b32_e32 v15, v13, v16, vcc
	s_add_i32 s4, s4, -1
	global_store_dword v[10:11], v15, off
	v_add_co_u32_e32 v10, vcc, 4, v10
	v_cndmask_b32_e64 v0, v5, v0, s[2:3]
	v_add_u32_e32 v12, s18, v12
	s_cmp_eq_u32 s4, 0
	v_add_f32_e32 v14, v14, v15
	v_addc_co_u32_e32 v11, vcc, 0, v11, vcc
	s_cbranch_scc0 .LBB232_7
.LBB232_8:
	v_cmp_neq_f32_e32 vcc, 0, v14
	s_and_b64 exec, exec, vcc
	s_cbranch_execz .LBB232_19
; %bb.9:
	s_andn2_b64 vcc, exec, s[16:17]
	s_cbranch_vccnz .LBB232_19
; %bb.10:
	v_div_scale_f32 v0, s[0:1], v14, v14, 1.0
	v_rcp_f32_e32 v1, v0
	v_div_scale_f32 v2, vcc, 1.0, v14, 1.0
	s_cmp_gt_u32 s8, 3
	v_fma_f32 v3, -v0, v1, 1.0
	v_fmac_f32_e32 v1, v3, v1
	v_mul_f32_e32 v3, v2, v1
	v_fma_f32 v5, -v0, v3, v2
	v_fmac_f32_e32 v3, v5, v1
	v_fma_f32 v0, -v0, v3, v2
	v_div_fmas_f32 v0, v0, v1, v3
	v_div_fixup_f32 v0, v0, v14, 1.0
	v_ashrrev_i32_e32 v5, 31, v4
	s_cbranch_scc0 .LBB232_14
; %bb.11:
	v_lshlrev_b64 v[2:3], 2, v[4:5]
	v_mov_b32_e32 v6, s13
	v_add_co_u32_e32 v2, vcc, s12, v2
	v_addc_co_u32_e32 v3, vcc, v3, v6, vcc
	s_and_b32 s4, s8, 0x7ffffffc
	v_add_co_u32_e32 v2, vcc, 8, v2
	v_mov_b32_e32 v1, v0
	v_addc_co_u32_e32 v3, vcc, 0, v3, vcc
	s_mov_b32 s0, s4
.LBB232_12:                             ; =>This Inner Loop Header: Depth=1
	global_load_dwordx4 v[6:9], v[2:3], off offset:-8
	s_add_i32 s0, s0, -4
	s_cmp_lg_u32 s0, 0
	s_waitcnt vmcnt(0)
	v_pk_mul_f32 v[6:7], v[0:1], v[6:7]
	v_pk_mul_f32 v[8:9], v[0:1], v[8:9]
	global_store_dwordx4 v[2:3], v[6:9], off offset:-8
	v_add_co_u32_e32 v2, vcc, 16, v2
	v_addc_co_u32_e32 v3, vcc, 0, v3, vcc
	s_cbranch_scc1 .LBB232_12
; %bb.13:
	s_cmp_lg_u32 s4, s8
	s_cselect_b64 s[0:1], -1, 0
	s_branch .LBB232_16
.LBB232_14:
	s_mov_b64 s[0:1], 0
                                        ; implicit-def: $sgpr4
	s_cbranch_execz .LBB232_16
; %bb.15:
	s_mov_b64 s[0:1], -1
	s_mov_b32 s4, 0
.LBB232_16:
	s_andn2_b64 vcc, exec, s[0:1]
	s_cbranch_vccnz .LBB232_19
; %bb.17:
	v_add_co_u32_e32 v2, vcc, s4, v4
	v_addc_co_u32_e32 v3, vcc, 0, v5, vcc
	v_lshlrev_b64 v[2:3], 2, v[2:3]
	v_mov_b32_e32 v1, s13
	v_add_co_u32_e32 v2, vcc, s12, v2
	s_sub_i32 s0, s8, s4
	v_addc_co_u32_e32 v3, vcc, v1, v3, vcc
.LBB232_18:                             ; =>This Inner Loop Header: Depth=1
	global_load_dword v1, v[2:3], off
	s_add_i32 s0, s0, -1
	s_cmp_lg_u32 s0, 0
	s_waitcnt vmcnt(0)
	v_mul_f32_e32 v1, v0, v1
	global_store_dword v[2:3], v1, off
	v_add_co_u32_e32 v2, vcc, 4, v2
	v_addc_co_u32_e32 v3, vcc, 0, v3, vcc
	s_cbranch_scc1 .LBB232_18
.LBB232_19:
	s_endpgm
	.section	.rodata,"a",@progbits
	.p2align	6, 0x0
	.amdhsa_kernel _ZN4vllm3moe17topkGatingSoftmaxItLi4ELi4ELi8ELi8ELb1ELi2ELNS0_23SharedExpertScoringFuncE1EEEvPKT_PKbPfiPiS9_iiiiii
		.amdhsa_group_segment_fixed_size 0
		.amdhsa_private_segment_fixed_size 0
		.amdhsa_kernarg_size 72
		.amdhsa_user_sgpr_count 6
		.amdhsa_user_sgpr_private_segment_buffer 1
		.amdhsa_user_sgpr_dispatch_ptr 0
		.amdhsa_user_sgpr_queue_ptr 0
		.amdhsa_user_sgpr_kernarg_segment_ptr 1
		.amdhsa_user_sgpr_dispatch_id 0
		.amdhsa_user_sgpr_flat_scratch_init 0
		.amdhsa_user_sgpr_kernarg_preload_length 0
		.amdhsa_user_sgpr_kernarg_preload_offset 0
		.amdhsa_user_sgpr_private_segment_size 0
		.amdhsa_uses_dynamic_stack 0
		.amdhsa_system_sgpr_private_segment_wavefront_offset 0
		.amdhsa_system_sgpr_workgroup_id_x 1
		.amdhsa_system_sgpr_workgroup_id_y 0
		.amdhsa_system_sgpr_workgroup_id_z 0
		.amdhsa_system_sgpr_workgroup_info 0
		.amdhsa_system_vgpr_workitem_id 1
		.amdhsa_next_free_vgpr 22
		.amdhsa_next_free_sgpr 22
		.amdhsa_accum_offset 24
		.amdhsa_reserve_vcc 1
		.amdhsa_reserve_flat_scratch 0
		.amdhsa_float_round_mode_32 0
		.amdhsa_float_round_mode_16_64 0
		.amdhsa_float_denorm_mode_32 3
		.amdhsa_float_denorm_mode_16_64 3
		.amdhsa_dx10_clamp 1
		.amdhsa_ieee_mode 1
		.amdhsa_fp16_overflow 0
		.amdhsa_tg_split 0
		.amdhsa_exception_fp_ieee_invalid_op 0
		.amdhsa_exception_fp_denorm_src 0
		.amdhsa_exception_fp_ieee_div_zero 0
		.amdhsa_exception_fp_ieee_overflow 0
		.amdhsa_exception_fp_ieee_underflow 0
		.amdhsa_exception_fp_ieee_inexact 0
		.amdhsa_exception_int_div_zero 0
	.end_amdhsa_kernel
	.section	.text._ZN4vllm3moe17topkGatingSoftmaxItLi4ELi4ELi8ELi8ELb1ELi2ELNS0_23SharedExpertScoringFuncE1EEEvPKT_PKbPfiPiS9_iiiiii,"axG",@progbits,_ZN4vllm3moe17topkGatingSoftmaxItLi4ELi4ELi8ELi8ELb1ELi2ELNS0_23SharedExpertScoringFuncE1EEEvPKT_PKbPfiPiS9_iiiiii,comdat
.Lfunc_end232:
	.size	_ZN4vllm3moe17topkGatingSoftmaxItLi4ELi4ELi8ELi8ELb1ELi2ELNS0_23SharedExpertScoringFuncE1EEEvPKT_PKbPfiPiS9_iiiiii, .Lfunc_end232-_ZN4vllm3moe17topkGatingSoftmaxItLi4ELi4ELi8ELi8ELb1ELi2ELNS0_23SharedExpertScoringFuncE1EEEvPKT_PKbPfiPiS9_iiiiii
                                        ; -- End function
	.section	.AMDGPU.csdata,"",@progbits
; Kernel info:
; codeLenInByte = 1756
; NumSgprs: 26
; NumVgprs: 22
; NumAgprs: 0
; TotalNumVgprs: 22
; ScratchSize: 0
; MemoryBound: 0
; FloatMode: 240
; IeeeMode: 1
; LDSByteSize: 0 bytes/workgroup (compile time only)
; SGPRBlocks: 3
; VGPRBlocks: 2
; NumSGPRsForWavesPerEU: 26
; NumVGPRsForWavesPerEU: 22
; AccumOffset: 24
; Occupancy: 8
; WaveLimiterHint : 0
; COMPUTE_PGM_RSRC2:SCRATCH_EN: 0
; COMPUTE_PGM_RSRC2:USER_SGPR: 6
; COMPUTE_PGM_RSRC2:TRAP_HANDLER: 0
; COMPUTE_PGM_RSRC2:TGID_X_EN: 1
; COMPUTE_PGM_RSRC2:TGID_Y_EN: 0
; COMPUTE_PGM_RSRC2:TGID_Z_EN: 0
; COMPUTE_PGM_RSRC2:TIDIG_COMP_CNT: 1
; COMPUTE_PGM_RSRC3_GFX90A:ACCUM_OFFSET: 5
; COMPUTE_PGM_RSRC3_GFX90A:TG_SPLIT: 0
	.section	.text._ZN4vllm3moe17topkGatingSoftmaxItLi4ELi4ELi8ELi8ELb0ELi2ELNS0_23SharedExpertScoringFuncE1EEEvPKT_PKbPfiPiS9_iiiiii,"axG",@progbits,_ZN4vllm3moe17topkGatingSoftmaxItLi4ELi4ELi8ELi8ELb0ELi2ELNS0_23SharedExpertScoringFuncE1EEEvPKT_PKbPfiPiS9_iiiiii,comdat
	.protected	_ZN4vllm3moe17topkGatingSoftmaxItLi4ELi4ELi8ELi8ELb0ELi2ELNS0_23SharedExpertScoringFuncE1EEEvPKT_PKbPfiPiS9_iiiiii ; -- Begin function _ZN4vllm3moe17topkGatingSoftmaxItLi4ELi4ELi8ELi8ELb0ELi2ELNS0_23SharedExpertScoringFuncE1EEEvPKT_PKbPfiPiS9_iiiiii
	.globl	_ZN4vllm3moe17topkGatingSoftmaxItLi4ELi4ELi8ELi8ELb0ELi2ELNS0_23SharedExpertScoringFuncE1EEEvPKT_PKbPfiPiS9_iiiiii
	.p2align	8
	.type	_ZN4vllm3moe17topkGatingSoftmaxItLi4ELi4ELi8ELi8ELb0ELi2ELNS0_23SharedExpertScoringFuncE1EEEvPKT_PKbPfiPiS9_iiiiii,@function
_ZN4vllm3moe17topkGatingSoftmaxItLi4ELi4ELi8ELi8ELb0ELi2ELNS0_23SharedExpertScoringFuncE1EEEvPKT_PKbPfiPiS9_iiiiii: ; @_ZN4vllm3moe17topkGatingSoftmaxItLi4ELi4ELi8ELi8ELb0ELi2ELNS0_23SharedExpertScoringFuncE1EEEvPKT_PKbPfiPiS9_iiiiii
; %bb.0:
	s_load_dword s20, s[4:5], 0x18
	v_bfe_u32 v1, v0, 10, 10
	s_lshl_b32 s21, s6, 9
	v_lshlrev_b32_e32 v17, 6, v1
	v_and_b32_e32 v18, 0x3ff, v0
	v_add3_u32 v19, v17, v18, s21
	s_waitcnt lgkmcnt(0)
	v_cmp_gt_i32_e32 vcc, s20, v19
	s_and_saveexec_b64 s[0:1], vcc
	s_cbranch_execz .LBB233_19
; %bb.1:
	s_load_dwordx4 s[0:3], s[4:5], 0x0
	s_load_dwordx2 s[12:13], s[4:5], 0x10
	s_waitcnt lgkmcnt(0)
	s_cmp_eq_u64 s[2:3], 0
	s_cbranch_scc1 .LBB233_3
; %bb.2:
	v_ashrrev_i32_e32 v1, 31, v19
	v_mov_b32_e32 v2, s3
	v_add_co_u32_e32 v0, vcc, s2, v19
	v_addc_co_u32_e32 v1, vcc, v2, v1, vcc
	global_load_ubyte v0, v[0:1], off
	s_waitcnt vmcnt(0)
	v_and_b32_e32 v0, 1, v0
	v_cmp_eq_u32_e32 vcc, 1, v0
	s_xor_b64 s[2:3], vcc, -1
	s_orn2_b64 s[16:17], s[2:3], exec
	s_branch .LBB233_4
.LBB233_3:
	s_mov_b64 s[16:17], -1
.LBB233_4:
	s_load_dwordx2 s[18:19], s[4:5], 0x40
	s_load_dwordx4 s[8:11], s[4:5], 0x30
	v_mov_b32_e32 v2, s1
	s_mov_b32 s2, 0xbfb8aa3b
	s_mov_b32 s6, 0x42ce8ed0
	s_waitcnt lgkmcnt(0)
	v_mul_lo_u32 v0, v19, s19
	v_ashrrev_i32_e32 v1, 31, v0
	v_lshlrev_b64 v[0:1], 1, v[0:1]
	v_add_co_u32_e32 v0, vcc, s0, v0
	v_addc_co_u32_e32 v1, vcc, v2, v1, vcc
	global_load_dwordx3 v[8:10], v[0:1], off
	v_mul_lo_u32 v0, v19, s11
	v_add_u32_e32 v2, s8, v0
	v_ashrrev_i32_e32 v3, 31, v2
	v_lshlrev_b64 v[2:3], 2, v[2:3]
	v_mov_b32_e32 v1, s13
	v_add_co_u32_e32 v12, vcc, s12, v2
	v_addc_co_u32_e32 v13, vcc, v1, v3, vcc
	s_mov_b32 s7, 0xc2b17218
	v_mov_b32_e32 v7, 0x7f800000
	s_cmp_gt_i32 s8, 0
	v_mov_b32_e32 v16, 0
	s_cselect_b64 s[14:15], -1, 0
	s_cmp_lt_i32 s8, 1
	s_waitcnt vmcnt(0)
	v_cvt_f32_u32_sdwa v1, v10 dst_sel:DWORD dst_unused:UNUSED_PAD src0_sel:WORD_1
	v_cvt_f32_u32_sdwa v6, v10 dst_sel:DWORD dst_unused:UNUSED_PAD src0_sel:WORD_0
	v_cvt_f32_u32_sdwa v5, v8 dst_sel:DWORD dst_unused:UNUSED_PAD src0_sel:WORD_1
	v_cvt_f32_u32_sdwa v4, v8 dst_sel:DWORD dst_unused:UNUSED_PAD src0_sel:WORD_0
	v_mul_f32_e32 v8, 0xbfb8aa3b, v1
	v_cvt_f32_u32_sdwa v3, v9 dst_sel:DWORD dst_unused:UNUSED_PAD src0_sel:WORD_1
	v_cvt_f32_u32_sdwa v2, v9 dst_sel:DWORD dst_unused:UNUSED_PAD src0_sel:WORD_0
	v_mul_f32_e32 v9, 0xbfb8aa3b, v6
	v_fma_f32 v11, v1, s2, -v8
	v_rndne_f32_e32 v14, v8
	v_fma_f32 v15, v6, s2, -v9
	v_rndne_f32_e32 v20, v9
	v_fmac_f32_e32 v11, 0xb2a5705f, v1
	v_sub_f32_e32 v8, v8, v14
	v_fmac_f32_e32 v15, 0xb2a5705f, v6
	v_sub_f32_e32 v9, v9, v20
	v_add_f32_e32 v8, v8, v11
	v_cvt_i32_f32_e32 v14, v14
	v_add_f32_e32 v9, v9, v15
	v_exp_f32_e32 v8, v8
	v_cvt_i32_f32_e32 v20, v20
	v_exp_f32_e32 v9, v9
	v_cmp_nlt_f32_e32 vcc, s6, v1
	v_ldexp_f32 v8, v8, v14
	v_cndmask_b32_e32 v8, 0, v8, vcc
	v_ldexp_f32 v9, v9, v20
	v_cmp_nlt_f32_e32 vcc, s6, v6
	v_cndmask_b32_e32 v11, 0, v9, vcc
	v_cmp_ngt_f32_e32 vcc, s7, v1
	v_cndmask_b32_e32 v9, v7, v8, vcc
	v_cmp_ngt_f32_e32 vcc, s7, v6
	v_cndmask_b32_e32 v8, v7, v11, vcc
	v_pk_add_f32 v[8:9], v[8:9], 1.0 op_sel_hi:[1,0]
	v_div_scale_f32 v1, s[6:7], v9, v9, 1.0
	v_div_scale_f32 v11, s[6:7], v8, v8, 1.0
	v_rcp_f32_e32 v14, v1
	v_rcp_f32_e32 v15, v11
	v_div_scale_f32 v6, vcc, 1.0, v9, 1.0
	v_fma_f32 v21, -v1, v14, 1.0
	v_fma_f32 v22, -v11, v15, 1.0
	v_fmac_f32_e32 v14, v21, v14
	v_div_scale_f32 v20, s[6:7], 1.0, v8, 1.0
	v_fmac_f32_e32 v15, v22, v15
	v_mul_f32_e32 v21, v6, v14
	v_cmp_lt_f32_e64 s[0:1], v4, v5
	v_mul_f32_e32 v22, v20, v15
	v_fma_f32 v23, -v1, v21, v6
	v_cndmask_b32_e64 v10, v4, v5, s[0:1]
	v_fma_f32 v24, -v11, v22, v20
	v_fmac_f32_e32 v21, v23, v14
	v_cmp_lt_f32_e64 s[2:3], v10, v2
	v_fmac_f32_e32 v22, v24, v15
	v_fma_f32 v1, -v1, v21, v6
	v_cndmask_b32_e64 v10, v10, v2, s[2:3]
	v_fma_f32 v6, -v11, v22, v20
	v_div_fmas_f32 v1, v1, v14, v21
	s_mov_b64 vcc, s[6:7]
	v_div_fixup_f32 v9, v1, v9, 1.0
	v_div_fmas_f32 v1, v6, v15, v22
	v_cmp_lt_f32_e32 vcc, v10, v3
	v_div_fixup_f32 v8, v1, v8, 1.0
	v_cndmask_b32_e32 v6, v10, v3, vcc
	global_store_dwordx2 v[12:13], v[8:9], off
	s_cbranch_scc1 .LBB233_8
; %bb.5:
	v_cndmask_b32_e64 v1, 0, 1, s[0:1]
	v_cndmask_b32_e64 v1, v1, 2, s[2:3]
	v_cndmask_b32_e64 v22, v1, 3, vcc
	v_sub_f32_e32 v1, v6, v6
	v_mul_f32_e32 v9, 0x3fb8aa3b, v1
	s_mov_b32 s11, 0x3fb8aa3b
	v_rndne_f32_e32 v10, v9
	v_sub_f32_e32 v11, v9, v10
	v_fma_f32 v9, v1, s11, -v9
	v_fmac_f32_e32 v9, 0x32a5705f, v1
	v_add_f32_e32 v9, v11, v9
	v_exp_f32_e32 v9, v9
	v_cvt_i32_f32_e32 v10, v10
	v_mul_lo_u32 v8, v19, s18
	v_cmp_le_i32_e32 vcc, s9, v22
	v_cmp_gt_i32_e64 s[0:1], s10, v22
	s_mov_b32 s18, 0xc2ce8ed0
	s_and_b64 s[2:3], vcc, s[0:1]
	v_ldexp_f32 v9, v9, v10
	v_cmp_ngt_f32_e32 vcc, s18, v1
	s_mov_b32 s19, 0x42b17218
	s_load_dwordx4 s[4:7], s[4:5], 0x20
	v_cndmask_b32_e32 v9, 0, v9, vcc
	v_cmp_nlt_f32_e32 vcc, s19, v1
	v_ashrrev_i32_e32 v1, 31, v0
	v_lshlrev_b64 v[12:13], 2, v[0:1]
	v_cndmask_b32_e32 v16, v7, v9, vcc
	v_mov_b32_e32 v1, s13
	v_add_co_u32_e32 v14, vcc, s12, v12
	v_addc_co_u32_e64 v15, s[0:1], v1, v13, vcc
	v_ashrrev_i32_e32 v9, 31, v8
	v_subrev_u32_e32 v1, s9, v22
	s_and_b64 s[0:1], s[16:17], s[2:3]
	v_lshlrev_b64 v[10:11], 2, v[8:9]
	v_mul_lo_u32 v20, v19, s8
	v_cndmask_b32_e64 v1, 4, v1, s[0:1]
	s_waitcnt lgkmcnt(0)
	v_mov_b32_e32 v9, s5
	v_add_co_u32_e64 v8, s[0:1], s4, v10
	v_addc_co_u32_e64 v9, s[0:1], v9, v11, s[0:1]
	v_ashrrev_i32_e32 v21, 31, v20
	global_store_dword v[8:9], v1, off
	v_lshlrev_b64 v[8:9], 2, v[20:21]
	v_mov_b32_e32 v1, s7
	v_add_co_u32_e64 v20, s[0:1], s6, v8
	v_addc_co_u32_e64 v21, s[0:1], v1, v9, s[0:1]
	v_mov_b32_e32 v1, 0xff800000
	v_cmp_ne_u32_e64 s[0:1], 3, v22
	v_cndmask_b32_e64 v3, v1, v3, s[0:1]
	v_cmp_ne_u32_e64 s[0:1], 2, v22
	v_cndmask_b32_e64 v2, v1, v2, s[0:1]
	;; [unrolled: 2-line block ×3, first 2 shown]
	v_cmp_ne_u32_e64 s[0:1], 0, v22
	s_cmp_eq_u32 s8, 1
	v_cndmask_b32_e64 v4, v1, v4, s[0:1]
	global_store_dword v[14:15], v16, off
	global_store_dword v[20:21], v19, off
	s_cbranch_scc1 .LBB233_8
; %bb.6:
	v_mov_b32_e32 v12, s7
	v_add_co_u32_e64 v8, s[0:1], s6, v8
	v_addc_co_u32_e64 v9, s[0:1], v9, v12, s[0:1]
	v_add_co_u32_e64 v8, s[0:1], 4, v8
	v_addc_co_u32_e64 v9, s[0:1], 0, v9, s[0:1]
	v_mov_b32_e32 v12, s5
	v_add_co_u32_e64 v10, s[0:1], s4, v10
	v_addc_co_u32_e64 v11, s[0:1], v11, v12, s[0:1]
	v_mov_b32_e32 v12, s13
	v_addc_co_u32_e32 v13, vcc, v13, v12, vcc
	v_add_co_u32_e64 v10, s[0:1], 4, v10
	v_add_co_u32_e32 v12, vcc, 4, v14
	s_add_i32 s21, s21, s20
	v_addc_co_u32_e64 v11, s[0:1], 0, v11, s[0:1]
	v_addc_co_u32_e32 v13, vcc, 0, v13, vcc
	s_add_i32 s4, s8, -1
	v_add3_u32 v14, s21, v18, v17
	v_mov_b32_e32 v15, 0x7f800000
.LBB233_7:                              ; =>This Inner Loop Header: Depth=1
	v_cmp_gt_f32_e32 vcc, v5, v4
	v_cndmask_b32_e32 v17, v4, v5, vcc
	v_cmp_gt_f32_e64 s[0:1], v2, v17
	v_cndmask_b32_e64 v17, v17, v2, s[0:1]
	v_cndmask_b32_e64 v18, 0, 1, vcc
	v_cmp_gt_f32_e32 vcc, v3, v17
	v_cndmask_b32_e64 v18, v18, 2, s[0:1]
	v_cndmask_b32_e64 v18, v18, 3, vcc
	v_cndmask_b32_e32 v17, v17, v3, vcc
	v_cmp_ne_u32_e64 s[2:3], 3, v18
	v_sub_f32_e32 v17, v17, v6
	v_cndmask_b32_e64 v3, v1, v3, s[2:3]
	v_cmp_ne_u32_e64 s[2:3], 2, v18
	v_cmp_le_i32_e32 vcc, s9, v18
	v_cmp_gt_i32_e64 s[0:1], s10, v18
	v_mul_f32_e32 v19, 0x3fb8aa3b, v17
	v_cndmask_b32_e64 v2, v1, v2, s[2:3]
	v_cmp_ne_u32_e64 s[2:3], 1, v18
	v_subrev_u32_e32 v20, s9, v18
	v_cndmask_b32_e64 v5, v1, v5, s[2:3]
	v_cmp_ne_u32_e64 s[2:3], 0, v18
	s_and_b64 s[0:1], vcc, s[0:1]
	v_fma_f32 v18, v17, s11, -v19
	v_rndne_f32_e32 v21, v19
	v_fmac_f32_e32 v18, 0x32a5705f, v17
	v_sub_f32_e32 v19, v19, v21
	s_and_b64 vcc, s[16:17], s[0:1]
	v_cndmask_b32_e32 v20, 4, v20, vcc
	v_add_f32_e32 v18, v19, v18
	v_cvt_i32_f32_e32 v21, v21
	global_store_dword v[10:11], v20, off
	global_store_dword v[8:9], v14, off
	v_add_co_u32_e32 v8, vcc, 4, v8
	v_exp_f32_e32 v18, v18
	v_addc_co_u32_e32 v9, vcc, 0, v9, vcc
	v_add_co_u32_e32 v10, vcc, 4, v10
	v_addc_co_u32_e32 v11, vcc, 0, v11, vcc
	v_ldexp_f32 v18, v18, v21
	v_cmp_ngt_f32_e32 vcc, s18, v17
	v_cndmask_b32_e32 v18, 0, v18, vcc
	v_cmp_nlt_f32_e32 vcc, s19, v17
	v_cndmask_b32_e32 v17, v15, v18, vcc
	s_add_i32 s4, s4, -1
	global_store_dword v[12:13], v17, off
	v_add_co_u32_e32 v12, vcc, 4, v12
	v_cndmask_b32_e64 v4, v1, v4, s[2:3]
	v_add_u32_e32 v14, s20, v14
	s_cmp_eq_u32 s4, 0
	v_add_f32_e32 v16, v16, v17
	v_addc_co_u32_e32 v13, vcc, 0, v13, vcc
	s_cbranch_scc0 .LBB233_7
.LBB233_8:
	v_pk_add_f32 v[4:5], v[4:5], v[6:7] op_sel_hi:[1,0] neg_lo:[0,1] neg_hi:[0,1]
	s_mov_b32 s0, 0x3fb8aa3b
	v_mul_f32_e32 v1, 0x3fb8aa3b, v5
	v_fma_f32 v8, v5, s0, -v1
	v_rndne_f32_e32 v9, v1
	v_fmac_f32_e32 v8, 0x32a5705f, v5
	v_sub_f32_e32 v1, v1, v9
	v_add_f32_e32 v1, v1, v8
	v_exp_f32_e32 v1, v1
	v_cvt_i32_f32_e32 v8, v9
	s_mov_b32 s1, 0xc2ce8ed0
	v_cmp_ngt_f32_e32 vcc, s1, v5
	s_mov_b32 s2, 0x42b17218
	v_ldexp_f32 v1, v1, v8
	v_mul_f32_e32 v8, 0x3fb8aa3b, v4
	v_fma_f32 v9, v4, s0, -v8
	v_rndne_f32_e32 v10, v8
	v_fmac_f32_e32 v9, 0x32a5705f, v4
	v_sub_f32_e32 v8, v8, v10
	v_add_f32_e32 v8, v8, v9
	v_exp_f32_e32 v8, v8
	v_cvt_i32_f32_e32 v9, v10
	v_sub_f32_e32 v2, v2, v6
	v_cndmask_b32_e32 v1, 0, v1, vcc
	v_cmp_nlt_f32_e32 vcc, s2, v5
	v_ldexp_f32 v5, v8, v9
	v_mul_f32_e32 v8, 0x3fb8aa3b, v2
	v_fma_f32 v9, v2, s0, -v8
	v_rndne_f32_e32 v10, v8
	v_fmac_f32_e32 v9, 0x32a5705f, v2
	v_sub_f32_e32 v8, v8, v10
	v_add_f32_e32 v8, v8, v9
	v_exp_f32_e32 v8, v8
	v_cvt_i32_f32_e32 v9, v10
	v_cndmask_b32_e32 v1, v7, v1, vcc
	v_cmp_ngt_f32_e32 vcc, s1, v4
	v_cndmask_b32_e32 v5, 0, v5, vcc
	v_cmp_nlt_f32_e32 vcc, s2, v4
	v_sub_f32_e32 v3, v3, v6
	v_cndmask_b32_e32 v4, v7, v5, vcc
	v_mul_f32_e32 v5, 0x3fb8aa3b, v3
	v_add_f32_e32 v1, v4, v1
	v_ldexp_f32 v4, v8, v9
	v_fma_f32 v6, v3, s0, -v5
	v_rndne_f32_e32 v8, v5
	v_fmac_f32_e32 v6, 0x32a5705f, v3
	v_sub_f32_e32 v5, v5, v8
	v_add_f32_e32 v5, v5, v6
	v_exp_f32_e32 v5, v5
	v_cvt_i32_f32_e32 v6, v8
	v_cmp_ngt_f32_e32 vcc, s1, v2
	v_cndmask_b32_e32 v4, 0, v4, vcc
	v_cmp_nlt_f32_e32 vcc, s2, v2
	v_cndmask_b32_e32 v2, v7, v4, vcc
	v_add_f32_e32 v1, v1, v2
	v_ldexp_f32 v2, v5, v6
	v_cmp_ngt_f32_e32 vcc, s1, v3
	v_cndmask_b32_e32 v2, 0, v2, vcc
	v_cmp_nlt_f32_e32 vcc, s2, v3
	v_cndmask_b32_e32 v2, v7, v2, vcc
	v_add_f32_e32 v1, v1, v2
	v_add_f32_e32 v1, v16, v1
	v_cmp_neq_f32_e32 vcc, 0, v1
	s_and_b64 exec, exec, vcc
	s_cbranch_execz .LBB233_19
; %bb.9:
	s_andn2_b64 vcc, exec, s[14:15]
	s_cbranch_vccnz .LBB233_19
; %bb.10:
	v_div_scale_f32 v2, s[0:1], v1, v1, 1.0
	v_rcp_f32_e32 v3, v2
	v_div_scale_f32 v4, vcc, 1.0, v1, 1.0
	s_cmp_gt_u32 s8, 3
	v_fma_f32 v5, -v2, v3, 1.0
	v_fmac_f32_e32 v3, v5, v3
	v_mul_f32_e32 v5, v4, v3
	v_fma_f32 v6, -v2, v5, v4
	v_fmac_f32_e32 v5, v6, v3
	v_fma_f32 v2, -v2, v5, v4
	v_div_fmas_f32 v2, v2, v3, v5
	v_div_fixup_f32 v2, v2, v1, 1.0
	v_ashrrev_i32_e32 v1, 31, v0
	s_cbranch_scc0 .LBB233_14
; %bb.11:
	v_lshlrev_b64 v[4:5], 2, v[0:1]
	v_mov_b32_e32 v6, s13
	v_add_co_u32_e32 v4, vcc, s12, v4
	v_addc_co_u32_e32 v5, vcc, v5, v6, vcc
	s_and_b32 s4, s8, 0x7ffffffc
	v_add_co_u32_e32 v4, vcc, 8, v4
	v_mov_b32_e32 v3, v2
	v_addc_co_u32_e32 v5, vcc, 0, v5, vcc
	s_mov_b32 s0, s4
.LBB233_12:                             ; =>This Inner Loop Header: Depth=1
	global_load_dwordx4 v[6:9], v[4:5], off offset:-8
	s_add_i32 s0, s0, -4
	s_cmp_lg_u32 s0, 0
	s_waitcnt vmcnt(0)
	v_pk_mul_f32 v[6:7], v[2:3], v[6:7]
	v_pk_mul_f32 v[8:9], v[2:3], v[8:9]
	global_store_dwordx4 v[4:5], v[6:9], off offset:-8
	v_add_co_u32_e32 v4, vcc, 16, v4
	v_addc_co_u32_e32 v5, vcc, 0, v5, vcc
	s_cbranch_scc1 .LBB233_12
; %bb.13:
	s_cmp_lg_u32 s4, s8
	s_cselect_b64 s[0:1], -1, 0
	s_branch .LBB233_16
.LBB233_14:
	s_mov_b64 s[0:1], 0
                                        ; implicit-def: $sgpr4
	s_cbranch_execz .LBB233_16
; %bb.15:
	s_mov_b64 s[0:1], -1
	s_mov_b32 s4, 0
.LBB233_16:
	s_andn2_b64 vcc, exec, s[0:1]
	s_cbranch_vccnz .LBB233_19
; %bb.17:
	v_add_co_u32_e32 v0, vcc, s4, v0
	v_addc_co_u32_e32 v1, vcc, 0, v1, vcc
	v_lshlrev_b64 v[0:1], 2, v[0:1]
	v_mov_b32_e32 v3, s13
	v_add_co_u32_e32 v0, vcc, s12, v0
	s_sub_i32 s0, s8, s4
	v_addc_co_u32_e32 v1, vcc, v3, v1, vcc
.LBB233_18:                             ; =>This Inner Loop Header: Depth=1
	global_load_dword v3, v[0:1], off
	s_add_i32 s0, s0, -1
	s_cmp_lg_u32 s0, 0
	s_waitcnt vmcnt(0)
	v_mul_f32_e32 v3, v2, v3
	global_store_dword v[0:1], v3, off
	v_add_co_u32_e32 v0, vcc, 4, v0
	v_addc_co_u32_e32 v1, vcc, 0, v1, vcc
	s_cbranch_scc1 .LBB233_18
.LBB233_19:
	s_endpgm
	.section	.rodata,"a",@progbits
	.p2align	6, 0x0
	.amdhsa_kernel _ZN4vllm3moe17topkGatingSoftmaxItLi4ELi4ELi8ELi8ELb0ELi2ELNS0_23SharedExpertScoringFuncE1EEEvPKT_PKbPfiPiS9_iiiiii
		.amdhsa_group_segment_fixed_size 0
		.amdhsa_private_segment_fixed_size 0
		.amdhsa_kernarg_size 72
		.amdhsa_user_sgpr_count 6
		.amdhsa_user_sgpr_private_segment_buffer 1
		.amdhsa_user_sgpr_dispatch_ptr 0
		.amdhsa_user_sgpr_queue_ptr 0
		.amdhsa_user_sgpr_kernarg_segment_ptr 1
		.amdhsa_user_sgpr_dispatch_id 0
		.amdhsa_user_sgpr_flat_scratch_init 0
		.amdhsa_user_sgpr_kernarg_preload_length 0
		.amdhsa_user_sgpr_kernarg_preload_offset 0
		.amdhsa_user_sgpr_private_segment_size 0
		.amdhsa_uses_dynamic_stack 0
		.amdhsa_system_sgpr_private_segment_wavefront_offset 0
		.amdhsa_system_sgpr_workgroup_id_x 1
		.amdhsa_system_sgpr_workgroup_id_y 0
		.amdhsa_system_sgpr_workgroup_id_z 0
		.amdhsa_system_sgpr_workgroup_info 0
		.amdhsa_system_vgpr_workitem_id 1
		.amdhsa_next_free_vgpr 25
		.amdhsa_next_free_sgpr 22
		.amdhsa_accum_offset 28
		.amdhsa_reserve_vcc 1
		.amdhsa_reserve_flat_scratch 0
		.amdhsa_float_round_mode_32 0
		.amdhsa_float_round_mode_16_64 0
		.amdhsa_float_denorm_mode_32 3
		.amdhsa_float_denorm_mode_16_64 3
		.amdhsa_dx10_clamp 1
		.amdhsa_ieee_mode 1
		.amdhsa_fp16_overflow 0
		.amdhsa_tg_split 0
		.amdhsa_exception_fp_ieee_invalid_op 0
		.amdhsa_exception_fp_denorm_src 0
		.amdhsa_exception_fp_ieee_div_zero 0
		.amdhsa_exception_fp_ieee_overflow 0
		.amdhsa_exception_fp_ieee_underflow 0
		.amdhsa_exception_fp_ieee_inexact 0
		.amdhsa_exception_int_div_zero 0
	.end_amdhsa_kernel
	.section	.text._ZN4vllm3moe17topkGatingSoftmaxItLi4ELi4ELi8ELi8ELb0ELi2ELNS0_23SharedExpertScoringFuncE1EEEvPKT_PKbPfiPiS9_iiiiii,"axG",@progbits,_ZN4vllm3moe17topkGatingSoftmaxItLi4ELi4ELi8ELi8ELb0ELi2ELNS0_23SharedExpertScoringFuncE1EEEvPKT_PKbPfiPiS9_iiiiii,comdat
.Lfunc_end233:
	.size	_ZN4vllm3moe17topkGatingSoftmaxItLi4ELi4ELi8ELi8ELb0ELi2ELNS0_23SharedExpertScoringFuncE1EEEvPKT_PKbPfiPiS9_iiiiii, .Lfunc_end233-_ZN4vllm3moe17topkGatingSoftmaxItLi4ELi4ELi8ELi8ELb0ELi2ELNS0_23SharedExpertScoringFuncE1EEEvPKT_PKbPfiPiS9_iiiiii
                                        ; -- End function
	.section	.AMDGPU.csdata,"",@progbits
; Kernel info:
; codeLenInByte = 2100
; NumSgprs: 26
; NumVgprs: 25
; NumAgprs: 0
; TotalNumVgprs: 25
; ScratchSize: 0
; MemoryBound: 0
; FloatMode: 240
; IeeeMode: 1
; LDSByteSize: 0 bytes/workgroup (compile time only)
; SGPRBlocks: 3
; VGPRBlocks: 3
; NumSGPRsForWavesPerEU: 26
; NumVGPRsForWavesPerEU: 25
; AccumOffset: 28
; Occupancy: 8
; WaveLimiterHint : 0
; COMPUTE_PGM_RSRC2:SCRATCH_EN: 0
; COMPUTE_PGM_RSRC2:USER_SGPR: 6
; COMPUTE_PGM_RSRC2:TRAP_HANDLER: 0
; COMPUTE_PGM_RSRC2:TGID_X_EN: 1
; COMPUTE_PGM_RSRC2:TGID_Y_EN: 0
; COMPUTE_PGM_RSRC2:TGID_Z_EN: 0
; COMPUTE_PGM_RSRC2:TIDIG_COMP_CNT: 1
; COMPUTE_PGM_RSRC3_GFX90A:ACCUM_OFFSET: 6
; COMPUTE_PGM_RSRC3_GFX90A:TG_SPLIT: 0
	.section	.text._ZN4vllm3moe17topkGatingSoftmaxItLi4ELi4ELi8ELi8ELb1ELi4ELNS0_23SharedExpertScoringFuncE1EEEvPKT_PKbPfiPiS9_iiiiii,"axG",@progbits,_ZN4vllm3moe17topkGatingSoftmaxItLi4ELi4ELi8ELi8ELb1ELi4ELNS0_23SharedExpertScoringFuncE1EEEvPKT_PKbPfiPiS9_iiiiii,comdat
	.protected	_ZN4vllm3moe17topkGatingSoftmaxItLi4ELi4ELi8ELi8ELb1ELi4ELNS0_23SharedExpertScoringFuncE1EEEvPKT_PKbPfiPiS9_iiiiii ; -- Begin function _ZN4vllm3moe17topkGatingSoftmaxItLi4ELi4ELi8ELi8ELb1ELi4ELNS0_23SharedExpertScoringFuncE1EEEvPKT_PKbPfiPiS9_iiiiii
	.globl	_ZN4vllm3moe17topkGatingSoftmaxItLi4ELi4ELi8ELi8ELb1ELi4ELNS0_23SharedExpertScoringFuncE1EEEvPKT_PKbPfiPiS9_iiiiii
	.p2align	8
	.type	_ZN4vllm3moe17topkGatingSoftmaxItLi4ELi4ELi8ELi8ELb1ELi4ELNS0_23SharedExpertScoringFuncE1EEEvPKT_PKbPfiPiS9_iiiiii,@function
_ZN4vllm3moe17topkGatingSoftmaxItLi4ELi4ELi8ELi8ELb1ELi4ELNS0_23SharedExpertScoringFuncE1EEEvPKT_PKbPfiPiS9_iiiiii: ; @_ZN4vllm3moe17topkGatingSoftmaxItLi4ELi4ELi8ELi8ELb1ELi4ELNS0_23SharedExpertScoringFuncE1EEEvPKT_PKbPfiPiS9_iiiiii
; %bb.0:
	s_load_dword s20, s[4:5], 0x18
	v_bfe_u32 v1, v0, 10, 10
	s_lshl_b32 s21, s6, 9
	v_lshlrev_b32_e32 v15, 6, v1
	v_and_b32_e32 v16, 0x3ff, v0
	v_add3_u32 v17, v15, v16, s21
	s_waitcnt lgkmcnt(0)
	v_cmp_gt_i32_e32 vcc, s20, v17
	s_and_saveexec_b64 s[0:1], vcc
	s_cbranch_execz .LBB234_19
; %bb.1:
	s_load_dwordx4 s[0:3], s[4:5], 0x0
	s_load_dwordx2 s[12:13], s[4:5], 0x10
	s_waitcnt lgkmcnt(0)
	s_cmp_eq_u64 s[2:3], 0
	s_cbranch_scc1 .LBB234_3
; %bb.2:
	v_ashrrev_i32_e32 v1, 31, v17
	v_mov_b32_e32 v2, s3
	v_add_co_u32_e32 v0, vcc, s2, v17
	v_addc_co_u32_e32 v1, vcc, v2, v1, vcc
	global_load_ubyte v0, v[0:1], off
	s_waitcnt vmcnt(0)
	v_and_b32_e32 v0, 1, v0
	v_cmp_eq_u32_e32 vcc, 1, v0
	s_xor_b64 s[2:3], vcc, -1
	s_orn2_b64 s[14:15], s[2:3], exec
	s_branch .LBB234_4
.LBB234_3:
	s_mov_b64 s[14:15], -1
.LBB234_4:
	s_load_dwordx2 s[18:19], s[4:5], 0x40
	s_load_dwordx4 s[8:11], s[4:5], 0x30
	v_mov_b32_e32 v2, s1
	v_mov_b32_e32 v8, s13
	s_mov_b32 s1, 0x42ce8ed0
	s_waitcnt lgkmcnt(0)
	v_mul_lo_u32 v0, v17, s19
	v_ashrrev_i32_e32 v1, 31, v0
	v_lshlrev_b64 v[0:1], 1, v[0:1]
	v_add_co_u32_e32 v0, vcc, s0, v0
	v_addc_co_u32_e32 v1, vcc, v2, v1, vcc
	global_load_dwordx4 v[0:3], v[0:1], off
	v_mul_lo_u32 v4, v17, s11
	v_add_u32_e32 v6, s8, v4
	v_ashrrev_i32_e32 v7, 31, v6
	v_lshlrev_b64 v[6:7], 2, v[6:7]
	v_add_co_u32_e32 v10, vcc, s12, v6
	v_addc_co_u32_e32 v11, vcc, v8, v7, vcc
	s_mov_b32 s0, 0xbfb8aa3b
	s_mov_b32 s2, 0xc2b17218
	v_mov_b32_e32 v5, 0x7f800000
	s_cmp_gt_i32 s8, 0
	v_mov_b32_e32 v14, 0
	s_cselect_b64 s[16:17], -1, 0
	s_cmp_lt_i32 s8, 1
	s_waitcnt vmcnt(0)
	v_cvt_f32_u32_sdwa v6, v2 dst_sel:DWORD dst_unused:UNUSED_PAD src0_sel:WORD_1
	v_cvt_f32_u32_sdwa v2, v2 dst_sel:DWORD dst_unused:UNUSED_PAD src0_sel:WORD_0
	v_cvt_f32_u32_sdwa v7, v3 dst_sel:DWORD dst_unused:UNUSED_PAD src0_sel:WORD_1
	v_cvt_f32_u32_sdwa v8, v3 dst_sel:DWORD dst_unused:UNUSED_PAD src0_sel:WORD_0
	v_mul_f32_e32 v3, 0xbfb8aa3b, v6
	v_mul_f32_e32 v9, 0xbfb8aa3b, v2
	v_fma_f32 v18, v6, s0, -v3
	v_rndne_f32_e32 v19, v3
	v_mul_f32_e32 v12, 0xbfb8aa3b, v7
	v_fma_f32 v20, v2, s0, -v9
	v_rndne_f32_e32 v21, v9
	v_fmac_f32_e32 v18, 0xb2a5705f, v6
	v_sub_f32_e32 v3, v3, v19
	v_mul_f32_e32 v13, 0xbfb8aa3b, v8
	v_fma_f32 v22, v7, s0, -v12
	v_rndne_f32_e32 v23, v12
	v_fmac_f32_e32 v20, 0xb2a5705f, v2
	v_sub_f32_e32 v9, v9, v21
	v_add_f32_e32 v3, v3, v18
	v_fma_f32 v24, v8, s0, -v13
	v_rndne_f32_e32 v25, v13
	v_cvt_i32_f32_e32 v19, v19
	v_fmac_f32_e32 v22, 0xb2a5705f, v7
	v_sub_f32_e32 v12, v12, v23
	v_add_f32_e32 v9, v9, v20
	v_exp_f32_e32 v3, v3
	v_cvt_i32_f32_e32 v21, v21
	v_fmac_f32_e32 v24, 0xb2a5705f, v8
	v_sub_f32_e32 v13, v13, v25
	v_add_f32_e32 v12, v12, v22
	v_exp_f32_e32 v9, v9
	v_cvt_i32_f32_e32 v23, v23
	v_add_f32_e32 v13, v13, v24
	v_exp_f32_e32 v12, v12
	v_cvt_i32_f32_e32 v25, v25
	v_exp_f32_e32 v13, v13
	v_ldexp_f32 v3, v3, v19
	v_cmp_nlt_f32_e32 vcc, s1, v6
	v_ldexp_f32 v9, v9, v21
	v_cndmask_b32_e32 v3, 0, v3, vcc
	v_cmp_nlt_f32_e32 vcc, s1, v2
	v_ldexp_f32 v12, v12, v23
	v_cndmask_b32_e32 v9, 0, v9, vcc
	;; [unrolled: 3-line block ×3, first 2 shown]
	v_cmp_nlt_f32_e32 vcc, s1, v8
	v_cndmask_b32_e32 v13, 0, v13, vcc
	v_cmp_ngt_f32_e32 vcc, s2, v6
	v_cndmask_b32_e32 v3, v5, v3, vcc
	v_cmp_ngt_f32_e32 vcc, s2, v2
	v_cndmask_b32_e32 v2, v5, v9, vcc
	v_cmp_ngt_f32_e32 vcc, s2, v7
	v_cndmask_b32_e32 v7, v5, v12, vcc
	v_cmp_ngt_f32_e32 vcc, s2, v8
	v_cndmask_b32_e32 v6, v5, v13, vcc
	v_pk_add_f32 v[2:3], v[2:3], 1.0 op_sel_hi:[1,0]
	v_pk_add_f32 v[8:9], v[6:7], 1.0 op_sel_hi:[1,0]
	v_div_scale_f32 v6, s[0:1], v3, v3, 1.0
	v_div_scale_f32 v12, s[0:1], v2, v2, 1.0
	v_rcp_f32_e32 v19, v6
	v_rcp_f32_e32 v20, v12
	v_div_scale_f32 v7, vcc, 1.0, v3, 1.0
	v_fma_f32 v23, -v6, v19, 1.0
	v_div_scale_f32 v18, s[2:3], v9, v9, 1.0
	v_fma_f32 v24, -v12, v20, 1.0
	v_fmac_f32_e32 v19, v23, v19
	v_div_scale_f32 v13, s[0:1], 1.0, v2, 1.0
	v_rcp_f32_e32 v21, v18
	v_fmac_f32_e32 v20, v24, v20
	v_mul_f32_e32 v23, v7, v19
	v_mul_f32_e32 v24, v13, v20
	v_fma_f32 v26, -v6, v23, v7
	v_fma_f32 v27, -v12, v24, v13
	v_fmac_f32_e32 v23, v26, v19
	v_fmac_f32_e32 v24, v27, v20
	v_fma_f32 v6, -v6, v23, v7
	v_fma_f32 v25, -v18, v21, 1.0
	v_fma_f32 v12, -v12, v24, v13
	v_div_fmas_f32 v6, v6, v19, v23
	s_mov_b64 vcc, s[0:1]
	v_div_scale_f32 v22, s[2:3], 1.0, v9, 1.0
	v_fmac_f32_e32 v21, v25, v21
	v_div_fixup_f32 v7, v6, v3, 1.0
	v_div_fmas_f32 v3, v12, v20, v24
	v_mul_f32_e32 v25, v22, v21
	v_div_fixup_f32 v6, v3, v2, 1.0
	v_div_scale_f32 v3, s[0:1], v8, v8, 1.0
	v_fma_f32 v2, -v18, v25, v22
	v_rcp_f32_e32 v12, v3
	v_fmac_f32_e32 v25, v2, v21
	v_fma_f32 v2, -v18, v25, v22
	s_mov_b64 vcc, s[2:3]
	v_div_fmas_f32 v2, v2, v21, v25
	v_div_fixup_f32 v9, v2, v9, 1.0
	v_fma_f32 v2, -v3, v12, 1.0
	v_fmac_f32_e32 v12, v2, v12
	v_div_scale_f32 v2, vcc, 1.0, v8, 1.0
	v_mul_f32_e32 v13, v2, v12
	v_fma_f32 v18, -v3, v13, v2
	v_fmac_f32_e32 v13, v18, v12
	v_fma_f32 v2, -v3, v13, v2
	v_div_fmas_f32 v2, v2, v12, v13
	v_div_fixup_f32 v8, v2, v8, 1.0
	global_store_dwordx4 v[10:11], v[6:9], off
	s_cbranch_scc1 .LBB234_8
; %bb.5:
	v_cvt_f32_u32_sdwa v19, v0 dst_sel:DWORD dst_unused:UNUSED_PAD src0_sel:WORD_1
	v_cvt_f32_u32_sdwa v0, v0 dst_sel:DWORD dst_unused:UNUSED_PAD src0_sel:WORD_0
	v_cvt_f32_u32_sdwa v2, v1 dst_sel:DWORD dst_unused:UNUSED_PAD src0_sel:WORD_1
	v_cvt_f32_u32_sdwa v1, v1 dst_sel:DWORD dst_unused:UNUSED_PAD src0_sel:WORD_0
	s_mov_b32 s11, 0x3fb8aa3b
	v_cmp_lt_f32_e32 vcc, v0, v19
	v_cndmask_b32_e32 v6, v0, v19, vcc
	v_cndmask_b32_e64 v3, 0, 1, vcc
	v_cmp_lt_f32_e32 vcc, v6, v1
	v_cndmask_b32_e32 v6, v6, v1, vcc
	v_cndmask_b32_e64 v3, v3, 2, vcc
	;; [unrolled: 3-line block ×3, first 2 shown]
	v_sub_f32_e32 v3, v18, v18
	v_mul_f32_e32 v7, 0x3fb8aa3b, v3
	v_fma_f32 v8, v3, s11, -v7
	v_rndne_f32_e32 v9, v7
	v_fmac_f32_e32 v8, 0x32a5705f, v3
	v_sub_f32_e32 v7, v7, v9
	v_add_f32_e32 v7, v7, v8
	v_exp_f32_e32 v7, v7
	v_cvt_i32_f32_e32 v8, v9
	v_mul_lo_u32 v6, v17, s18
	v_cmp_le_i32_e32 vcc, s9, v20
	v_cmp_gt_i32_e64 s[0:1], s10, v20
	s_mov_b32 s18, 0xc2ce8ed0
	s_and_b64 s[2:3], vcc, s[0:1]
	v_ldexp_f32 v7, v7, v8
	v_cmp_ngt_f32_e32 vcc, s18, v3
	s_mov_b32 s19, 0x42b17218
	v_cndmask_b32_e32 v7, 0, v7, vcc
	v_cmp_nlt_f32_e32 vcc, s19, v3
	s_load_dwordx4 s[4:7], s[4:5], 0x20
	v_cndmask_b32_e32 v14, v5, v7, vcc
	v_ashrrev_i32_e32 v5, 31, v4
	v_lshlrev_b64 v[10:11], 2, v[4:5]
	v_mov_b32_e32 v3, s13
	v_add_co_u32_e32 v12, vcc, s12, v10
	v_addc_co_u32_e64 v13, s[0:1], v3, v11, vcc
	v_ashrrev_i32_e32 v7, 31, v6
	v_subrev_u32_e32 v3, s9, v20
	s_and_b64 s[0:1], s[14:15], s[2:3]
	v_lshlrev_b64 v[8:9], 2, v[6:7]
	v_mul_lo_u32 v22, v17, s8
	v_cndmask_b32_e64 v3, 4, v3, s[0:1]
	s_waitcnt lgkmcnt(0)
	v_mov_b32_e32 v5, s5
	v_add_co_u32_e64 v6, s[0:1], s4, v8
	v_addc_co_u32_e64 v7, s[0:1], v5, v9, s[0:1]
	v_ashrrev_i32_e32 v23, 31, v22
	global_store_dword v[6:7], v3, off
	v_lshlrev_b64 v[6:7], 2, v[22:23]
	v_mov_b32_e32 v3, s7
	v_add_co_u32_e64 v22, s[0:1], s6, v6
	v_addc_co_u32_e64 v23, s[0:1], v3, v7, s[0:1]
	s_cmp_eq_u32 s8, 1
	global_store_dword v[12:13], v14, off
	global_store_dword v[22:23], v17, off
	s_cbranch_scc1 .LBB234_8
; %bb.6:
	v_mov_b32_e32 v5, 0xff800000
	v_cmp_ne_u32_e64 s[0:1], 3, v20
	v_cndmask_b32_e64 v3, v5, v2, s[0:1]
	v_cmp_ne_u32_e64 s[0:1], 2, v20
	v_cndmask_b32_e64 v2, v5, v1, s[0:1]
	;; [unrolled: 2-line block ×4, first 2 shown]
	v_mov_b32_e32 v10, s7
	v_add_co_u32_e64 v6, s[0:1], s6, v6
	v_addc_co_u32_e64 v7, s[0:1], v7, v10, s[0:1]
	v_add_co_u32_e64 v6, s[0:1], 4, v6
	v_addc_co_u32_e64 v7, s[0:1], 0, v7, s[0:1]
	v_mov_b32_e32 v10, s5
	v_add_co_u32_e64 v8, s[0:1], s4, v8
	v_addc_co_u32_e64 v9, s[0:1], v9, v10, s[0:1]
	v_mov_b32_e32 v10, s13
	v_addc_co_u32_e32 v11, vcc, v11, v10, vcc
	v_add_co_u32_e64 v8, s[0:1], 4, v8
	v_add_co_u32_e32 v10, vcc, 4, v12
	s_add_i32 s21, s21, s20
	v_addc_co_u32_e64 v9, s[0:1], 0, v9, s[0:1]
	v_addc_co_u32_e32 v11, vcc, 0, v11, vcc
	s_add_i32 s4, s8, -1
	v_add3_u32 v12, s21, v16, v15
	v_mov_b32_e32 v13, 0x7f800000
.LBB234_7:                              ; =>This Inner Loop Header: Depth=1
	v_cmp_gt_f32_e32 vcc, v1, v0
	v_cndmask_b32_e32 v15, v0, v1, vcc
	v_cmp_gt_f32_e64 s[0:1], v2, v15
	v_cndmask_b32_e64 v15, v15, v2, s[0:1]
	v_cndmask_b32_e64 v16, 0, 1, vcc
	v_cmp_gt_f32_e32 vcc, v3, v15
	v_cndmask_b32_e64 v16, v16, 2, s[0:1]
	v_cndmask_b32_e64 v16, v16, 3, vcc
	v_cndmask_b32_e32 v15, v15, v3, vcc
	v_cmp_ne_u32_e64 s[2:3], 3, v16
	v_sub_f32_e32 v15, v15, v18
	v_cndmask_b32_e64 v3, v5, v3, s[2:3]
	v_cmp_ne_u32_e64 s[2:3], 2, v16
	v_cmp_le_i32_e32 vcc, s9, v16
	v_cmp_gt_i32_e64 s[0:1], s10, v16
	v_mul_f32_e32 v17, 0x3fb8aa3b, v15
	v_cndmask_b32_e64 v2, v5, v2, s[2:3]
	v_cmp_ne_u32_e64 s[2:3], 1, v16
	v_subrev_u32_e32 v19, s9, v16
	v_cndmask_b32_e64 v1, v5, v1, s[2:3]
	v_cmp_ne_u32_e64 s[2:3], 0, v16
	s_and_b64 s[0:1], vcc, s[0:1]
	v_fma_f32 v16, v15, s11, -v17
	v_rndne_f32_e32 v20, v17
	v_fmac_f32_e32 v16, 0x32a5705f, v15
	v_sub_f32_e32 v17, v17, v20
	s_and_b64 vcc, s[14:15], s[0:1]
	v_cndmask_b32_e32 v19, 4, v19, vcc
	v_add_f32_e32 v16, v17, v16
	v_cvt_i32_f32_e32 v20, v20
	global_store_dword v[8:9], v19, off
	global_store_dword v[6:7], v12, off
	v_add_co_u32_e32 v6, vcc, 4, v6
	v_exp_f32_e32 v16, v16
	v_addc_co_u32_e32 v7, vcc, 0, v7, vcc
	v_add_co_u32_e32 v8, vcc, 4, v8
	v_addc_co_u32_e32 v9, vcc, 0, v9, vcc
	v_ldexp_f32 v16, v16, v20
	v_cmp_ngt_f32_e32 vcc, s18, v15
	v_cndmask_b32_e32 v16, 0, v16, vcc
	v_cmp_nlt_f32_e32 vcc, s19, v15
	v_cndmask_b32_e32 v15, v13, v16, vcc
	s_add_i32 s4, s4, -1
	global_store_dword v[10:11], v15, off
	v_add_co_u32_e32 v10, vcc, 4, v10
	v_cndmask_b32_e64 v0, v5, v0, s[2:3]
	v_add_u32_e32 v12, s20, v12
	s_cmp_eq_u32 s4, 0
	v_add_f32_e32 v14, v14, v15
	v_addc_co_u32_e32 v11, vcc, 0, v11, vcc
	s_cbranch_scc0 .LBB234_7
.LBB234_8:
	v_cmp_neq_f32_e32 vcc, 0, v14
	s_and_b64 exec, exec, vcc
	s_cbranch_execz .LBB234_19
; %bb.9:
	s_andn2_b64 vcc, exec, s[16:17]
	s_cbranch_vccnz .LBB234_19
; %bb.10:
	v_div_scale_f32 v0, s[0:1], v14, v14, 1.0
	v_rcp_f32_e32 v1, v0
	v_div_scale_f32 v2, vcc, 1.0, v14, 1.0
	s_cmp_gt_u32 s8, 3
	v_fma_f32 v3, -v0, v1, 1.0
	v_fmac_f32_e32 v1, v3, v1
	v_mul_f32_e32 v3, v2, v1
	v_fma_f32 v5, -v0, v3, v2
	v_fmac_f32_e32 v3, v5, v1
	v_fma_f32 v0, -v0, v3, v2
	v_div_fmas_f32 v0, v0, v1, v3
	v_div_fixup_f32 v0, v0, v14, 1.0
	v_ashrrev_i32_e32 v5, 31, v4
	s_cbranch_scc0 .LBB234_14
; %bb.11:
	v_lshlrev_b64 v[2:3], 2, v[4:5]
	v_mov_b32_e32 v6, s13
	v_add_co_u32_e32 v2, vcc, s12, v2
	v_addc_co_u32_e32 v3, vcc, v3, v6, vcc
	s_and_b32 s4, s8, 0x7ffffffc
	v_add_co_u32_e32 v2, vcc, 8, v2
	v_mov_b32_e32 v1, v0
	v_addc_co_u32_e32 v3, vcc, 0, v3, vcc
	s_mov_b32 s0, s4
.LBB234_12:                             ; =>This Inner Loop Header: Depth=1
	global_load_dwordx4 v[6:9], v[2:3], off offset:-8
	s_add_i32 s0, s0, -4
	s_cmp_lg_u32 s0, 0
	s_waitcnt vmcnt(0)
	v_pk_mul_f32 v[6:7], v[0:1], v[6:7]
	v_pk_mul_f32 v[8:9], v[0:1], v[8:9]
	global_store_dwordx4 v[2:3], v[6:9], off offset:-8
	v_add_co_u32_e32 v2, vcc, 16, v2
	v_addc_co_u32_e32 v3, vcc, 0, v3, vcc
	s_cbranch_scc1 .LBB234_12
; %bb.13:
	s_cmp_lg_u32 s4, s8
	s_cselect_b64 s[0:1], -1, 0
	s_branch .LBB234_16
.LBB234_14:
	s_mov_b64 s[0:1], 0
                                        ; implicit-def: $sgpr4
	s_cbranch_execz .LBB234_16
; %bb.15:
	s_mov_b64 s[0:1], -1
	s_mov_b32 s4, 0
.LBB234_16:
	s_andn2_b64 vcc, exec, s[0:1]
	s_cbranch_vccnz .LBB234_19
; %bb.17:
	v_add_co_u32_e32 v2, vcc, s4, v4
	v_addc_co_u32_e32 v3, vcc, 0, v5, vcc
	v_lshlrev_b64 v[2:3], 2, v[2:3]
	v_mov_b32_e32 v1, s13
	v_add_co_u32_e32 v2, vcc, s12, v2
	s_sub_i32 s0, s8, s4
	v_addc_co_u32_e32 v3, vcc, v1, v3, vcc
.LBB234_18:                             ; =>This Inner Loop Header: Depth=1
	global_load_dword v1, v[2:3], off
	s_add_i32 s0, s0, -1
	s_cmp_lg_u32 s0, 0
	s_waitcnt vmcnt(0)
	v_mul_f32_e32 v1, v0, v1
	global_store_dword v[2:3], v1, off
	v_add_co_u32_e32 v2, vcc, 4, v2
	v_addc_co_u32_e32 v3, vcc, 0, v3, vcc
	s_cbranch_scc1 .LBB234_18
.LBB234_19:
	s_endpgm
	.section	.rodata,"a",@progbits
	.p2align	6, 0x0
	.amdhsa_kernel _ZN4vllm3moe17topkGatingSoftmaxItLi4ELi4ELi8ELi8ELb1ELi4ELNS0_23SharedExpertScoringFuncE1EEEvPKT_PKbPfiPiS9_iiiiii
		.amdhsa_group_segment_fixed_size 0
		.amdhsa_private_segment_fixed_size 0
		.amdhsa_kernarg_size 72
		.amdhsa_user_sgpr_count 6
		.amdhsa_user_sgpr_private_segment_buffer 1
		.amdhsa_user_sgpr_dispatch_ptr 0
		.amdhsa_user_sgpr_queue_ptr 0
		.amdhsa_user_sgpr_kernarg_segment_ptr 1
		.amdhsa_user_sgpr_dispatch_id 0
		.amdhsa_user_sgpr_flat_scratch_init 0
		.amdhsa_user_sgpr_kernarg_preload_length 0
		.amdhsa_user_sgpr_kernarg_preload_offset 0
		.amdhsa_user_sgpr_private_segment_size 0
		.amdhsa_uses_dynamic_stack 0
		.amdhsa_system_sgpr_private_segment_wavefront_offset 0
		.amdhsa_system_sgpr_workgroup_id_x 1
		.amdhsa_system_sgpr_workgroup_id_y 0
		.amdhsa_system_sgpr_workgroup_id_z 0
		.amdhsa_system_sgpr_workgroup_info 0
		.amdhsa_system_vgpr_workitem_id 1
		.amdhsa_next_free_vgpr 28
		.amdhsa_next_free_sgpr 22
		.amdhsa_accum_offset 28
		.amdhsa_reserve_vcc 1
		.amdhsa_reserve_flat_scratch 0
		.amdhsa_float_round_mode_32 0
		.amdhsa_float_round_mode_16_64 0
		.amdhsa_float_denorm_mode_32 3
		.amdhsa_float_denorm_mode_16_64 3
		.amdhsa_dx10_clamp 1
		.amdhsa_ieee_mode 1
		.amdhsa_fp16_overflow 0
		.amdhsa_tg_split 0
		.amdhsa_exception_fp_ieee_invalid_op 0
		.amdhsa_exception_fp_denorm_src 0
		.amdhsa_exception_fp_ieee_div_zero 0
		.amdhsa_exception_fp_ieee_overflow 0
		.amdhsa_exception_fp_ieee_underflow 0
		.amdhsa_exception_fp_ieee_inexact 0
		.amdhsa_exception_int_div_zero 0
	.end_amdhsa_kernel
	.section	.text._ZN4vllm3moe17topkGatingSoftmaxItLi4ELi4ELi8ELi8ELb1ELi4ELNS0_23SharedExpertScoringFuncE1EEEvPKT_PKbPfiPiS9_iiiiii,"axG",@progbits,_ZN4vllm3moe17topkGatingSoftmaxItLi4ELi4ELi8ELi8ELb1ELi4ELNS0_23SharedExpertScoringFuncE1EEEvPKT_PKbPfiPiS9_iiiiii,comdat
.Lfunc_end234:
	.size	_ZN4vllm3moe17topkGatingSoftmaxItLi4ELi4ELi8ELi8ELb1ELi4ELNS0_23SharedExpertScoringFuncE1EEEvPKT_PKbPfiPiS9_iiiiii, .Lfunc_end234-_ZN4vllm3moe17topkGatingSoftmaxItLi4ELi4ELi8ELi8ELb1ELi4ELNS0_23SharedExpertScoringFuncE1EEEvPKT_PKbPfiPiS9_iiiiii
                                        ; -- End function
	.section	.AMDGPU.csdata,"",@progbits
; Kernel info:
; codeLenInByte = 2064
; NumSgprs: 26
; NumVgprs: 28
; NumAgprs: 0
; TotalNumVgprs: 28
; ScratchSize: 0
; MemoryBound: 0
; FloatMode: 240
; IeeeMode: 1
; LDSByteSize: 0 bytes/workgroup (compile time only)
; SGPRBlocks: 3
; VGPRBlocks: 3
; NumSGPRsForWavesPerEU: 26
; NumVGPRsForWavesPerEU: 28
; AccumOffset: 28
; Occupancy: 8
; WaveLimiterHint : 0
; COMPUTE_PGM_RSRC2:SCRATCH_EN: 0
; COMPUTE_PGM_RSRC2:USER_SGPR: 6
; COMPUTE_PGM_RSRC2:TRAP_HANDLER: 0
; COMPUTE_PGM_RSRC2:TGID_X_EN: 1
; COMPUTE_PGM_RSRC2:TGID_Y_EN: 0
; COMPUTE_PGM_RSRC2:TGID_Z_EN: 0
; COMPUTE_PGM_RSRC2:TIDIG_COMP_CNT: 1
; COMPUTE_PGM_RSRC3_GFX90A:ACCUM_OFFSET: 6
; COMPUTE_PGM_RSRC3_GFX90A:TG_SPLIT: 0
	.section	.text._ZN4vllm3moe17topkGatingSoftmaxItLi4ELi4ELi8ELi8ELb0ELi4ELNS0_23SharedExpertScoringFuncE1EEEvPKT_PKbPfiPiS9_iiiiii,"axG",@progbits,_ZN4vllm3moe17topkGatingSoftmaxItLi4ELi4ELi8ELi8ELb0ELi4ELNS0_23SharedExpertScoringFuncE1EEEvPKT_PKbPfiPiS9_iiiiii,comdat
	.protected	_ZN4vllm3moe17topkGatingSoftmaxItLi4ELi4ELi8ELi8ELb0ELi4ELNS0_23SharedExpertScoringFuncE1EEEvPKT_PKbPfiPiS9_iiiiii ; -- Begin function _ZN4vllm3moe17topkGatingSoftmaxItLi4ELi4ELi8ELi8ELb0ELi4ELNS0_23SharedExpertScoringFuncE1EEEvPKT_PKbPfiPiS9_iiiiii
	.globl	_ZN4vllm3moe17topkGatingSoftmaxItLi4ELi4ELi8ELi8ELb0ELi4ELNS0_23SharedExpertScoringFuncE1EEEvPKT_PKbPfiPiS9_iiiiii
	.p2align	8
	.type	_ZN4vllm3moe17topkGatingSoftmaxItLi4ELi4ELi8ELi8ELb0ELi4ELNS0_23SharedExpertScoringFuncE1EEEvPKT_PKbPfiPiS9_iiiiii,@function
_ZN4vllm3moe17topkGatingSoftmaxItLi4ELi4ELi8ELi8ELb0ELi4ELNS0_23SharedExpertScoringFuncE1EEEvPKT_PKbPfiPiS9_iiiiii: ; @_ZN4vllm3moe17topkGatingSoftmaxItLi4ELi4ELi8ELi8ELb0ELi4ELNS0_23SharedExpertScoringFuncE1EEEvPKT_PKbPfiPiS9_iiiiii
; %bb.0:
	s_load_dword s20, s[4:5], 0x18
	v_bfe_u32 v1, v0, 10, 10
	s_lshl_b32 s21, s6, 9
	v_lshlrev_b32_e32 v17, 6, v1
	v_and_b32_e32 v18, 0x3ff, v0
	v_add3_u32 v19, v17, v18, s21
	s_waitcnt lgkmcnt(0)
	v_cmp_gt_i32_e32 vcc, s20, v19
	s_and_saveexec_b64 s[0:1], vcc
	s_cbranch_execz .LBB235_19
; %bb.1:
	s_load_dwordx4 s[0:3], s[4:5], 0x0
	s_load_dwordx2 s[12:13], s[4:5], 0x10
	s_waitcnt lgkmcnt(0)
	s_cmp_eq_u64 s[2:3], 0
	s_cbranch_scc1 .LBB235_3
; %bb.2:
	v_ashrrev_i32_e32 v1, 31, v19
	v_mov_b32_e32 v2, s3
	v_add_co_u32_e32 v0, vcc, s2, v19
	v_addc_co_u32_e32 v1, vcc, v2, v1, vcc
	global_load_ubyte v0, v[0:1], off
	s_waitcnt vmcnt(0)
	v_and_b32_e32 v0, 1, v0
	v_cmp_eq_u32_e32 vcc, 1, v0
	s_xor_b64 s[2:3], vcc, -1
	s_orn2_b64 s[14:15], s[2:3], exec
	s_branch .LBB235_4
.LBB235_3:
	s_mov_b64 s[14:15], -1
.LBB235_4:
	s_load_dwordx2 s[18:19], s[4:5], 0x40
	s_load_dwordx4 s[8:11], s[4:5], 0x30
	v_mov_b32_e32 v2, s1
	s_mov_b32 s1, 0x42ce8ed0
	s_mov_b32 s2, 0xc2b17218
	s_waitcnt lgkmcnt(0)
	v_mul_lo_u32 v0, v19, s19
	v_ashrrev_i32_e32 v1, 31, v0
	v_lshlrev_b64 v[0:1], 1, v[0:1]
	v_add_co_u32_e32 v0, vcc, s0, v0
	v_addc_co_u32_e32 v1, vcc, v2, v1, vcc
	global_load_dwordx4 v[8:11], v[0:1], off
	v_mul_lo_u32 v0, v19, s11
	v_add_u32_e32 v2, s8, v0
	v_ashrrev_i32_e32 v3, 31, v2
	v_lshlrev_b64 v[2:3], 2, v[2:3]
	v_mov_b32_e32 v1, s13
	v_add_co_u32_e32 v12, vcc, s12, v2
	v_addc_co_u32_e32 v13, vcc, v1, v3, vcc
	s_mov_b32 s0, 0xbfb8aa3b
	v_mov_b32_e32 v7, 0x7f800000
	s_cmp_gt_i32 s8, 0
	v_mov_b32_e32 v16, 0
	s_cselect_b64 s[16:17], -1, 0
	s_cmp_lt_i32 s8, 1
	s_waitcnt vmcnt(0)
	v_cvt_f32_u32_sdwa v1, v10 dst_sel:DWORD dst_unused:UNUSED_PAD src0_sel:WORD_1
	v_cvt_f32_u32_sdwa v6, v10 dst_sel:DWORD dst_unused:UNUSED_PAD src0_sel:WORD_0
	v_cvt_f32_u32_sdwa v10, v11 dst_sel:DWORD dst_unused:UNUSED_PAD src0_sel:WORD_1
	v_cvt_f32_u32_sdwa v14, v11 dst_sel:DWORD dst_unused:UNUSED_PAD src0_sel:WORD_0
	;; [unrolled: 2-line block ×3, first 2 shown]
	v_mul_f32_e32 v8, 0xbfb8aa3b, v1
	v_cvt_f32_u32_sdwa v3, v9 dst_sel:DWORD dst_unused:UNUSED_PAD src0_sel:WORD_1
	v_cvt_f32_u32_sdwa v2, v9 dst_sel:DWORD dst_unused:UNUSED_PAD src0_sel:WORD_0
	v_mul_f32_e32 v9, 0xbfb8aa3b, v6
	v_fma_f32 v20, v1, s0, -v8
	v_rndne_f32_e32 v21, v8
	v_mul_f32_e32 v11, 0xbfb8aa3b, v10
	v_fma_f32 v22, v6, s0, -v9
	v_rndne_f32_e32 v23, v9
	v_fmac_f32_e32 v20, 0xb2a5705f, v1
	v_sub_f32_e32 v8, v8, v21
	v_mul_f32_e32 v15, 0xbfb8aa3b, v14
	v_fma_f32 v24, v10, s0, -v11
	v_rndne_f32_e32 v25, v11
	v_fmac_f32_e32 v22, 0xb2a5705f, v6
	v_sub_f32_e32 v9, v9, v23
	v_add_f32_e32 v8, v8, v20
	v_fma_f32 v26, v14, s0, -v15
	v_rndne_f32_e32 v27, v15
	v_cvt_i32_f32_e32 v21, v21
	v_fmac_f32_e32 v24, 0xb2a5705f, v10
	v_sub_f32_e32 v11, v11, v25
	v_add_f32_e32 v9, v9, v22
	v_exp_f32_e32 v8, v8
	v_cvt_i32_f32_e32 v23, v23
	v_fmac_f32_e32 v26, 0xb2a5705f, v14
	v_sub_f32_e32 v15, v15, v27
	v_add_f32_e32 v11, v11, v24
	v_exp_f32_e32 v9, v9
	v_cvt_i32_f32_e32 v25, v25
	v_add_f32_e32 v15, v15, v26
	v_exp_f32_e32 v11, v11
	v_cvt_i32_f32_e32 v27, v27
	v_exp_f32_e32 v15, v15
	v_ldexp_f32 v8, v8, v21
	v_cmp_nlt_f32_e32 vcc, s1, v1
	v_ldexp_f32 v9, v9, v23
	v_cndmask_b32_e32 v8, 0, v8, vcc
	v_cmp_nlt_f32_e32 vcc, s1, v6
	v_ldexp_f32 v11, v11, v25
	v_cndmask_b32_e32 v20, 0, v9, vcc
	;; [unrolled: 3-line block ×3, first 2 shown]
	v_cmp_nlt_f32_e32 vcc, s1, v14
	v_cndmask_b32_e32 v15, 0, v15, vcc
	v_cmp_ngt_f32_e32 vcc, s2, v1
	v_cndmask_b32_e32 v9, v7, v8, vcc
	v_cmp_ngt_f32_e32 vcc, s2, v6
	v_cndmask_b32_e32 v8, v7, v20, vcc
	v_pk_add_f32 v[8:9], v[8:9], 1.0 op_sel_hi:[1,0]
	v_cmp_ngt_f32_e32 vcc, s2, v10
	v_div_scale_f32 v1, s[0:1], v9, v9, 1.0
	v_cndmask_b32_e32 v11, v7, v11, vcc
	v_cmp_ngt_f32_e32 vcc, s2, v14
	v_div_scale_f32 v14, s[0:1], v8, v8, 1.0
	v_rcp_f32_e32 v20, v1
	v_rcp_f32_e32 v21, v14
	v_cndmask_b32_e32 v10, v7, v15, vcc
	v_pk_add_f32 v[10:11], v[10:11], 1.0 op_sel_hi:[1,0]
	v_fma_f32 v24, -v1, v20, 1.0
	v_div_scale_f32 v6, vcc, 1.0, v9, 1.0
	v_div_scale_f32 v15, s[0:1], v11, v11, 1.0
	v_fma_f32 v25, -v14, v21, 1.0
	v_fmac_f32_e32 v20, v24, v20
	v_div_scale_f32 v23, s[0:1], 1.0, v8, 1.0
	v_fmac_f32_e32 v21, v25, v21
	v_mul_f32_e32 v24, v6, v20
	v_rcp_f32_e32 v22, v15
	v_mul_f32_e32 v25, v23, v21
	v_fma_f32 v27, -v1, v24, v6
	v_fma_f32 v28, -v14, v25, v23
	v_fmac_f32_e32 v24, v27, v20
	v_fmac_f32_e32 v25, v28, v21
	v_fma_f32 v1, -v1, v24, v6
	v_fma_f32 v6, -v14, v25, v23
	v_div_fmas_f32 v1, v1, v20, v24
	s_mov_b64 vcc, s[0:1]
	v_fma_f32 v26, -v15, v22, 1.0
	v_div_fixup_f32 v9, v1, v9, 1.0
	v_div_fmas_f32 v1, v6, v21, v25
	v_div_fixup_f32 v8, v1, v8, 1.0
	v_fmac_f32_e32 v22, v26, v22
	v_div_scale_f32 v1, vcc, 1.0, v11, 1.0
	v_mul_f32_e32 v6, v1, v22
	v_fma_f32 v14, -v15, v6, v1
	v_fmac_f32_e32 v6, v14, v22
	v_div_scale_f32 v14, s[0:1], v10, v10, 1.0
	v_fma_f32 v1, -v15, v6, v1
	v_rcp_f32_e32 v15, v14
	v_div_fmas_f32 v1, v1, v22, v6
	v_div_fixup_f32 v11, v1, v11, 1.0
	v_fma_f32 v1, -v14, v15, 1.0
	v_fmac_f32_e32 v15, v1, v15
	v_div_scale_f32 v1, vcc, 1.0, v10, 1.0
	v_mul_f32_e32 v6, v1, v15
	v_fma_f32 v20, -v14, v6, v1
	v_fmac_f32_e32 v6, v20, v15
	v_fma_f32 v1, -v14, v6, v1
	v_div_fmas_f32 v1, v1, v15, v6
	v_cmp_lt_f32_e32 vcc, v4, v5
	v_div_fixup_f32 v10, v1, v10, 1.0
	v_cndmask_b32_e32 v1, v4, v5, vcc
	v_cmp_lt_f32_e64 s[0:1], v1, v2
	v_cndmask_b32_e64 v1, v1, v2, s[0:1]
	v_cmp_lt_f32_e64 s[2:3], v1, v3
	v_cndmask_b32_e64 v6, v1, v3, s[2:3]
	global_store_dwordx4 v[12:13], v[8:11], off
	s_cbranch_scc1 .LBB235_8
; %bb.5:
	v_cndmask_b32_e64 v1, 0, 1, vcc
	v_cndmask_b32_e64 v1, v1, 2, s[0:1]
	v_cndmask_b32_e64 v22, v1, 3, s[2:3]
	v_sub_f32_e32 v1, v6, v6
	v_mul_f32_e32 v9, 0x3fb8aa3b, v1
	s_mov_b32 s11, 0x3fb8aa3b
	v_rndne_f32_e32 v10, v9
	v_sub_f32_e32 v11, v9, v10
	v_fma_f32 v9, v1, s11, -v9
	v_fmac_f32_e32 v9, 0x32a5705f, v1
	v_add_f32_e32 v9, v11, v9
	v_exp_f32_e32 v9, v9
	v_cvt_i32_f32_e32 v10, v10
	v_mul_lo_u32 v8, v19, s18
	v_cmp_le_i32_e32 vcc, s9, v22
	v_cmp_gt_i32_e64 s[0:1], s10, v22
	s_mov_b32 s18, 0xc2ce8ed0
	s_and_b64 s[2:3], vcc, s[0:1]
	v_ldexp_f32 v9, v9, v10
	v_cmp_ngt_f32_e32 vcc, s18, v1
	s_mov_b32 s19, 0x42b17218
	s_load_dwordx4 s[4:7], s[4:5], 0x20
	v_cndmask_b32_e32 v9, 0, v9, vcc
	v_cmp_nlt_f32_e32 vcc, s19, v1
	v_ashrrev_i32_e32 v1, 31, v0
	v_lshlrev_b64 v[12:13], 2, v[0:1]
	v_cndmask_b32_e32 v16, v7, v9, vcc
	v_mov_b32_e32 v1, s13
	v_add_co_u32_e32 v14, vcc, s12, v12
	v_addc_co_u32_e64 v15, s[0:1], v1, v13, vcc
	v_ashrrev_i32_e32 v9, 31, v8
	v_subrev_u32_e32 v1, s9, v22
	s_and_b64 s[0:1], s[14:15], s[2:3]
	v_lshlrev_b64 v[10:11], 2, v[8:9]
	v_mul_lo_u32 v20, v19, s8
	v_cndmask_b32_e64 v1, 4, v1, s[0:1]
	s_waitcnt lgkmcnt(0)
	v_mov_b32_e32 v9, s5
	v_add_co_u32_e64 v8, s[0:1], s4, v10
	v_addc_co_u32_e64 v9, s[0:1], v9, v11, s[0:1]
	v_ashrrev_i32_e32 v21, 31, v20
	global_store_dword v[8:9], v1, off
	v_lshlrev_b64 v[8:9], 2, v[20:21]
	v_mov_b32_e32 v1, s7
	v_add_co_u32_e64 v20, s[0:1], s6, v8
	v_addc_co_u32_e64 v21, s[0:1], v1, v9, s[0:1]
	v_mov_b32_e32 v1, 0xff800000
	v_cmp_ne_u32_e64 s[0:1], 3, v22
	v_cndmask_b32_e64 v3, v1, v3, s[0:1]
	v_cmp_ne_u32_e64 s[0:1], 2, v22
	v_cndmask_b32_e64 v2, v1, v2, s[0:1]
	;; [unrolled: 2-line block ×3, first 2 shown]
	v_cmp_ne_u32_e64 s[0:1], 0, v22
	s_cmp_eq_u32 s8, 1
	v_cndmask_b32_e64 v4, v1, v4, s[0:1]
	global_store_dword v[14:15], v16, off
	global_store_dword v[20:21], v19, off
	s_cbranch_scc1 .LBB235_8
; %bb.6:
	v_mov_b32_e32 v12, s7
	v_add_co_u32_e64 v8, s[0:1], s6, v8
	v_addc_co_u32_e64 v9, s[0:1], v9, v12, s[0:1]
	v_add_co_u32_e64 v8, s[0:1], 4, v8
	v_addc_co_u32_e64 v9, s[0:1], 0, v9, s[0:1]
	v_mov_b32_e32 v12, s5
	v_add_co_u32_e64 v10, s[0:1], s4, v10
	v_addc_co_u32_e64 v11, s[0:1], v11, v12, s[0:1]
	v_mov_b32_e32 v12, s13
	v_addc_co_u32_e32 v13, vcc, v13, v12, vcc
	v_add_co_u32_e64 v10, s[0:1], 4, v10
	v_add_co_u32_e32 v12, vcc, 4, v14
	s_add_i32 s21, s21, s20
	v_addc_co_u32_e64 v11, s[0:1], 0, v11, s[0:1]
	v_addc_co_u32_e32 v13, vcc, 0, v13, vcc
	s_add_i32 s4, s8, -1
	v_add3_u32 v14, s21, v18, v17
	v_mov_b32_e32 v15, 0x7f800000
.LBB235_7:                              ; =>This Inner Loop Header: Depth=1
	v_cmp_gt_f32_e32 vcc, v5, v4
	v_cndmask_b32_e32 v17, v4, v5, vcc
	v_cmp_gt_f32_e64 s[0:1], v2, v17
	v_cndmask_b32_e64 v17, v17, v2, s[0:1]
	v_cndmask_b32_e64 v18, 0, 1, vcc
	v_cmp_gt_f32_e32 vcc, v3, v17
	v_cndmask_b32_e64 v18, v18, 2, s[0:1]
	v_cndmask_b32_e64 v18, v18, 3, vcc
	v_cndmask_b32_e32 v17, v17, v3, vcc
	v_cmp_ne_u32_e64 s[2:3], 3, v18
	v_sub_f32_e32 v17, v17, v6
	v_cndmask_b32_e64 v3, v1, v3, s[2:3]
	v_cmp_ne_u32_e64 s[2:3], 2, v18
	v_cmp_le_i32_e32 vcc, s9, v18
	v_cmp_gt_i32_e64 s[0:1], s10, v18
	v_mul_f32_e32 v19, 0x3fb8aa3b, v17
	v_cndmask_b32_e64 v2, v1, v2, s[2:3]
	v_cmp_ne_u32_e64 s[2:3], 1, v18
	v_subrev_u32_e32 v20, s9, v18
	v_cndmask_b32_e64 v5, v1, v5, s[2:3]
	v_cmp_ne_u32_e64 s[2:3], 0, v18
	s_and_b64 s[0:1], vcc, s[0:1]
	v_fma_f32 v18, v17, s11, -v19
	v_rndne_f32_e32 v21, v19
	v_fmac_f32_e32 v18, 0x32a5705f, v17
	v_sub_f32_e32 v19, v19, v21
	s_and_b64 vcc, s[14:15], s[0:1]
	v_cndmask_b32_e32 v20, 4, v20, vcc
	v_add_f32_e32 v18, v19, v18
	v_cvt_i32_f32_e32 v21, v21
	global_store_dword v[10:11], v20, off
	global_store_dword v[8:9], v14, off
	v_add_co_u32_e32 v8, vcc, 4, v8
	v_exp_f32_e32 v18, v18
	v_addc_co_u32_e32 v9, vcc, 0, v9, vcc
	v_add_co_u32_e32 v10, vcc, 4, v10
	v_addc_co_u32_e32 v11, vcc, 0, v11, vcc
	v_ldexp_f32 v18, v18, v21
	v_cmp_ngt_f32_e32 vcc, s18, v17
	v_cndmask_b32_e32 v18, 0, v18, vcc
	v_cmp_nlt_f32_e32 vcc, s19, v17
	v_cndmask_b32_e32 v17, v15, v18, vcc
	s_add_i32 s4, s4, -1
	global_store_dword v[12:13], v17, off
	v_add_co_u32_e32 v12, vcc, 4, v12
	v_cndmask_b32_e64 v4, v1, v4, s[2:3]
	v_add_u32_e32 v14, s20, v14
	s_cmp_eq_u32 s4, 0
	v_add_f32_e32 v16, v16, v17
	v_addc_co_u32_e32 v13, vcc, 0, v13, vcc
	s_cbranch_scc0 .LBB235_7
.LBB235_8:
	v_pk_add_f32 v[4:5], v[4:5], v[6:7] op_sel_hi:[1,0] neg_lo:[0,1] neg_hi:[0,1]
	s_mov_b32 s0, 0x3fb8aa3b
	v_mul_f32_e32 v1, 0x3fb8aa3b, v5
	v_fma_f32 v8, v5, s0, -v1
	v_rndne_f32_e32 v9, v1
	v_fmac_f32_e32 v8, 0x32a5705f, v5
	v_sub_f32_e32 v1, v1, v9
	v_add_f32_e32 v1, v1, v8
	v_exp_f32_e32 v1, v1
	v_cvt_i32_f32_e32 v8, v9
	s_mov_b32 s1, 0xc2ce8ed0
	v_cmp_ngt_f32_e32 vcc, s1, v5
	s_mov_b32 s2, 0x42b17218
	v_ldexp_f32 v1, v1, v8
	v_mul_f32_e32 v8, 0x3fb8aa3b, v4
	v_fma_f32 v9, v4, s0, -v8
	v_rndne_f32_e32 v10, v8
	v_fmac_f32_e32 v9, 0x32a5705f, v4
	v_sub_f32_e32 v8, v8, v10
	v_add_f32_e32 v8, v8, v9
	v_exp_f32_e32 v8, v8
	v_cvt_i32_f32_e32 v9, v10
	v_sub_f32_e32 v2, v2, v6
	v_cndmask_b32_e32 v1, 0, v1, vcc
	v_cmp_nlt_f32_e32 vcc, s2, v5
	v_ldexp_f32 v5, v8, v9
	v_mul_f32_e32 v8, 0x3fb8aa3b, v2
	v_fma_f32 v9, v2, s0, -v8
	v_rndne_f32_e32 v10, v8
	v_fmac_f32_e32 v9, 0x32a5705f, v2
	v_sub_f32_e32 v8, v8, v10
	v_add_f32_e32 v8, v8, v9
	v_exp_f32_e32 v8, v8
	v_cvt_i32_f32_e32 v9, v10
	v_cndmask_b32_e32 v1, v7, v1, vcc
	v_cmp_ngt_f32_e32 vcc, s1, v4
	v_cndmask_b32_e32 v5, 0, v5, vcc
	v_cmp_nlt_f32_e32 vcc, s2, v4
	v_sub_f32_e32 v3, v3, v6
	v_cndmask_b32_e32 v4, v7, v5, vcc
	v_mul_f32_e32 v5, 0x3fb8aa3b, v3
	v_add_f32_e32 v1, v4, v1
	v_ldexp_f32 v4, v8, v9
	v_fma_f32 v6, v3, s0, -v5
	v_rndne_f32_e32 v8, v5
	v_fmac_f32_e32 v6, 0x32a5705f, v3
	v_sub_f32_e32 v5, v5, v8
	v_add_f32_e32 v5, v5, v6
	v_exp_f32_e32 v5, v5
	v_cvt_i32_f32_e32 v6, v8
	v_cmp_ngt_f32_e32 vcc, s1, v2
	v_cndmask_b32_e32 v4, 0, v4, vcc
	v_cmp_nlt_f32_e32 vcc, s2, v2
	v_cndmask_b32_e32 v2, v7, v4, vcc
	v_add_f32_e32 v1, v1, v2
	v_ldexp_f32 v2, v5, v6
	v_cmp_ngt_f32_e32 vcc, s1, v3
	v_cndmask_b32_e32 v2, 0, v2, vcc
	v_cmp_nlt_f32_e32 vcc, s2, v3
	v_cndmask_b32_e32 v2, v7, v2, vcc
	v_add_f32_e32 v1, v1, v2
	v_add_f32_e32 v1, v16, v1
	v_cmp_neq_f32_e32 vcc, 0, v1
	s_and_b64 exec, exec, vcc
	s_cbranch_execz .LBB235_19
; %bb.9:
	s_andn2_b64 vcc, exec, s[16:17]
	s_cbranch_vccnz .LBB235_19
; %bb.10:
	v_div_scale_f32 v2, s[0:1], v1, v1, 1.0
	v_rcp_f32_e32 v3, v2
	v_div_scale_f32 v4, vcc, 1.0, v1, 1.0
	s_cmp_gt_u32 s8, 3
	v_fma_f32 v5, -v2, v3, 1.0
	v_fmac_f32_e32 v3, v5, v3
	v_mul_f32_e32 v5, v4, v3
	v_fma_f32 v6, -v2, v5, v4
	v_fmac_f32_e32 v5, v6, v3
	v_fma_f32 v2, -v2, v5, v4
	v_div_fmas_f32 v2, v2, v3, v5
	v_div_fixup_f32 v2, v2, v1, 1.0
	v_ashrrev_i32_e32 v1, 31, v0
	s_cbranch_scc0 .LBB235_14
; %bb.11:
	v_lshlrev_b64 v[4:5], 2, v[0:1]
	v_mov_b32_e32 v6, s13
	v_add_co_u32_e32 v4, vcc, s12, v4
	v_addc_co_u32_e32 v5, vcc, v5, v6, vcc
	s_and_b32 s4, s8, 0x7ffffffc
	v_add_co_u32_e32 v4, vcc, 8, v4
	v_mov_b32_e32 v3, v2
	v_addc_co_u32_e32 v5, vcc, 0, v5, vcc
	s_mov_b32 s0, s4
.LBB235_12:                             ; =>This Inner Loop Header: Depth=1
	global_load_dwordx4 v[6:9], v[4:5], off offset:-8
	s_add_i32 s0, s0, -4
	s_cmp_lg_u32 s0, 0
	s_waitcnt vmcnt(0)
	v_pk_mul_f32 v[6:7], v[2:3], v[6:7]
	v_pk_mul_f32 v[8:9], v[2:3], v[8:9]
	global_store_dwordx4 v[4:5], v[6:9], off offset:-8
	v_add_co_u32_e32 v4, vcc, 16, v4
	v_addc_co_u32_e32 v5, vcc, 0, v5, vcc
	s_cbranch_scc1 .LBB235_12
; %bb.13:
	s_cmp_lg_u32 s4, s8
	s_cselect_b64 s[0:1], -1, 0
	s_branch .LBB235_16
.LBB235_14:
	s_mov_b64 s[0:1], 0
                                        ; implicit-def: $sgpr4
	s_cbranch_execz .LBB235_16
; %bb.15:
	s_mov_b64 s[0:1], -1
	s_mov_b32 s4, 0
.LBB235_16:
	s_andn2_b64 vcc, exec, s[0:1]
	s_cbranch_vccnz .LBB235_19
; %bb.17:
	v_add_co_u32_e32 v0, vcc, s4, v0
	v_addc_co_u32_e32 v1, vcc, 0, v1, vcc
	v_lshlrev_b64 v[0:1], 2, v[0:1]
	v_mov_b32_e32 v3, s13
	v_add_co_u32_e32 v0, vcc, s12, v0
	s_sub_i32 s0, s8, s4
	v_addc_co_u32_e32 v1, vcc, v3, v1, vcc
.LBB235_18:                             ; =>This Inner Loop Header: Depth=1
	global_load_dword v3, v[0:1], off
	s_add_i32 s0, s0, -1
	s_cmp_lg_u32 s0, 0
	s_waitcnt vmcnt(0)
	v_mul_f32_e32 v3, v2, v3
	global_store_dword v[0:1], v3, off
	v_add_co_u32_e32 v0, vcc, 4, v0
	v_addc_co_u32_e32 v1, vcc, 0, v1, vcc
	s_cbranch_scc1 .LBB235_18
.LBB235_19:
	s_endpgm
	.section	.rodata,"a",@progbits
	.p2align	6, 0x0
	.amdhsa_kernel _ZN4vllm3moe17topkGatingSoftmaxItLi4ELi4ELi8ELi8ELb0ELi4ELNS0_23SharedExpertScoringFuncE1EEEvPKT_PKbPfiPiS9_iiiiii
		.amdhsa_group_segment_fixed_size 0
		.amdhsa_private_segment_fixed_size 0
		.amdhsa_kernarg_size 72
		.amdhsa_user_sgpr_count 6
		.amdhsa_user_sgpr_private_segment_buffer 1
		.amdhsa_user_sgpr_dispatch_ptr 0
		.amdhsa_user_sgpr_queue_ptr 0
		.amdhsa_user_sgpr_kernarg_segment_ptr 1
		.amdhsa_user_sgpr_dispatch_id 0
		.amdhsa_user_sgpr_flat_scratch_init 0
		.amdhsa_user_sgpr_kernarg_preload_length 0
		.amdhsa_user_sgpr_kernarg_preload_offset 0
		.amdhsa_user_sgpr_private_segment_size 0
		.amdhsa_uses_dynamic_stack 0
		.amdhsa_system_sgpr_private_segment_wavefront_offset 0
		.amdhsa_system_sgpr_workgroup_id_x 1
		.amdhsa_system_sgpr_workgroup_id_y 0
		.amdhsa_system_sgpr_workgroup_id_z 0
		.amdhsa_system_sgpr_workgroup_info 0
		.amdhsa_system_vgpr_workitem_id 1
		.amdhsa_next_free_vgpr 29
		.amdhsa_next_free_sgpr 22
		.amdhsa_accum_offset 32
		.amdhsa_reserve_vcc 1
		.amdhsa_reserve_flat_scratch 0
		.amdhsa_float_round_mode_32 0
		.amdhsa_float_round_mode_16_64 0
		.amdhsa_float_denorm_mode_32 3
		.amdhsa_float_denorm_mode_16_64 3
		.amdhsa_dx10_clamp 1
		.amdhsa_ieee_mode 1
		.amdhsa_fp16_overflow 0
		.amdhsa_tg_split 0
		.amdhsa_exception_fp_ieee_invalid_op 0
		.amdhsa_exception_fp_denorm_src 0
		.amdhsa_exception_fp_ieee_div_zero 0
		.amdhsa_exception_fp_ieee_overflow 0
		.amdhsa_exception_fp_ieee_underflow 0
		.amdhsa_exception_fp_ieee_inexact 0
		.amdhsa_exception_int_div_zero 0
	.end_amdhsa_kernel
	.section	.text._ZN4vllm3moe17topkGatingSoftmaxItLi4ELi4ELi8ELi8ELb0ELi4ELNS0_23SharedExpertScoringFuncE1EEEvPKT_PKbPfiPiS9_iiiiii,"axG",@progbits,_ZN4vllm3moe17topkGatingSoftmaxItLi4ELi4ELi8ELi8ELb0ELi4ELNS0_23SharedExpertScoringFuncE1EEEvPKT_PKbPfiPiS9_iiiiii,comdat
.Lfunc_end235:
	.size	_ZN4vllm3moe17topkGatingSoftmaxItLi4ELi4ELi8ELi8ELb0ELi4ELNS0_23SharedExpertScoringFuncE1EEEvPKT_PKbPfiPiS9_iiiiii, .Lfunc_end235-_ZN4vllm3moe17topkGatingSoftmaxItLi4ELi4ELi8ELi8ELb0ELi4ELNS0_23SharedExpertScoringFuncE1EEEvPKT_PKbPfiPiS9_iiiiii
                                        ; -- End function
	.section	.AMDGPU.csdata,"",@progbits
; Kernel info:
; codeLenInByte = 2404
; NumSgprs: 26
; NumVgprs: 29
; NumAgprs: 0
; TotalNumVgprs: 29
; ScratchSize: 0
; MemoryBound: 0
; FloatMode: 240
; IeeeMode: 1
; LDSByteSize: 0 bytes/workgroup (compile time only)
; SGPRBlocks: 3
; VGPRBlocks: 3
; NumSGPRsForWavesPerEU: 26
; NumVGPRsForWavesPerEU: 29
; AccumOffset: 32
; Occupancy: 8
; WaveLimiterHint : 0
; COMPUTE_PGM_RSRC2:SCRATCH_EN: 0
; COMPUTE_PGM_RSRC2:USER_SGPR: 6
; COMPUTE_PGM_RSRC2:TRAP_HANDLER: 0
; COMPUTE_PGM_RSRC2:TGID_X_EN: 1
; COMPUTE_PGM_RSRC2:TGID_Y_EN: 0
; COMPUTE_PGM_RSRC2:TGID_Z_EN: 0
; COMPUTE_PGM_RSRC2:TIDIG_COMP_CNT: 1
; COMPUTE_PGM_RSRC3_GFX90A:ACCUM_OFFSET: 7
; COMPUTE_PGM_RSRC3_GFX90A:TG_SPLIT: 0
	.section	.text._ZN4vllm3moe17topkGatingSoftmaxItLi4ELi4ELi8ELi8ELb1ELi8ELNS0_23SharedExpertScoringFuncE1EEEvPKT_PKbPfiPiS9_iiiiii,"axG",@progbits,_ZN4vllm3moe17topkGatingSoftmaxItLi4ELi4ELi8ELi8ELb1ELi8ELNS0_23SharedExpertScoringFuncE1EEEvPKT_PKbPfiPiS9_iiiiii,comdat
	.protected	_ZN4vllm3moe17topkGatingSoftmaxItLi4ELi4ELi8ELi8ELb1ELi8ELNS0_23SharedExpertScoringFuncE1EEEvPKT_PKbPfiPiS9_iiiiii ; -- Begin function _ZN4vllm3moe17topkGatingSoftmaxItLi4ELi4ELi8ELi8ELb1ELi8ELNS0_23SharedExpertScoringFuncE1EEEvPKT_PKbPfiPiS9_iiiiii
	.globl	_ZN4vllm3moe17topkGatingSoftmaxItLi4ELi4ELi8ELi8ELb1ELi8ELNS0_23SharedExpertScoringFuncE1EEEvPKT_PKbPfiPiS9_iiiiii
	.p2align	8
	.type	_ZN4vllm3moe17topkGatingSoftmaxItLi4ELi4ELi8ELi8ELb1ELi8ELNS0_23SharedExpertScoringFuncE1EEEvPKT_PKbPfiPiS9_iiiiii,@function
_ZN4vllm3moe17topkGatingSoftmaxItLi4ELi4ELi8ELi8ELb1ELi8ELNS0_23SharedExpertScoringFuncE1EEEvPKT_PKbPfiPiS9_iiiiii: ; @_ZN4vllm3moe17topkGatingSoftmaxItLi4ELi4ELi8ELi8ELb1ELi8ELNS0_23SharedExpertScoringFuncE1EEEvPKT_PKbPfiPiS9_iiiiii
; %bb.0:
	s_load_dword s20, s[4:5], 0x18
	v_bfe_u32 v1, v0, 10, 10
	s_lshl_b32 s21, s6, 9
	v_lshlrev_b32_e32 v15, 6, v1
	v_and_b32_e32 v16, 0x3ff, v0
	v_add3_u32 v17, v15, v16, s21
	s_waitcnt lgkmcnt(0)
	v_cmp_gt_i32_e32 vcc, s20, v17
	s_and_saveexec_b64 s[0:1], vcc
	s_cbranch_execz .LBB236_19
; %bb.1:
	s_load_dwordx4 s[0:3], s[4:5], 0x0
	s_load_dwordx2 s[12:13], s[4:5], 0x10
	s_waitcnt lgkmcnt(0)
	s_cmp_eq_u64 s[2:3], 0
	s_cbranch_scc1 .LBB236_3
; %bb.2:
	v_ashrrev_i32_e32 v1, 31, v17
	v_mov_b32_e32 v2, s3
	v_add_co_u32_e32 v0, vcc, s2, v17
	v_addc_co_u32_e32 v1, vcc, v2, v1, vcc
	global_load_ubyte v0, v[0:1], off
	s_waitcnt vmcnt(0)
	v_and_b32_e32 v0, 1, v0
	v_cmp_eq_u32_e32 vcc, 1, v0
	s_xor_b64 s[2:3], vcc, -1
	s_orn2_b64 s[14:15], s[2:3], exec
	s_branch .LBB236_4
.LBB236_3:
	s_mov_b64 s[14:15], -1
.LBB236_4:
	s_load_dwordx2 s[16:17], s[4:5], 0x40
	s_load_dwordx4 s[8:11], s[4:5], 0x30
	v_mov_b32_e32 v2, s1
	v_mov_b32_e32 v10, s13
	s_mov_b32 s7, 0xbfb8aa3b
	s_waitcnt lgkmcnt(0)
	v_mul_lo_u32 v0, v17, s17
	v_ashrrev_i32_e32 v1, 31, v0
	v_lshlrev_b64 v[0:1], 1, v[0:1]
	v_add_co_u32_e32 v8, vcc, s0, v0
	v_addc_co_u32_e32 v9, vcc, v2, v1, vcc
	global_load_dwordx4 v[0:3], v[8:9], off
	global_load_dwordx2 v[12:13], v[8:9], off offset:16
	v_mul_lo_u32 v4, v17, s11
	v_add_u32_e32 v6, s8, v4
	v_ashrrev_i32_e32 v7, 31, v6
	v_lshlrev_b64 v[6:7], 2, v[6:7]
	v_add_co_u32_e32 v6, vcc, s12, v6
	v_addc_co_u32_e32 v7, vcc, v10, v7, vcc
	s_mov_b32 s6, 0x42ce8ed0
	s_mov_b32 s17, 0xc2b17218
	v_mov_b32_e32 v5, 0x7f800000
	s_cmp_gt_i32 s8, 0
	v_mov_b32_e32 v14, 0
	s_cselect_b64 s[18:19], -1, 0
	s_cmp_lt_i32 s8, 1
	s_waitcnt vmcnt(1)
	v_cvt_f32_u32_sdwa v8, v2 dst_sel:DWORD dst_unused:UNUSED_PAD src0_sel:WORD_1
	v_cvt_f32_u32_sdwa v2, v2 dst_sel:DWORD dst_unused:UNUSED_PAD src0_sel:WORD_0
	v_cvt_f32_u32_sdwa v9, v3 dst_sel:DWORD dst_unused:UNUSED_PAD src0_sel:WORD_1
	v_cvt_f32_u32_sdwa v10, v3 dst_sel:DWORD dst_unused:UNUSED_PAD src0_sel:WORD_0
	v_mul_f32_e32 v3, 0xbfb8aa3b, v8
	v_mul_f32_e32 v11, 0xbfb8aa3b, v2
	v_fma_f32 v20, v8, s7, -v3
	v_rndne_f32_e32 v21, v3
	v_mul_f32_e32 v18, 0xbfb8aa3b, v9
	v_fma_f32 v22, v2, s7, -v11
	v_rndne_f32_e32 v23, v11
	v_fmac_f32_e32 v20, 0xb2a5705f, v8
	v_sub_f32_e32 v3, v3, v21
	v_mul_f32_e32 v19, 0xbfb8aa3b, v10
	v_fma_f32 v24, v9, s7, -v18
	v_rndne_f32_e32 v25, v18
	v_fmac_f32_e32 v22, 0xb2a5705f, v2
	v_sub_f32_e32 v11, v11, v23
	v_add_f32_e32 v3, v3, v20
	v_fma_f32 v26, v10, s7, -v19
	v_rndne_f32_e32 v27, v19
	v_cvt_i32_f32_e32 v21, v21
	v_fmac_f32_e32 v24, 0xb2a5705f, v9
	v_sub_f32_e32 v18, v18, v25
	v_add_f32_e32 v11, v11, v22
	v_exp_f32_e32 v3, v3
	v_cvt_i32_f32_e32 v23, v23
	v_fmac_f32_e32 v26, 0xb2a5705f, v10
	v_sub_f32_e32 v19, v19, v27
	v_add_f32_e32 v18, v18, v24
	v_exp_f32_e32 v11, v11
	v_cvt_i32_f32_e32 v25, v25
	v_add_f32_e32 v19, v19, v26
	v_exp_f32_e32 v18, v18
	v_cvt_i32_f32_e32 v27, v27
	v_exp_f32_e32 v19, v19
	v_ldexp_f32 v3, v3, v21
	v_cmp_nlt_f32_e32 vcc, s6, v8
	v_ldexp_f32 v11, v11, v23
	v_cndmask_b32_e32 v3, 0, v3, vcc
	v_cmp_nlt_f32_e32 vcc, s6, v2
	v_ldexp_f32 v18, v18, v25
	v_cndmask_b32_e32 v11, 0, v11, vcc
	v_cmp_nlt_f32_e32 vcc, s6, v9
	v_ldexp_f32 v19, v19, v27
	v_cndmask_b32_e32 v18, 0, v18, vcc
	v_cmp_nlt_f32_e32 vcc, s6, v10
	v_cndmask_b32_e32 v19, 0, v19, vcc
	v_cmp_ngt_f32_e32 vcc, s17, v8
	v_cndmask_b32_e32 v3, v5, v3, vcc
	v_cmp_ngt_f32_e32 vcc, s17, v2
	;; [unrolled: 2-line block ×4, first 2 shown]
	v_cndmask_b32_e32 v8, v5, v19, vcc
	v_pk_add_f32 v[2:3], v[2:3], 1.0 op_sel_hi:[1,0]
	v_pk_add_f32 v[10:11], v[8:9], 1.0 op_sel_hi:[1,0]
	v_div_scale_f32 v8, s[0:1], v3, v3, 1.0
	v_div_scale_f32 v18, s[0:1], v2, v2, 1.0
	v_rcp_f32_e32 v21, v8
	v_div_scale_f32 v20, s[2:3], v11, v11, 1.0
	v_rcp_f32_e32 v22, v18
	v_rcp_f32_e32 v23, v20
	v_fma_f32 v25, -v8, v21, 1.0
	v_div_scale_f32 v9, vcc, 1.0, v3, 1.0
	v_fma_f32 v26, -v18, v22, 1.0
	v_fmac_f32_e32 v21, v25, v21
	v_div_scale_f32 v19, s[0:1], 1.0, v2, 1.0
	v_fma_f32 v27, -v20, v23, 1.0
	v_fmac_f32_e32 v22, v26, v22
	v_mul_f32_e32 v25, v9, v21
	v_fmac_f32_e32 v23, v27, v23
	v_mul_f32_e32 v26, v19, v22
	v_fma_f32 v27, -v8, v25, v9
	v_fma_f32 v28, -v18, v26, v19
	v_fmac_f32_e32 v25, v27, v21
	v_fmac_f32_e32 v26, v28, v22
	v_fma_f32 v8, -v8, v25, v9
	v_fma_f32 v18, -v18, v26, v19
	v_div_fmas_f32 v8, v8, v21, v25
	s_mov_b64 vcc, s[0:1]
	v_div_scale_f32 v24, s[2:3], 1.0, v11, 1.0
	v_div_fixup_f32 v9, v8, v3, 1.0
	v_div_fmas_f32 v3, v18, v22, v26
	v_div_fixup_f32 v8, v3, v2, 1.0
	v_mul_f32_e32 v2, v24, v23
	v_div_scale_f32 v18, s[0:1], v10, v10, 1.0
	v_fma_f32 v3, -v20, v2, v24
	v_rcp_f32_e32 v19, v18
	v_fmac_f32_e32 v2, v3, v23
	v_fma_f32 v3, -v20, v2, v24
	s_mov_b64 vcc, s[2:3]
	v_div_fmas_f32 v2, v3, v23, v2
	v_div_fixup_f32 v11, v2, v11, 1.0
	v_fma_f32 v2, -v18, v19, 1.0
	v_fmac_f32_e32 v19, v2, v19
	s_waitcnt vmcnt(0)
	v_cvt_f32_u32_sdwa v2, v12 dst_sel:DWORD dst_unused:UNUSED_PAD src0_sel:WORD_1
	v_cvt_f32_u32_sdwa v12, v12 dst_sel:DWORD dst_unused:UNUSED_PAD src0_sel:WORD_0
	v_div_scale_f32 v3, vcc, 1.0, v10, 1.0
	v_mul_f32_e32 v22, 0xbfb8aa3b, v2
	v_fma_f32 v23, v2, s7, -v22
	v_rndne_f32_e32 v24, v22
	v_fmac_f32_e32 v23, 0xb2a5705f, v2
	v_sub_f32_e32 v22, v22, v24
	v_add_f32_e32 v22, v22, v23
	v_exp_f32_e32 v22, v22
	v_cvt_i32_f32_e32 v23, v24
	v_mul_f32_e32 v20, v3, v19
	v_fma_f32 v21, -v18, v20, v3
	v_fmac_f32_e32 v20, v21, v19
	v_mul_f32_e32 v21, 0xbfb8aa3b, v12
	v_fma_f32 v18, -v18, v20, v3
	v_ldexp_f32 v3, v22, v23
	v_fma_f32 v22, v12, s7, -v21
	v_rndne_f32_e32 v23, v21
	v_fmac_f32_e32 v22, 0xb2a5705f, v12
	v_sub_f32_e32 v21, v21, v23
	v_add_f32_e32 v21, v21, v22
	v_exp_f32_e32 v21, v21
	v_cvt_i32_f32_e32 v22, v23
	v_cmp_nlt_f32_e64 s[0:1], s6, v2
	v_cndmask_b32_e64 v3, 0, v3, s[0:1]
	v_cmp_ngt_f32_e64 s[0:1], s17, v2
	v_cndmask_b32_e64 v3, v5, v3, s[0:1]
	v_ldexp_f32 v2, v21, v22
	v_cmp_nlt_f32_e64 s[0:1], s6, v12
	v_cndmask_b32_e64 v2, 0, v2, s[0:1]
	v_cmp_ngt_f32_e64 s[0:1], s17, v12
	v_cndmask_b32_e64 v2, v5, v2, s[0:1]
	v_pk_add_f32 v[2:3], v[2:3], 1.0 op_sel_hi:[1,0]
	v_div_scale_f32 v12, s[0:1], v3, v3, 1.0
	v_rcp_f32_e32 v21, v12
	v_div_fmas_f32 v18, v18, v19, v20
	v_div_fixup_f32 v10, v18, v10, 1.0
	global_store_dwordx4 v[6:7], v[8:11], off
	s_nop 0
	v_fma_f32 v8, -v12, v21, 1.0
	v_fmac_f32_e32 v21, v8, v21
	v_div_scale_f32 v8, vcc, 1.0, v3, 1.0
	v_mul_f32_e32 v9, v8, v21
	v_fma_f32 v10, -v12, v9, v8
	v_fmac_f32_e32 v9, v10, v21
	v_div_scale_f32 v10, s[0:1], v2, v2, 1.0
	v_fma_f32 v8, -v12, v9, v8
	v_rcp_f32_e32 v12, v10
	v_div_fmas_f32 v8, v8, v21, v9
	v_div_fixup_f32 v9, v8, v3, 1.0
	v_div_scale_f32 v8, vcc, 1.0, v2, 1.0
	v_fma_f32 v3, -v10, v12, 1.0
	v_fmac_f32_e32 v12, v3, v12
	v_cvt_f32_u32_sdwa v3, v13 dst_sel:DWORD dst_unused:UNUSED_PAD src0_sel:WORD_1
	v_cvt_f32_u32_sdwa v13, v13 dst_sel:DWORD dst_unused:UNUSED_PAD src0_sel:WORD_0
	v_mul_f32_e32 v18, v8, v12
	v_fma_f32 v11, -v10, v18, v8
	v_mul_f32_e32 v19, 0xbfb8aa3b, v3
	v_fma_f32 v20, v3, s7, -v19
	v_rndne_f32_e32 v21, v19
	v_fmac_f32_e32 v20, 0xb2a5705f, v3
	v_sub_f32_e32 v19, v19, v21
	v_add_f32_e32 v19, v19, v20
	v_exp_f32_e32 v19, v19
	v_cvt_i32_f32_e32 v20, v21
	v_fmac_f32_e32 v18, v11, v12
	v_mul_f32_e32 v11, 0xbfb8aa3b, v13
	v_fma_f32 v8, -v10, v18, v8
	v_ldexp_f32 v10, v19, v20
	v_fma_f32 v19, v13, s7, -v11
	v_rndne_f32_e32 v20, v11
	v_fmac_f32_e32 v19, 0xb2a5705f, v13
	v_sub_f32_e32 v11, v11, v20
	v_add_f32_e32 v11, v11, v19
	v_exp_f32_e32 v19, v11
	v_cvt_i32_f32_e32 v20, v20
	v_cmp_nlt_f32_e64 s[0:1], s6, v3
	v_cndmask_b32_e64 v10, 0, v10, s[0:1]
	v_cmp_ngt_f32_e64 s[0:1], s17, v3
	v_cndmask_b32_e64 v11, v5, v10, s[0:1]
	v_ldexp_f32 v3, v19, v20
	v_cmp_nlt_f32_e64 s[0:1], s6, v13
	v_cndmask_b32_e64 v3, 0, v3, s[0:1]
	v_cmp_ngt_f32_e64 s[0:1], s17, v13
	v_cndmask_b32_e64 v10, v5, v3, s[0:1]
	v_pk_add_f32 v[10:11], v[10:11], 1.0 op_sel_hi:[1,0]
	v_div_scale_f32 v3, s[0:1], v11, v11, 1.0
	v_rcp_f32_e32 v13, v3
	v_div_fmas_f32 v8, v8, v12, v18
	v_div_fixup_f32 v8, v8, v2, 1.0
	v_fma_f32 v2, -v3, v13, 1.0
	v_fmac_f32_e32 v13, v2, v13
	v_div_scale_f32 v2, vcc, 1.0, v11, 1.0
	v_mul_f32_e32 v12, v2, v13
	v_fma_f32 v18, -v3, v12, v2
	v_fmac_f32_e32 v12, v18, v13
	v_fma_f32 v2, -v3, v12, v2
	v_div_scale_f32 v3, s[0:1], v10, v10, 1.0
	v_rcp_f32_e32 v18, v3
	v_div_fmas_f32 v2, v2, v13, v12
	v_div_fixup_f32 v11, v2, v11, 1.0
	v_fma_f32 v2, -v3, v18, 1.0
	v_fmac_f32_e32 v18, v2, v18
	v_div_scale_f32 v2, vcc, 1.0, v10, 1.0
	v_mul_f32_e32 v12, v2, v18
	v_fma_f32 v13, -v3, v12, v2
	v_fmac_f32_e32 v12, v13, v18
	v_fma_f32 v2, -v3, v12, v2
	v_div_fmas_f32 v2, v2, v18, v12
	v_div_fixup_f32 v10, v2, v10, 1.0
	global_store_dwordx4 v[6:7], v[8:11], off offset:16
	s_cbranch_scc1 .LBB236_8
; %bb.5:
	v_cvt_f32_u32_sdwa v19, v0 dst_sel:DWORD dst_unused:UNUSED_PAD src0_sel:WORD_1
	v_cvt_f32_u32_sdwa v0, v0 dst_sel:DWORD dst_unused:UNUSED_PAD src0_sel:WORD_0
	v_cvt_f32_u32_sdwa v2, v1 dst_sel:DWORD dst_unused:UNUSED_PAD src0_sel:WORD_1
	v_cvt_f32_u32_sdwa v1, v1 dst_sel:DWORD dst_unused:UNUSED_PAD src0_sel:WORD_0
	s_mov_b32 s11, 0x3fb8aa3b
	v_cmp_lt_f32_e32 vcc, v0, v19
	v_cndmask_b32_e32 v6, v0, v19, vcc
	v_cndmask_b32_e64 v3, 0, 1, vcc
	v_cmp_lt_f32_e32 vcc, v6, v1
	v_cndmask_b32_e32 v6, v6, v1, vcc
	v_cndmask_b32_e64 v3, v3, 2, vcc
	;; [unrolled: 3-line block ×3, first 2 shown]
	v_sub_f32_e32 v3, v18, v18
	v_mul_f32_e32 v7, 0x3fb8aa3b, v3
	v_fma_f32 v8, v3, s11, -v7
	v_rndne_f32_e32 v9, v7
	v_fmac_f32_e32 v8, 0x32a5705f, v3
	v_sub_f32_e32 v7, v7, v9
	v_add_f32_e32 v7, v7, v8
	v_exp_f32_e32 v7, v7
	v_cvt_i32_f32_e32 v8, v9
	v_mul_lo_u32 v6, v17, s16
	v_cmp_le_i32_e32 vcc, s9, v20
	v_cmp_gt_i32_e64 s[0:1], s10, v20
	s_mov_b32 s16, 0xc2ce8ed0
	s_and_b64 s[2:3], vcc, s[0:1]
	v_ldexp_f32 v7, v7, v8
	v_cmp_ngt_f32_e32 vcc, s16, v3
	s_mov_b32 s17, 0x42b17218
	v_cndmask_b32_e32 v7, 0, v7, vcc
	v_cmp_nlt_f32_e32 vcc, s17, v3
	s_load_dwordx4 s[4:7], s[4:5], 0x20
	v_cndmask_b32_e32 v14, v5, v7, vcc
	v_ashrrev_i32_e32 v5, 31, v4
	v_lshlrev_b64 v[10:11], 2, v[4:5]
	v_mov_b32_e32 v3, s13
	v_add_co_u32_e32 v12, vcc, s12, v10
	v_addc_co_u32_e64 v13, s[0:1], v3, v11, vcc
	v_ashrrev_i32_e32 v7, 31, v6
	v_subrev_u32_e32 v3, s9, v20
	s_and_b64 s[0:1], s[14:15], s[2:3]
	v_lshlrev_b64 v[8:9], 2, v[6:7]
	v_mul_lo_u32 v22, v17, s8
	v_cndmask_b32_e64 v3, 4, v3, s[0:1]
	s_waitcnt lgkmcnt(0)
	v_mov_b32_e32 v5, s5
	v_add_co_u32_e64 v6, s[0:1], s4, v8
	v_addc_co_u32_e64 v7, s[0:1], v5, v9, s[0:1]
	v_ashrrev_i32_e32 v23, 31, v22
	global_store_dword v[6:7], v3, off
	v_lshlrev_b64 v[6:7], 2, v[22:23]
	v_mov_b32_e32 v3, s7
	v_add_co_u32_e64 v22, s[0:1], s6, v6
	v_addc_co_u32_e64 v23, s[0:1], v3, v7, s[0:1]
	s_cmp_eq_u32 s8, 1
	global_store_dword v[12:13], v14, off
	global_store_dword v[22:23], v17, off
	s_cbranch_scc1 .LBB236_8
; %bb.6:
	v_mov_b32_e32 v5, 0xff800000
	v_cmp_ne_u32_e64 s[0:1], 3, v20
	v_cndmask_b32_e64 v3, v5, v2, s[0:1]
	v_cmp_ne_u32_e64 s[0:1], 2, v20
	v_cndmask_b32_e64 v2, v5, v1, s[0:1]
	;; [unrolled: 2-line block ×4, first 2 shown]
	v_mov_b32_e32 v10, s7
	v_add_co_u32_e64 v6, s[0:1], s6, v6
	v_addc_co_u32_e64 v7, s[0:1], v7, v10, s[0:1]
	v_add_co_u32_e64 v6, s[0:1], 4, v6
	v_addc_co_u32_e64 v7, s[0:1], 0, v7, s[0:1]
	v_mov_b32_e32 v10, s5
	v_add_co_u32_e64 v8, s[0:1], s4, v8
	v_addc_co_u32_e64 v9, s[0:1], v9, v10, s[0:1]
	v_mov_b32_e32 v10, s13
	v_addc_co_u32_e32 v11, vcc, v11, v10, vcc
	v_add_co_u32_e64 v8, s[0:1], 4, v8
	v_add_co_u32_e32 v10, vcc, 4, v12
	s_add_i32 s21, s21, s20
	v_addc_co_u32_e64 v9, s[0:1], 0, v9, s[0:1]
	v_addc_co_u32_e32 v11, vcc, 0, v11, vcc
	s_add_i32 s4, s8, -1
	v_add3_u32 v12, s21, v16, v15
	v_mov_b32_e32 v13, 0x7f800000
.LBB236_7:                              ; =>This Inner Loop Header: Depth=1
	v_cmp_gt_f32_e32 vcc, v1, v0
	v_cndmask_b32_e32 v15, v0, v1, vcc
	v_cmp_gt_f32_e64 s[0:1], v2, v15
	v_cndmask_b32_e64 v15, v15, v2, s[0:1]
	v_cndmask_b32_e64 v16, 0, 1, vcc
	v_cmp_gt_f32_e32 vcc, v3, v15
	v_cndmask_b32_e64 v16, v16, 2, s[0:1]
	v_cndmask_b32_e64 v16, v16, 3, vcc
	v_cndmask_b32_e32 v15, v15, v3, vcc
	v_cmp_ne_u32_e64 s[2:3], 3, v16
	v_sub_f32_e32 v15, v15, v18
	v_cndmask_b32_e64 v3, v5, v3, s[2:3]
	v_cmp_ne_u32_e64 s[2:3], 2, v16
	v_cmp_le_i32_e32 vcc, s9, v16
	v_cmp_gt_i32_e64 s[0:1], s10, v16
	v_mul_f32_e32 v17, 0x3fb8aa3b, v15
	v_cndmask_b32_e64 v2, v5, v2, s[2:3]
	v_cmp_ne_u32_e64 s[2:3], 1, v16
	v_subrev_u32_e32 v19, s9, v16
	v_cndmask_b32_e64 v1, v5, v1, s[2:3]
	v_cmp_ne_u32_e64 s[2:3], 0, v16
	s_and_b64 s[0:1], vcc, s[0:1]
	v_fma_f32 v16, v15, s11, -v17
	v_rndne_f32_e32 v20, v17
	v_fmac_f32_e32 v16, 0x32a5705f, v15
	v_sub_f32_e32 v17, v17, v20
	s_and_b64 vcc, s[14:15], s[0:1]
	v_cndmask_b32_e32 v19, 4, v19, vcc
	v_add_f32_e32 v16, v17, v16
	v_cvt_i32_f32_e32 v20, v20
	global_store_dword v[8:9], v19, off
	global_store_dword v[6:7], v12, off
	v_add_co_u32_e32 v6, vcc, 4, v6
	v_exp_f32_e32 v16, v16
	v_addc_co_u32_e32 v7, vcc, 0, v7, vcc
	v_add_co_u32_e32 v8, vcc, 4, v8
	v_addc_co_u32_e32 v9, vcc, 0, v9, vcc
	v_ldexp_f32 v16, v16, v20
	v_cmp_ngt_f32_e32 vcc, s16, v15
	v_cndmask_b32_e32 v16, 0, v16, vcc
	v_cmp_nlt_f32_e32 vcc, s17, v15
	v_cndmask_b32_e32 v15, v13, v16, vcc
	s_add_i32 s4, s4, -1
	global_store_dword v[10:11], v15, off
	v_add_co_u32_e32 v10, vcc, 4, v10
	v_cndmask_b32_e64 v0, v5, v0, s[2:3]
	v_add_u32_e32 v12, s20, v12
	s_cmp_eq_u32 s4, 0
	v_add_f32_e32 v14, v14, v15
	v_addc_co_u32_e32 v11, vcc, 0, v11, vcc
	s_cbranch_scc0 .LBB236_7
.LBB236_8:
	v_cmp_neq_f32_e32 vcc, 0, v14
	s_and_b64 exec, exec, vcc
	s_cbranch_execz .LBB236_19
; %bb.9:
	s_andn2_b64 vcc, exec, s[18:19]
	s_cbranch_vccnz .LBB236_19
; %bb.10:
	v_div_scale_f32 v0, s[0:1], v14, v14, 1.0
	v_rcp_f32_e32 v1, v0
	v_div_scale_f32 v2, vcc, 1.0, v14, 1.0
	s_cmp_gt_u32 s8, 3
	v_fma_f32 v3, -v0, v1, 1.0
	v_fmac_f32_e32 v1, v3, v1
	v_mul_f32_e32 v3, v2, v1
	v_fma_f32 v5, -v0, v3, v2
	v_fmac_f32_e32 v3, v5, v1
	v_fma_f32 v0, -v0, v3, v2
	v_div_fmas_f32 v0, v0, v1, v3
	v_div_fixup_f32 v0, v0, v14, 1.0
	v_ashrrev_i32_e32 v5, 31, v4
	s_cbranch_scc0 .LBB236_14
; %bb.11:
	v_lshlrev_b64 v[2:3], 2, v[4:5]
	v_mov_b32_e32 v6, s13
	v_add_co_u32_e32 v2, vcc, s12, v2
	v_addc_co_u32_e32 v3, vcc, v3, v6, vcc
	s_and_b32 s4, s8, 0x7ffffffc
	v_add_co_u32_e32 v2, vcc, 8, v2
	v_mov_b32_e32 v1, v0
	v_addc_co_u32_e32 v3, vcc, 0, v3, vcc
	s_mov_b32 s0, s4
.LBB236_12:                             ; =>This Inner Loop Header: Depth=1
	global_load_dwordx4 v[6:9], v[2:3], off offset:-8
	s_add_i32 s0, s0, -4
	s_cmp_lg_u32 s0, 0
	s_waitcnt vmcnt(0)
	v_pk_mul_f32 v[6:7], v[0:1], v[6:7]
	v_pk_mul_f32 v[8:9], v[0:1], v[8:9]
	global_store_dwordx4 v[2:3], v[6:9], off offset:-8
	v_add_co_u32_e32 v2, vcc, 16, v2
	v_addc_co_u32_e32 v3, vcc, 0, v3, vcc
	s_cbranch_scc1 .LBB236_12
; %bb.13:
	s_cmp_lg_u32 s4, s8
	s_cselect_b64 s[0:1], -1, 0
	s_branch .LBB236_16
.LBB236_14:
	s_mov_b64 s[0:1], 0
                                        ; implicit-def: $sgpr4
	s_cbranch_execz .LBB236_16
; %bb.15:
	s_mov_b64 s[0:1], -1
	s_mov_b32 s4, 0
.LBB236_16:
	s_andn2_b64 vcc, exec, s[0:1]
	s_cbranch_vccnz .LBB236_19
; %bb.17:
	v_add_co_u32_e32 v2, vcc, s4, v4
	v_addc_co_u32_e32 v3, vcc, 0, v5, vcc
	v_lshlrev_b64 v[2:3], 2, v[2:3]
	v_mov_b32_e32 v1, s13
	v_add_co_u32_e32 v2, vcc, s12, v2
	s_sub_i32 s0, s8, s4
	v_addc_co_u32_e32 v3, vcc, v1, v3, vcc
.LBB236_18:                             ; =>This Inner Loop Header: Depth=1
	global_load_dword v1, v[2:3], off
	s_add_i32 s0, s0, -1
	s_cmp_lg_u32 s0, 0
	s_waitcnt vmcnt(0)
	v_mul_f32_e32 v1, v0, v1
	global_store_dword v[2:3], v1, off
	v_add_co_u32_e32 v2, vcc, 4, v2
	v_addc_co_u32_e32 v3, vcc, 0, v3, vcc
	s_cbranch_scc1 .LBB236_18
.LBB236_19:
	s_endpgm
	.section	.rodata,"a",@progbits
	.p2align	6, 0x0
	.amdhsa_kernel _ZN4vllm3moe17topkGatingSoftmaxItLi4ELi4ELi8ELi8ELb1ELi8ELNS0_23SharedExpertScoringFuncE1EEEvPKT_PKbPfiPiS9_iiiiii
		.amdhsa_group_segment_fixed_size 0
		.amdhsa_private_segment_fixed_size 0
		.amdhsa_kernarg_size 72
		.amdhsa_user_sgpr_count 6
		.amdhsa_user_sgpr_private_segment_buffer 1
		.amdhsa_user_sgpr_dispatch_ptr 0
		.amdhsa_user_sgpr_queue_ptr 0
		.amdhsa_user_sgpr_kernarg_segment_ptr 1
		.amdhsa_user_sgpr_dispatch_id 0
		.amdhsa_user_sgpr_flat_scratch_init 0
		.amdhsa_user_sgpr_kernarg_preload_length 0
		.amdhsa_user_sgpr_kernarg_preload_offset 0
		.amdhsa_user_sgpr_private_segment_size 0
		.amdhsa_uses_dynamic_stack 0
		.amdhsa_system_sgpr_private_segment_wavefront_offset 0
		.amdhsa_system_sgpr_workgroup_id_x 1
		.amdhsa_system_sgpr_workgroup_id_y 0
		.amdhsa_system_sgpr_workgroup_id_z 0
		.amdhsa_system_sgpr_workgroup_info 0
		.amdhsa_system_vgpr_workitem_id 1
		.amdhsa_next_free_vgpr 29
		.amdhsa_next_free_sgpr 22
		.amdhsa_accum_offset 32
		.amdhsa_reserve_vcc 1
		.amdhsa_reserve_flat_scratch 0
		.amdhsa_float_round_mode_32 0
		.amdhsa_float_round_mode_16_64 0
		.amdhsa_float_denorm_mode_32 3
		.amdhsa_float_denorm_mode_16_64 3
		.amdhsa_dx10_clamp 1
		.amdhsa_ieee_mode 1
		.amdhsa_fp16_overflow 0
		.amdhsa_tg_split 0
		.amdhsa_exception_fp_ieee_invalid_op 0
		.amdhsa_exception_fp_denorm_src 0
		.amdhsa_exception_fp_ieee_div_zero 0
		.amdhsa_exception_fp_ieee_overflow 0
		.amdhsa_exception_fp_ieee_underflow 0
		.amdhsa_exception_fp_ieee_inexact 0
		.amdhsa_exception_int_div_zero 0
	.end_amdhsa_kernel
	.section	.text._ZN4vllm3moe17topkGatingSoftmaxItLi4ELi4ELi8ELi8ELb1ELi8ELNS0_23SharedExpertScoringFuncE1EEEvPKT_PKbPfiPiS9_iiiiii,"axG",@progbits,_ZN4vllm3moe17topkGatingSoftmaxItLi4ELi4ELi8ELi8ELb1ELi8ELNS0_23SharedExpertScoringFuncE1EEEvPKT_PKbPfiPiS9_iiiiii,comdat
.Lfunc_end236:
	.size	_ZN4vllm3moe17topkGatingSoftmaxItLi4ELi4ELi8ELi8ELb1ELi8ELNS0_23SharedExpertScoringFuncE1EEEvPKT_PKbPfiPiS9_iiiiii, .Lfunc_end236-_ZN4vllm3moe17topkGatingSoftmaxItLi4ELi4ELi8ELi8ELb1ELi8ELNS0_23SharedExpertScoringFuncE1EEEvPKT_PKbPfiPiS9_iiiiii
                                        ; -- End function
	.section	.AMDGPU.csdata,"",@progbits
; Kernel info:
; codeLenInByte = 2760
; NumSgprs: 26
; NumVgprs: 29
; NumAgprs: 0
; TotalNumVgprs: 29
; ScratchSize: 0
; MemoryBound: 0
; FloatMode: 240
; IeeeMode: 1
; LDSByteSize: 0 bytes/workgroup (compile time only)
; SGPRBlocks: 3
; VGPRBlocks: 3
; NumSGPRsForWavesPerEU: 26
; NumVGPRsForWavesPerEU: 29
; AccumOffset: 32
; Occupancy: 8
; WaveLimiterHint : 0
; COMPUTE_PGM_RSRC2:SCRATCH_EN: 0
; COMPUTE_PGM_RSRC2:USER_SGPR: 6
; COMPUTE_PGM_RSRC2:TRAP_HANDLER: 0
; COMPUTE_PGM_RSRC2:TGID_X_EN: 1
; COMPUTE_PGM_RSRC2:TGID_Y_EN: 0
; COMPUTE_PGM_RSRC2:TGID_Z_EN: 0
; COMPUTE_PGM_RSRC2:TIDIG_COMP_CNT: 1
; COMPUTE_PGM_RSRC3_GFX90A:ACCUM_OFFSET: 7
; COMPUTE_PGM_RSRC3_GFX90A:TG_SPLIT: 0
	.section	.text._ZN4vllm3moe17topkGatingSoftmaxItLi4ELi4ELi8ELi8ELb0ELi8ELNS0_23SharedExpertScoringFuncE1EEEvPKT_PKbPfiPiS9_iiiiii,"axG",@progbits,_ZN4vllm3moe17topkGatingSoftmaxItLi4ELi4ELi8ELi8ELb0ELi8ELNS0_23SharedExpertScoringFuncE1EEEvPKT_PKbPfiPiS9_iiiiii,comdat
	.protected	_ZN4vllm3moe17topkGatingSoftmaxItLi4ELi4ELi8ELi8ELb0ELi8ELNS0_23SharedExpertScoringFuncE1EEEvPKT_PKbPfiPiS9_iiiiii ; -- Begin function _ZN4vllm3moe17topkGatingSoftmaxItLi4ELi4ELi8ELi8ELb0ELi8ELNS0_23SharedExpertScoringFuncE1EEEvPKT_PKbPfiPiS9_iiiiii
	.globl	_ZN4vllm3moe17topkGatingSoftmaxItLi4ELi4ELi8ELi8ELb0ELi8ELNS0_23SharedExpertScoringFuncE1EEEvPKT_PKbPfiPiS9_iiiiii
	.p2align	8
	.type	_ZN4vllm3moe17topkGatingSoftmaxItLi4ELi4ELi8ELi8ELb0ELi8ELNS0_23SharedExpertScoringFuncE1EEEvPKT_PKbPfiPiS9_iiiiii,@function
_ZN4vllm3moe17topkGatingSoftmaxItLi4ELi4ELi8ELi8ELb0ELi8ELNS0_23SharedExpertScoringFuncE1EEEvPKT_PKbPfiPiS9_iiiiii: ; @_ZN4vllm3moe17topkGatingSoftmaxItLi4ELi4ELi8ELi8ELb0ELi8ELNS0_23SharedExpertScoringFuncE1EEEvPKT_PKbPfiPiS9_iiiiii
; %bb.0:
	s_load_dword s20, s[4:5], 0x18
	v_bfe_u32 v1, v0, 10, 10
	s_lshl_b32 s21, s6, 9
	v_lshlrev_b32_e32 v18, 6, v1
	v_and_b32_e32 v19, 0x3ff, v0
	v_add3_u32 v20, v18, v19, s21
	s_waitcnt lgkmcnt(0)
	v_cmp_gt_i32_e32 vcc, s20, v20
	s_and_saveexec_b64 s[0:1], vcc
	s_cbranch_execz .LBB237_19
; %bb.1:
	s_load_dwordx4 s[0:3], s[4:5], 0x0
	s_load_dwordx2 s[12:13], s[4:5], 0x10
	s_waitcnt lgkmcnt(0)
	s_cmp_eq_u64 s[2:3], 0
	s_cbranch_scc1 .LBB237_3
; %bb.2:
	v_ashrrev_i32_e32 v1, 31, v20
	v_mov_b32_e32 v2, s3
	v_add_co_u32_e32 v0, vcc, s2, v20
	v_addc_co_u32_e32 v1, vcc, v2, v1, vcc
	global_load_ubyte v0, v[0:1], off
	s_waitcnt vmcnt(0)
	v_and_b32_e32 v0, 1, v0
	v_cmp_eq_u32_e32 vcc, 1, v0
	s_xor_b64 s[2:3], vcc, -1
	s_orn2_b64 s[14:15], s[2:3], exec
	s_branch .LBB237_4
.LBB237_3:
	s_mov_b64 s[14:15], -1
.LBB237_4:
	s_load_dwordx2 s[16:17], s[4:5], 0x40
	s_load_dwordx4 s[8:11], s[4:5], 0x30
	v_mov_b32_e32 v3, s1
	s_mov_b32 s3, 0xbfb8aa3b
	s_mov_b32 s2, 0x42ce8ed0
	s_waitcnt lgkmcnt(0)
	v_mul_lo_u32 v0, v20, s17
	v_ashrrev_i32_e32 v1, 31, v0
	v_lshlrev_b64 v[0:1], 1, v[0:1]
	v_add_co_u32_e32 v2, vcc, s0, v0
	v_addc_co_u32_e32 v3, vcc, v3, v1, vcc
	global_load_dwordx4 v[8:11], v[2:3], off
	global_load_dwordx2 v[12:13], v[2:3], off offset:16
	v_mul_lo_u32 v0, v20, s11
	v_add_u32_e32 v4, s8, v0
	v_ashrrev_i32_e32 v5, 31, v4
	v_lshlrev_b64 v[4:5], 2, v[4:5]
	v_mov_b32_e32 v1, s13
	v_add_co_u32_e32 v6, vcc, s12, v4
	v_addc_co_u32_e32 v7, vcc, v1, v5, vcc
	s_mov_b32 s6, 0xc2b17218
	v_mov_b32_e32 v16, 0x7f800000
	s_cmp_gt_i32 s8, 0
	v_mov_b32_e32 v17, 0
	s_waitcnt vmcnt(1)
	v_cvt_f32_u32_sdwa v1, v10 dst_sel:DWORD dst_unused:UNUSED_PAD src0_sel:WORD_1
	v_cvt_f32_u32_sdwa v5, v8 dst_sel:DWORD dst_unused:UNUSED_PAD src0_sel:WORD_1
	v_cvt_f32_u32_sdwa v4, v8 dst_sel:DWORD dst_unused:UNUSED_PAD src0_sel:WORD_0
	v_cvt_f32_u32_sdwa v8, v10 dst_sel:DWORD dst_unused:UNUSED_PAD src0_sel:WORD_0
	v_cvt_f32_u32_sdwa v10, v11 dst_sel:DWORD dst_unused:UNUSED_PAD src0_sel:WORD_1
	v_cvt_f32_u32_sdwa v14, v11 dst_sel:DWORD dst_unused:UNUSED_PAD src0_sel:WORD_0
	v_cvt_f32_u32_sdwa v3, v9 dst_sel:DWORD dst_unused:UNUSED_PAD src0_sel:WORD_1
	v_cvt_f32_u32_sdwa v2, v9 dst_sel:DWORD dst_unused:UNUSED_PAD src0_sel:WORD_0
	v_mul_f32_e32 v9, 0xbfb8aa3b, v1
	v_mul_f32_e32 v11, 0xbfb8aa3b, v8
	v_fma_f32 v22, v1, s3, -v9
	v_rndne_f32_e32 v23, v9
	v_mul_f32_e32 v15, 0xbfb8aa3b, v10
	v_fma_f32 v24, v8, s3, -v11
	v_rndne_f32_e32 v25, v11
	v_fmac_f32_e32 v22, 0xb2a5705f, v1
	v_sub_f32_e32 v9, v9, v23
	v_mul_f32_e32 v21, 0xbfb8aa3b, v14
	v_fma_f32 v26, v10, s3, -v15
	v_rndne_f32_e32 v27, v15
	v_fmac_f32_e32 v24, 0xb2a5705f, v8
	v_sub_f32_e32 v11, v11, v25
	v_add_f32_e32 v9, v9, v22
	v_fma_f32 v28, v14, s3, -v21
	v_rndne_f32_e32 v29, v21
	v_cvt_i32_f32_e32 v23, v23
	v_fmac_f32_e32 v26, 0xb2a5705f, v10
	v_sub_f32_e32 v15, v15, v27
	v_add_f32_e32 v11, v11, v24
	v_exp_f32_e32 v9, v9
	v_cvt_i32_f32_e32 v25, v25
	v_fmac_f32_e32 v28, 0xb2a5705f, v14
	v_sub_f32_e32 v21, v21, v29
	v_add_f32_e32 v15, v15, v26
	v_exp_f32_e32 v11, v11
	v_cvt_i32_f32_e32 v27, v27
	v_add_f32_e32 v21, v21, v28
	v_exp_f32_e32 v15, v15
	v_cvt_i32_f32_e32 v29, v29
	v_exp_f32_e32 v21, v21
	v_ldexp_f32 v9, v9, v23
	v_cmp_nlt_f32_e32 vcc, s2, v1
	v_ldexp_f32 v11, v11, v25
	v_cndmask_b32_e32 v9, 0, v9, vcc
	v_cmp_nlt_f32_e32 vcc, s2, v8
	v_ldexp_f32 v15, v15, v27
	v_cndmask_b32_e32 v11, 0, v11, vcc
	;; [unrolled: 3-line block ×3, first 2 shown]
	v_cmp_nlt_f32_e32 vcc, s2, v14
	v_cndmask_b32_e32 v21, 0, v21, vcc
	v_cmp_ngt_f32_e32 vcc, s6, v1
	v_cndmask_b32_e32 v9, v16, v9, vcc
	v_cmp_ngt_f32_e32 vcc, s6, v8
	v_cndmask_b32_e32 v8, v16, v11, vcc
	v_pk_add_f32 v[8:9], v[8:9], 1.0 op_sel_hi:[1,0]
	v_cmp_ngt_f32_e32 vcc, s6, v10
	v_div_scale_f32 v1, s[0:1], v9, v9, 1.0
	v_cndmask_b32_e32 v11, v16, v15, vcc
	v_div_scale_f32 v15, s[0:1], v8, v8, 1.0
	v_rcp_f32_e32 v22, v1
	v_rcp_f32_e32 v23, v15
	v_cmp_ngt_f32_e32 vcc, s6, v14
	v_cndmask_b32_e32 v10, v16, v21, vcc
	v_fma_f32 v26, -v1, v22, 1.0
	v_div_scale_f32 v14, vcc, 1.0, v9, 1.0
	v_fma_f32 v27, -v15, v23, 1.0
	v_fmac_f32_e32 v22, v26, v22
	v_pk_add_f32 v[10:11], v[10:11], 1.0 op_sel_hi:[1,0]
	v_div_scale_f32 v21, s[0:1], 1.0, v8, 1.0
	v_fmac_f32_e32 v23, v27, v23
	v_mul_f32_e32 v26, v14, v22
	v_div_scale_f32 v24, s[18:19], v11, v11, 1.0
	v_mul_f32_e32 v27, v21, v23
	v_fma_f32 v28, -v1, v26, v14
	v_rcp_f32_e32 v25, v24
	v_fma_f32 v29, -v15, v27, v21
	v_fmac_f32_e32 v26, v28, v22
	v_fmac_f32_e32 v27, v29, v23
	v_fma_f32 v1, -v1, v26, v14
	v_fma_f32 v14, -v15, v27, v21
	v_div_fmas_f32 v1, v1, v22, v26
	s_mov_b64 vcc, s[0:1]
	v_div_fixup_f32 v9, v1, v9, 1.0
	v_div_fmas_f32 v1, v14, v23, v27
	v_div_fixup_f32 v8, v1, v8, 1.0
	v_fma_f32 v1, -v24, v25, 1.0
	v_fmac_f32_e32 v25, v1, v25
	v_div_scale_f32 v1, vcc, 1.0, v11, 1.0
	v_mul_f32_e32 v14, v1, v25
	v_fma_f32 v15, -v24, v14, v1
	v_fmac_f32_e32 v14, v15, v25
	v_div_scale_f32 v15, s[0:1], v10, v10, 1.0
	v_rcp_f32_e32 v21, v15
	v_fma_f32 v1, -v24, v14, v1
	v_div_fmas_f32 v1, v1, v25, v14
	v_div_fixup_f32 v11, v1, v11, 1.0
	v_fma_f32 v1, -v15, v21, 1.0
	v_fmac_f32_e32 v21, v1, v21
	s_waitcnt vmcnt(0)
	v_cvt_f32_u32_sdwa v1, v12 dst_sel:DWORD dst_unused:UNUSED_PAD src0_sel:WORD_1
	v_div_scale_f32 v14, vcc, 1.0, v10, 1.0
	v_cvt_f32_u32_sdwa v12, v12 dst_sel:DWORD dst_unused:UNUSED_PAD src0_sel:WORD_0
	v_mul_f32_e32 v24, 0xbfb8aa3b, v1
	v_fma_f32 v25, v1, s3, -v24
	v_rndne_f32_e32 v26, v24
	v_fmac_f32_e32 v25, 0xb2a5705f, v1
	v_sub_f32_e32 v24, v24, v26
	v_add_f32_e32 v24, v24, v25
	v_mul_f32_e32 v22, v14, v21
	v_exp_f32_e32 v24, v24
	v_cvt_i32_f32_e32 v25, v26
	v_fma_f32 v23, -v15, v22, v14
	v_fmac_f32_e32 v22, v23, v21
	v_fma_f32 v23, -v15, v22, v14
	v_mul_f32_e32 v15, 0xbfb8aa3b, v12
	v_ldexp_f32 v14, v24, v25
	v_fma_f32 v24, v12, s3, -v15
	v_rndne_f32_e32 v25, v15
	v_fmac_f32_e32 v24, 0xb2a5705f, v12
	v_sub_f32_e32 v15, v15, v25
	v_add_f32_e32 v15, v15, v24
	v_exp_f32_e32 v24, v15
	v_cvt_i32_f32_e32 v25, v25
	v_cmp_nlt_f32_e64 s[0:1], s2, v1
	v_cndmask_b32_e64 v14, 0, v14, s[0:1]
	v_cmp_ngt_f32_e64 s[0:1], s6, v1
	v_cndmask_b32_e64 v15, v16, v14, s[0:1]
	v_ldexp_f32 v1, v24, v25
	v_cmp_nlt_f32_e64 s[0:1], s2, v12
	v_cndmask_b32_e64 v1, 0, v1, s[0:1]
	v_cmp_ngt_f32_e64 s[0:1], s6, v12
	v_cndmask_b32_e64 v14, v16, v1, s[0:1]
	v_pk_add_f32 v[14:15], v[14:15], 1.0 op_sel_hi:[1,0]
	v_div_scale_f32 v1, s[0:1], v15, v15, 1.0
	v_rcp_f32_e32 v12, v1
	v_div_fmas_f32 v21, v23, v21, v22
	v_div_fixup_f32 v10, v21, v10, 1.0
	global_store_dwordx4 v[6:7], v[8:11], off
	s_cselect_b64 s[18:19], -1, 0
	v_fma_f32 v8, -v1, v12, 1.0
	v_fmac_f32_e32 v12, v8, v12
	v_div_scale_f32 v8, vcc, 1.0, v15, 1.0
	v_mul_f32_e32 v9, v8, v12
	v_fma_f32 v10, -v1, v9, v8
	v_fmac_f32_e32 v9, v10, v12
	v_fma_f32 v1, -v1, v9, v8
	v_div_scale_f32 v8, s[0:1], v14, v14, 1.0
	v_rcp_f32_e32 v21, v8
	v_div_fmas_f32 v1, v1, v12, v9
	v_div_fixup_f32 v9, v1, v15, 1.0
	v_div_scale_f32 v10, vcc, 1.0, v14, 1.0
	v_fma_f32 v1, -v8, v21, 1.0
	v_fmac_f32_e32 v21, v1, v21
	v_cvt_f32_u32_sdwa v1, v13 dst_sel:DWORD dst_unused:UNUSED_PAD src0_sel:WORD_1
	v_cvt_f32_u32_sdwa v13, v13 dst_sel:DWORD dst_unused:UNUSED_PAD src0_sel:WORD_0
	v_mul_f32_e32 v12, v10, v21
	v_fma_f32 v11, -v8, v12, v10
	v_mul_f32_e32 v15, 0xbfb8aa3b, v1
	v_fma_f32 v22, v1, s3, -v15
	v_rndne_f32_e32 v23, v15
	v_fmac_f32_e32 v22, 0xb2a5705f, v1
	v_sub_f32_e32 v15, v15, v23
	v_add_f32_e32 v15, v15, v22
	v_exp_f32_e32 v15, v15
	v_cvt_i32_f32_e32 v22, v23
	v_fmac_f32_e32 v12, v11, v21
	v_mul_f32_e32 v11, 0xbfb8aa3b, v13
	v_fma_f32 v8, -v8, v12, v10
	v_ldexp_f32 v10, v15, v22
	v_fma_f32 v15, v13, s3, -v11
	v_rndne_f32_e32 v22, v11
	v_fmac_f32_e32 v15, 0xb2a5705f, v13
	v_sub_f32_e32 v11, v11, v22
	v_add_f32_e32 v11, v11, v15
	v_exp_f32_e32 v15, v11
	v_cvt_i32_f32_e32 v22, v22
	v_cmp_nlt_f32_e64 s[0:1], s2, v1
	v_cndmask_b32_e64 v10, 0, v10, s[0:1]
	v_cmp_ngt_f32_e64 s[0:1], s6, v1
	v_cndmask_b32_e64 v11, v16, v10, s[0:1]
	v_ldexp_f32 v1, v15, v22
	v_cmp_nlt_f32_e64 s[0:1], s2, v13
	v_cndmask_b32_e64 v1, 0, v1, s[0:1]
	v_cmp_ngt_f32_e64 s[0:1], s6, v13
	v_cndmask_b32_e64 v10, v16, v1, s[0:1]
	v_pk_add_f32 v[10:11], v[10:11], 1.0 op_sel_hi:[1,0]
	v_div_scale_f32 v1, s[0:1], v11, v11, 1.0
	v_rcp_f32_e32 v13, v1
	v_div_fmas_f32 v8, v8, v21, v12
	v_div_fixup_f32 v8, v8, v14, 1.0
	s_cmp_lt_i32 s8, 1
	v_fma_f32 v12, -v1, v13, 1.0
	v_fmac_f32_e32 v13, v12, v13
	v_div_scale_f32 v12, vcc, 1.0, v11, 1.0
	v_mul_f32_e32 v14, v12, v13
	v_fma_f32 v15, -v1, v14, v12
	v_fmac_f32_e32 v14, v15, v13
	v_fma_f32 v1, -v1, v14, v12
	v_div_scale_f32 v12, s[0:1], v10, v10, 1.0
	v_rcp_f32_e32 v15, v12
	v_div_fmas_f32 v1, v1, v13, v14
	v_div_fixup_f32 v11, v1, v11, 1.0
	v_fma_f32 v1, -v12, v15, 1.0
	v_fmac_f32_e32 v15, v1, v15
	v_div_scale_f32 v1, vcc, 1.0, v10, 1.0
	v_mul_f32_e32 v13, v1, v15
	v_fma_f32 v14, -v12, v13, v1
	v_fmac_f32_e32 v13, v14, v15
	v_fma_f32 v1, -v12, v13, v1
	v_div_fmas_f32 v1, v1, v15, v13
	v_cmp_lt_f32_e32 vcc, v4, v5
	v_div_fixup_f32 v10, v1, v10, 1.0
	v_cndmask_b32_e32 v1, v4, v5, vcc
	v_cmp_lt_f32_e64 s[0:1], v1, v2
	v_cndmask_b32_e64 v1, v1, v2, s[0:1]
	v_cmp_lt_f32_e64 s[2:3], v1, v3
	global_store_dwordx4 v[6:7], v[8:11], off offset:16
	v_cndmask_b32_e64 v6, v1, v3, s[2:3]
	s_cbranch_scc1 .LBB237_8
; %bb.5:
	v_cndmask_b32_e64 v1, 0, 1, vcc
	v_cndmask_b32_e64 v1, v1, 2, s[0:1]
	v_cndmask_b32_e64 v7, v1, 3, s[2:3]
	v_sub_f32_e32 v1, v6, v6
	v_mul_f32_e32 v9, 0x3fb8aa3b, v1
	s_mov_b32 s11, 0x3fb8aa3b
	v_rndne_f32_e32 v10, v9
	v_sub_f32_e32 v11, v9, v10
	v_fma_f32 v9, v1, s11, -v9
	v_fmac_f32_e32 v9, 0x32a5705f, v1
	v_add_f32_e32 v9, v11, v9
	v_exp_f32_e32 v9, v9
	v_cvt_i32_f32_e32 v10, v10
	v_mul_lo_u32 v8, v20, s16
	v_cmp_le_i32_e32 vcc, s9, v7
	v_cmp_gt_i32_e64 s[0:1], s10, v7
	s_mov_b32 s16, 0xc2ce8ed0
	s_and_b64 s[2:3], vcc, s[0:1]
	v_ldexp_f32 v9, v9, v10
	v_cmp_ngt_f32_e32 vcc, s16, v1
	s_mov_b32 s17, 0x42b17218
	s_load_dwordx4 s[4:7], s[4:5], 0x20
	v_cndmask_b32_e32 v9, 0, v9, vcc
	v_cmp_nlt_f32_e32 vcc, s17, v1
	v_ashrrev_i32_e32 v1, 31, v0
	v_lshlrev_b64 v[12:13], 2, v[0:1]
	v_cndmask_b32_e32 v17, v16, v9, vcc
	v_mov_b32_e32 v1, s13
	v_add_co_u32_e32 v14, vcc, s12, v12
	v_addc_co_u32_e64 v15, s[0:1], v1, v13, vcc
	v_ashrrev_i32_e32 v9, 31, v8
	v_subrev_u32_e32 v1, s9, v7
	s_and_b64 s[0:1], s[14:15], s[2:3]
	v_lshlrev_b64 v[10:11], 2, v[8:9]
	v_mul_lo_u32 v22, v20, s8
	v_cndmask_b32_e64 v1, 4, v1, s[0:1]
	s_waitcnt lgkmcnt(0)
	v_mov_b32_e32 v9, s5
	v_add_co_u32_e64 v8, s[0:1], s4, v10
	v_addc_co_u32_e64 v9, s[0:1], v9, v11, s[0:1]
	v_ashrrev_i32_e32 v23, 31, v22
	global_store_dword v[8:9], v1, off
	v_lshlrev_b64 v[8:9], 2, v[22:23]
	v_mov_b32_e32 v1, s7
	v_add_co_u32_e64 v22, s[0:1], s6, v8
	v_addc_co_u32_e64 v23, s[0:1], v1, v9, s[0:1]
	v_mov_b32_e32 v1, 0xff800000
	v_cmp_ne_u32_e64 s[0:1], 3, v7
	v_cndmask_b32_e64 v3, v1, v3, s[0:1]
	v_cmp_ne_u32_e64 s[0:1], 2, v7
	v_cndmask_b32_e64 v2, v1, v2, s[0:1]
	;; [unrolled: 2-line block ×3, first 2 shown]
	v_cmp_ne_u32_e64 s[0:1], 0, v7
	s_cmp_eq_u32 s8, 1
	v_cndmask_b32_e64 v4, v1, v4, s[0:1]
	global_store_dword v[14:15], v17, off
	global_store_dword v[22:23], v20, off
	s_cbranch_scc1 .LBB237_8
; %bb.6:
	v_mov_b32_e32 v7, s7
	v_add_co_u32_e64 v8, s[0:1], s6, v8
	v_addc_co_u32_e64 v7, s[0:1], v9, v7, s[0:1]
	v_add_co_u32_e64 v8, s[0:1], 4, v8
	v_addc_co_u32_e64 v9, s[0:1], 0, v7, s[0:1]
	v_mov_b32_e32 v7, s5
	v_add_co_u32_e64 v10, s[0:1], s4, v10
	v_addc_co_u32_e64 v7, s[0:1], v11, v7, s[0:1]
	v_add_co_u32_e64 v10, s[0:1], 4, v10
	v_addc_co_u32_e64 v11, s[0:1], 0, v7, s[0:1]
	v_mov_b32_e32 v7, s13
	v_addc_co_u32_e32 v7, vcc, v13, v7, vcc
	v_add_co_u32_e32 v12, vcc, 4, v14
	s_add_i32 s21, s21, s20
	v_addc_co_u32_e32 v13, vcc, 0, v7, vcc
	s_add_i32 s4, s8, -1
	v_add3_u32 v7, s21, v19, v18
	v_mov_b32_e32 v14, 0x7f800000
.LBB237_7:                              ; =>This Inner Loop Header: Depth=1
	v_cmp_gt_f32_e32 vcc, v5, v4
	v_cndmask_b32_e32 v15, v4, v5, vcc
	v_cmp_gt_f32_e64 s[0:1], v2, v15
	v_cndmask_b32_e64 v15, v15, v2, s[0:1]
	v_cndmask_b32_e64 v18, 0, 1, vcc
	v_cmp_gt_f32_e32 vcc, v3, v15
	v_cndmask_b32_e64 v18, v18, 2, s[0:1]
	v_cndmask_b32_e64 v18, v18, 3, vcc
	v_cndmask_b32_e32 v15, v15, v3, vcc
	v_cmp_ne_u32_e64 s[2:3], 3, v18
	v_sub_f32_e32 v15, v15, v6
	v_cndmask_b32_e64 v3, v1, v3, s[2:3]
	v_cmp_ne_u32_e64 s[2:3], 2, v18
	v_cmp_le_i32_e32 vcc, s9, v18
	v_cmp_gt_i32_e64 s[0:1], s10, v18
	v_mul_f32_e32 v19, 0x3fb8aa3b, v15
	v_cndmask_b32_e64 v2, v1, v2, s[2:3]
	v_cmp_ne_u32_e64 s[2:3], 1, v18
	v_subrev_u32_e32 v20, s9, v18
	v_cndmask_b32_e64 v5, v1, v5, s[2:3]
	v_cmp_ne_u32_e64 s[2:3], 0, v18
	s_and_b64 s[0:1], vcc, s[0:1]
	v_fma_f32 v18, v15, s11, -v19
	v_rndne_f32_e32 v21, v19
	v_fmac_f32_e32 v18, 0x32a5705f, v15
	v_sub_f32_e32 v19, v19, v21
	s_and_b64 vcc, s[14:15], s[0:1]
	v_cndmask_b32_e32 v20, 4, v20, vcc
	v_add_f32_e32 v18, v19, v18
	v_cvt_i32_f32_e32 v21, v21
	global_store_dword v[10:11], v20, off
	global_store_dword v[8:9], v7, off
	v_add_co_u32_e32 v8, vcc, 4, v8
	v_exp_f32_e32 v18, v18
	v_addc_co_u32_e32 v9, vcc, 0, v9, vcc
	v_add_co_u32_e32 v10, vcc, 4, v10
	v_addc_co_u32_e32 v11, vcc, 0, v11, vcc
	v_ldexp_f32 v18, v18, v21
	v_cmp_ngt_f32_e32 vcc, s16, v15
	v_cndmask_b32_e32 v18, 0, v18, vcc
	v_cmp_nlt_f32_e32 vcc, s17, v15
	v_cndmask_b32_e32 v15, v14, v18, vcc
	s_add_i32 s4, s4, -1
	global_store_dword v[12:13], v15, off
	v_add_co_u32_e32 v12, vcc, 4, v12
	v_cndmask_b32_e64 v4, v1, v4, s[2:3]
	v_add_u32_e32 v7, s20, v7
	s_cmp_eq_u32 s4, 0
	v_add_f32_e32 v17, v17, v15
	v_addc_co_u32_e32 v13, vcc, 0, v13, vcc
	s_cbranch_scc0 .LBB237_7
.LBB237_8:
	v_pk_add_f32 v[4:5], v[4:5], v[6:7] op_sel_hi:[1,0] neg_lo:[0,1] neg_hi:[0,1]
	s_mov_b32 s0, 0x3fb8aa3b
	v_mul_f32_e32 v1, 0x3fb8aa3b, v5
	v_fma_f32 v7, v5, s0, -v1
	v_rndne_f32_e32 v8, v1
	v_fmac_f32_e32 v7, 0x32a5705f, v5
	v_sub_f32_e32 v1, v1, v8
	v_add_f32_e32 v1, v1, v7
	v_exp_f32_e32 v1, v1
	v_cvt_i32_f32_e32 v7, v8
	s_mov_b32 s1, 0xc2ce8ed0
	v_cmp_ngt_f32_e32 vcc, s1, v5
	s_mov_b32 s2, 0x42b17218
	v_ldexp_f32 v1, v1, v7
	v_mul_f32_e32 v7, 0x3fb8aa3b, v4
	v_fma_f32 v8, v4, s0, -v7
	v_rndne_f32_e32 v9, v7
	v_fmac_f32_e32 v8, 0x32a5705f, v4
	v_sub_f32_e32 v7, v7, v9
	v_add_f32_e32 v7, v7, v8
	v_exp_f32_e32 v7, v7
	v_cvt_i32_f32_e32 v8, v9
	v_sub_f32_e32 v2, v2, v6
	v_cndmask_b32_e32 v1, 0, v1, vcc
	v_cmp_nlt_f32_e32 vcc, s2, v5
	v_ldexp_f32 v5, v7, v8
	v_mul_f32_e32 v7, 0x3fb8aa3b, v2
	v_fma_f32 v8, v2, s0, -v7
	v_rndne_f32_e32 v9, v7
	v_fmac_f32_e32 v8, 0x32a5705f, v2
	v_sub_f32_e32 v7, v7, v9
	v_add_f32_e32 v7, v7, v8
	v_exp_f32_e32 v7, v7
	v_cvt_i32_f32_e32 v8, v9
	v_cndmask_b32_e32 v1, v16, v1, vcc
	v_cmp_ngt_f32_e32 vcc, s1, v4
	v_cndmask_b32_e32 v5, 0, v5, vcc
	v_cmp_nlt_f32_e32 vcc, s2, v4
	v_sub_f32_e32 v3, v3, v6
	v_cndmask_b32_e32 v4, v16, v5, vcc
	v_mul_f32_e32 v5, 0x3fb8aa3b, v3
	v_add_f32_e32 v1, v4, v1
	v_ldexp_f32 v4, v7, v8
	v_fma_f32 v6, v3, s0, -v5
	v_rndne_f32_e32 v7, v5
	v_fmac_f32_e32 v6, 0x32a5705f, v3
	v_sub_f32_e32 v5, v5, v7
	v_add_f32_e32 v5, v5, v6
	v_exp_f32_e32 v5, v5
	v_cvt_i32_f32_e32 v6, v7
	v_cmp_ngt_f32_e32 vcc, s1, v2
	v_cndmask_b32_e32 v4, 0, v4, vcc
	v_cmp_nlt_f32_e32 vcc, s2, v2
	v_cndmask_b32_e32 v2, v16, v4, vcc
	v_add_f32_e32 v1, v1, v2
	v_ldexp_f32 v2, v5, v6
	v_cmp_ngt_f32_e32 vcc, s1, v3
	v_cndmask_b32_e32 v2, 0, v2, vcc
	v_cmp_nlt_f32_e32 vcc, s2, v3
	v_cndmask_b32_e32 v2, v16, v2, vcc
	v_add_f32_e32 v1, v1, v2
	v_add_f32_e32 v1, v17, v1
	v_cmp_neq_f32_e32 vcc, 0, v1
	s_and_b64 exec, exec, vcc
	s_cbranch_execz .LBB237_19
; %bb.9:
	s_andn2_b64 vcc, exec, s[18:19]
	s_cbranch_vccnz .LBB237_19
; %bb.10:
	v_div_scale_f32 v2, s[0:1], v1, v1, 1.0
	v_rcp_f32_e32 v3, v2
	v_div_scale_f32 v4, vcc, 1.0, v1, 1.0
	s_cmp_gt_u32 s8, 3
	v_fma_f32 v5, -v2, v3, 1.0
	v_fmac_f32_e32 v3, v5, v3
	v_mul_f32_e32 v5, v4, v3
	v_fma_f32 v6, -v2, v5, v4
	v_fmac_f32_e32 v5, v6, v3
	v_fma_f32 v2, -v2, v5, v4
	v_div_fmas_f32 v2, v2, v3, v5
	v_div_fixup_f32 v2, v2, v1, 1.0
	v_ashrrev_i32_e32 v1, 31, v0
	s_cbranch_scc0 .LBB237_14
; %bb.11:
	v_lshlrev_b64 v[4:5], 2, v[0:1]
	v_mov_b32_e32 v6, s13
	v_add_co_u32_e32 v4, vcc, s12, v4
	v_addc_co_u32_e32 v5, vcc, v5, v6, vcc
	s_and_b32 s4, s8, 0x7ffffffc
	v_add_co_u32_e32 v4, vcc, 8, v4
	v_mov_b32_e32 v3, v2
	v_addc_co_u32_e32 v5, vcc, 0, v5, vcc
	s_mov_b32 s0, s4
.LBB237_12:                             ; =>This Inner Loop Header: Depth=1
	global_load_dwordx4 v[6:9], v[4:5], off offset:-8
	s_add_i32 s0, s0, -4
	s_cmp_lg_u32 s0, 0
	s_waitcnt vmcnt(0)
	v_pk_mul_f32 v[6:7], v[2:3], v[6:7]
	v_pk_mul_f32 v[8:9], v[2:3], v[8:9]
	global_store_dwordx4 v[4:5], v[6:9], off offset:-8
	v_add_co_u32_e32 v4, vcc, 16, v4
	v_addc_co_u32_e32 v5, vcc, 0, v5, vcc
	s_cbranch_scc1 .LBB237_12
; %bb.13:
	s_cmp_lg_u32 s4, s8
	s_cselect_b64 s[0:1], -1, 0
	s_branch .LBB237_16
.LBB237_14:
	s_mov_b64 s[0:1], 0
                                        ; implicit-def: $sgpr4
	s_cbranch_execz .LBB237_16
; %bb.15:
	s_mov_b64 s[0:1], -1
	s_mov_b32 s4, 0
.LBB237_16:
	s_andn2_b64 vcc, exec, s[0:1]
	s_cbranch_vccnz .LBB237_19
; %bb.17:
	v_add_co_u32_e32 v0, vcc, s4, v0
	v_addc_co_u32_e32 v1, vcc, 0, v1, vcc
	v_lshlrev_b64 v[0:1], 2, v[0:1]
	v_mov_b32_e32 v3, s13
	v_add_co_u32_e32 v0, vcc, s12, v0
	s_sub_i32 s0, s8, s4
	v_addc_co_u32_e32 v1, vcc, v3, v1, vcc
.LBB237_18:                             ; =>This Inner Loop Header: Depth=1
	global_load_dword v3, v[0:1], off
	s_add_i32 s0, s0, -1
	s_cmp_lg_u32 s0, 0
	s_waitcnt vmcnt(0)
	v_mul_f32_e32 v3, v2, v3
	global_store_dword v[0:1], v3, off
	v_add_co_u32_e32 v0, vcc, 4, v0
	v_addc_co_u32_e32 v1, vcc, 0, v1, vcc
	s_cbranch_scc1 .LBB237_18
.LBB237_19:
	s_endpgm
	.section	.rodata,"a",@progbits
	.p2align	6, 0x0
	.amdhsa_kernel _ZN4vllm3moe17topkGatingSoftmaxItLi4ELi4ELi8ELi8ELb0ELi8ELNS0_23SharedExpertScoringFuncE1EEEvPKT_PKbPfiPiS9_iiiiii
		.amdhsa_group_segment_fixed_size 0
		.amdhsa_private_segment_fixed_size 0
		.amdhsa_kernarg_size 72
		.amdhsa_user_sgpr_count 6
		.amdhsa_user_sgpr_private_segment_buffer 1
		.amdhsa_user_sgpr_dispatch_ptr 0
		.amdhsa_user_sgpr_queue_ptr 0
		.amdhsa_user_sgpr_kernarg_segment_ptr 1
		.amdhsa_user_sgpr_dispatch_id 0
		.amdhsa_user_sgpr_flat_scratch_init 0
		.amdhsa_user_sgpr_kernarg_preload_length 0
		.amdhsa_user_sgpr_kernarg_preload_offset 0
		.amdhsa_user_sgpr_private_segment_size 0
		.amdhsa_uses_dynamic_stack 0
		.amdhsa_system_sgpr_private_segment_wavefront_offset 0
		.amdhsa_system_sgpr_workgroup_id_x 1
		.amdhsa_system_sgpr_workgroup_id_y 0
		.amdhsa_system_sgpr_workgroup_id_z 0
		.amdhsa_system_sgpr_workgroup_info 0
		.amdhsa_system_vgpr_workitem_id 1
		.amdhsa_next_free_vgpr 30
		.amdhsa_next_free_sgpr 22
		.amdhsa_accum_offset 32
		.amdhsa_reserve_vcc 1
		.amdhsa_reserve_flat_scratch 0
		.amdhsa_float_round_mode_32 0
		.amdhsa_float_round_mode_16_64 0
		.amdhsa_float_denorm_mode_32 3
		.amdhsa_float_denorm_mode_16_64 3
		.amdhsa_dx10_clamp 1
		.amdhsa_ieee_mode 1
		.amdhsa_fp16_overflow 0
		.amdhsa_tg_split 0
		.amdhsa_exception_fp_ieee_invalid_op 0
		.amdhsa_exception_fp_denorm_src 0
		.amdhsa_exception_fp_ieee_div_zero 0
		.amdhsa_exception_fp_ieee_overflow 0
		.amdhsa_exception_fp_ieee_underflow 0
		.amdhsa_exception_fp_ieee_inexact 0
		.amdhsa_exception_int_div_zero 0
	.end_amdhsa_kernel
	.section	.text._ZN4vllm3moe17topkGatingSoftmaxItLi4ELi4ELi8ELi8ELb0ELi8ELNS0_23SharedExpertScoringFuncE1EEEvPKT_PKbPfiPiS9_iiiiii,"axG",@progbits,_ZN4vllm3moe17topkGatingSoftmaxItLi4ELi4ELi8ELi8ELb0ELi8ELNS0_23SharedExpertScoringFuncE1EEEvPKT_PKbPfiPiS9_iiiiii,comdat
.Lfunc_end237:
	.size	_ZN4vllm3moe17topkGatingSoftmaxItLi4ELi4ELi8ELi8ELb0ELi8ELNS0_23SharedExpertScoringFuncE1EEEvPKT_PKbPfiPiS9_iiiiii, .Lfunc_end237-_ZN4vllm3moe17topkGatingSoftmaxItLi4ELi4ELi8ELi8ELb0ELi8ELNS0_23SharedExpertScoringFuncE1EEEvPKT_PKbPfiPiS9_iiiiii
                                        ; -- End function
	.section	.AMDGPU.csdata,"",@progbits
; Kernel info:
; codeLenInByte = 3096
; NumSgprs: 26
; NumVgprs: 30
; NumAgprs: 0
; TotalNumVgprs: 30
; ScratchSize: 0
; MemoryBound: 0
; FloatMode: 240
; IeeeMode: 1
; LDSByteSize: 0 bytes/workgroup (compile time only)
; SGPRBlocks: 3
; VGPRBlocks: 3
; NumSGPRsForWavesPerEU: 26
; NumVGPRsForWavesPerEU: 30
; AccumOffset: 32
; Occupancy: 8
; WaveLimiterHint : 0
; COMPUTE_PGM_RSRC2:SCRATCH_EN: 0
; COMPUTE_PGM_RSRC2:USER_SGPR: 6
; COMPUTE_PGM_RSRC2:TRAP_HANDLER: 0
; COMPUTE_PGM_RSRC2:TGID_X_EN: 1
; COMPUTE_PGM_RSRC2:TGID_Y_EN: 0
; COMPUTE_PGM_RSRC2:TGID_Z_EN: 0
; COMPUTE_PGM_RSRC2:TIDIG_COMP_CNT: 1
; COMPUTE_PGM_RSRC3_GFX90A:ACCUM_OFFSET: 7
; COMPUTE_PGM_RSRC3_GFX90A:TG_SPLIT: 0
	.section	.text._ZN4vllm3moe17topkGatingSoftmaxItLi8ELi8ELi8ELi16ELb1ELi0ELNS0_23SharedExpertScoringFuncE0EEEvPKT_PKbPfiPiS9_iiiiii,"axG",@progbits,_ZN4vllm3moe17topkGatingSoftmaxItLi8ELi8ELi8ELi16ELb1ELi0ELNS0_23SharedExpertScoringFuncE0EEEvPKT_PKbPfiPiS9_iiiiii,comdat
	.protected	_ZN4vllm3moe17topkGatingSoftmaxItLi8ELi8ELi8ELi16ELb1ELi0ELNS0_23SharedExpertScoringFuncE0EEEvPKT_PKbPfiPiS9_iiiiii ; -- Begin function _ZN4vllm3moe17topkGatingSoftmaxItLi8ELi8ELi8ELi16ELb1ELi0ELNS0_23SharedExpertScoringFuncE0EEEvPKT_PKbPfiPiS9_iiiiii
	.globl	_ZN4vllm3moe17topkGatingSoftmaxItLi8ELi8ELi8ELi16ELb1ELi0ELNS0_23SharedExpertScoringFuncE0EEEvPKT_PKbPfiPiS9_iiiiii
	.p2align	8
	.type	_ZN4vllm3moe17topkGatingSoftmaxItLi8ELi8ELi8ELi16ELb1ELi0ELNS0_23SharedExpertScoringFuncE0EEEvPKT_PKbPfiPiS9_iiiiii,@function
_ZN4vllm3moe17topkGatingSoftmaxItLi8ELi8ELi8ELi16ELb1ELi0ELNS0_23SharedExpertScoringFuncE0EEEvPKT_PKbPfiPiS9_iiiiii: ; @_ZN4vllm3moe17topkGatingSoftmaxItLi8ELi8ELi8ELi16ELb1ELi0ELNS0_23SharedExpertScoringFuncE0EEEvPKT_PKbPfiPiS9_iiiiii
; %bb.0:
	s_load_dword s28, s[4:5], 0x18
	v_bfe_u32 v1, v0, 10, 10
	s_lshl_b32 s8, s6, 9
	v_lshlrev_b32_e32 v16, 6, v1
	v_and_b32_e32 v17, 0x3ff, v0
	v_add3_u32 v14, v16, v17, s8
	s_waitcnt lgkmcnt(0)
	v_cmp_gt_i32_e32 vcc, s28, v14
	s_and_saveexec_b64 s[0:1], vcc
	s_cbranch_execz .LBB238_20
; %bb.1:
	s_load_dwordx4 s[0:3], s[4:5], 0x0
	s_load_dwordx2 s[18:19], s[4:5], 0x10
	s_waitcnt lgkmcnt(0)
	s_cmp_eq_u64 s[2:3], 0
	s_cbranch_scc1 .LBB238_3
; %bb.2:
	v_ashrrev_i32_e32 v1, 31, v14
	v_mov_b32_e32 v2, s3
	v_add_co_u32_e32 v0, vcc, s2, v14
	v_addc_co_u32_e32 v1, vcc, v2, v1, vcc
	global_load_ubyte v0, v[0:1], off
	s_waitcnt vmcnt(0)
	v_and_b32_e32 v0, 1, v0
	v_cmp_eq_u32_e32 vcc, 1, v0
	s_xor_b64 s[2:3], vcc, -1
	s_orn2_b64 s[26:27], s[2:3], exec
	s_branch .LBB238_4
.LBB238_3:
	s_mov_b64 s[26:27], -1
.LBB238_4:
	s_load_dwordx4 s[20:23], s[4:5], 0x30
	s_waitcnt lgkmcnt(0)
	s_cmp_gt_i32 s20, 0
	s_cselect_b64 s[24:25], -1, 0
	s_cmp_lt_i32 s20, 1
	s_cbranch_scc1 .LBB238_9
; %bb.5:
	s_load_dwordx2 s[2:3], s[4:5], 0x40
	v_mov_b32_e32 v2, s1
	s_load_dwordx4 s[4:7], s[4:5], 0x20
	v_mov_b32_e32 v4, s19
	s_mov_b32 s29, 0x3fb8aa3b
	s_waitcnt lgkmcnt(0)
	v_mul_lo_u32 v0, v14, s3
	v_ashrrev_i32_e32 v1, 31, v0
	v_lshlrev_b64 v[0:1], 1, v[0:1]
	v_add_co_u32_e32 v0, vcc, s0, v0
	v_addc_co_u32_e32 v1, vcc, v2, v1, vcc
	global_load_dwordx4 v[22:25], v[0:1], off
	v_mul_lo_u32 v0, v14, s23
	v_mul_lo_u32 v2, v14, s20
	v_ashrrev_i32_e32 v1, 31, v0
	v_ashrrev_i32_e32 v3, 31, v2
	v_lshlrev_b64 v[0:1], 2, v[0:1]
	v_lshlrev_b64 v[8:9], 2, v[2:3]
	v_add_co_u32_e32 v2, vcc, s18, v0
	v_addc_co_u32_e64 v3, s[0:1], v4, v1, vcc
	v_mul_lo_u32 v4, v14, s2
	v_mov_b32_e32 v6, s7
	v_ashrrev_i32_e32 v5, 31, v4
	v_add_co_u32_e64 v26, s[0:1], s6, v8
	v_addc_co_u32_e64 v27, s[0:1], v6, v9, s[0:1]
	v_lshlrev_b64 v[10:11], 2, v[4:5]
	v_mov_b32_e32 v0, s5
	v_add_co_u32_e64 v28, s[0:1], s4, v10
	v_addc_co_u32_e64 v29, s[0:1], v0, v11, s[0:1]
	s_mov_b32 s30, 0xc2ce8ed0
	s_mov_b32 s31, 0x42b17218
	v_mov_b32_e32 v15, 0x7f800000
	s_waitcnt vmcnt(0)
	v_cvt_f32_u32_sdwa v0, v22 dst_sel:DWORD dst_unused:UNUSED_PAD src0_sel:WORD_1
	v_cvt_f32_u32_sdwa v21, v22 dst_sel:DWORD dst_unused:UNUSED_PAD src0_sel:WORD_0
	v_cvt_f32_u32_sdwa v22, v23 dst_sel:DWORD dst_unused:UNUSED_PAD src0_sel:WORD_0
	v_cvt_f32_u32_sdwa v12, v23 dst_sel:DWORD dst_unused:UNUSED_PAD src0_sel:WORD_1
	v_cvt_f32_u32_sdwa v4, v24 dst_sel:DWORD dst_unused:UNUSED_PAD src0_sel:WORD_0
	v_cmp_lt_f32_e64 s[0:1], v21, v0
	v_cndmask_b32_e64 v18, v21, v0, s[0:1]
	v_cndmask_b32_e64 v13, 0, 1, s[0:1]
	v_cmp_lt_f32_e64 s[0:1], v18, v22
	v_cndmask_b32_e64 v18, v18, v22, s[0:1]
	v_cvt_f32_u32_sdwa v5, v24 dst_sel:DWORD dst_unused:UNUSED_PAD src0_sel:WORD_1
	v_cndmask_b32_e64 v13, v13, 2, s[0:1]
	v_cmp_lt_f32_e64 s[0:1], v18, v12
	v_cndmask_b32_e64 v18, v18, v12, s[0:1]
	v_cvt_f32_u32_sdwa v6, v25 dst_sel:DWORD dst_unused:UNUSED_PAD src0_sel:WORD_0
	v_cndmask_b32_e64 v13, v13, 3, s[0:1]
	v_cmp_lt_f32_e64 s[0:1], v18, v4
	v_cndmask_b32_e64 v18, v18, v4, s[0:1]
	v_cvt_f32_u32_sdwa v7, v25 dst_sel:DWORD dst_unused:UNUSED_PAD src0_sel:WORD_1
	v_cndmask_b32_e64 v13, v13, 4, s[0:1]
	v_cmp_lt_f32_e64 s[0:1], v18, v5
	v_cndmask_b32_e64 v18, v18, v5, s[0:1]
	v_cndmask_b32_e64 v13, v13, 5, s[0:1]
	v_cmp_lt_f32_e64 s[0:1], v18, v6
	v_cndmask_b32_e64 v18, v18, v6, s[0:1]
	;; [unrolled: 3-line block ×3, first 2 shown]
	v_sub_f32_e32 v18, v19, v19
	v_mul_f32_e32 v20, 0x3fb8aa3b, v18
	v_fma_f32 v24, v18, s29, -v20
	v_rndne_f32_e32 v25, v20
	v_fmac_f32_e32 v24, 0x32a5705f, v18
	v_sub_f32_e32 v20, v20, v25
	v_cndmask_b32_e64 v23, v13, 7, s[0:1]
	v_add_f32_e32 v20, v20, v24
	v_cmp_le_i32_e64 s[0:1], s21, v23
	v_cmp_gt_i32_e64 s[2:3], s22, v23
	v_cvt_i32_f32_e32 v25, v25
	v_exp_f32_e32 v20, v20
	s_and_b64 s[0:1], s[0:1], s[2:3]
	v_subrev_u32_e32 v13, s21, v23
	s_and_b64 s[0:1], s[26:27], s[0:1]
	v_cndmask_b32_e64 v13, 8, v13, s[0:1]
	global_store_dword v[28:29], v13, off
	v_ldexp_f32 v13, v20, v25
	v_cmp_ngt_f32_e64 s[0:1], s30, v18
	v_cndmask_b32_e64 v13, 0, v13, s[0:1]
	v_cmp_nlt_f32_e64 s[0:1], s31, v18
	s_cmp_eq_u32 s20, 1
	v_cndmask_b32_e64 v18, v15, v13, s[0:1]
	global_store_dword v[2:3], v18, off
	global_store_dword v[26:27], v14, off
	s_cbranch_scc1 .LBB238_8
; %bb.6:
	v_mov_b32_e32 v20, 0xff800000
	v_cmp_ne_u32_e64 s[0:1], 7, v23
	v_cndmask_b32_e64 v7, v20, v7, s[0:1]
	v_cmp_ne_u32_e64 s[0:1], 6, v23
	v_cndmask_b32_e64 v6, v20, v6, s[0:1]
	;; [unrolled: 2-line block ×5, first 2 shown]
	v_mov_b32_e32 v12, s7
	v_add_co_u32_e64 v8, s[0:1], s6, v8
	v_addc_co_u32_e64 v9, s[0:1], v9, v12, s[0:1]
	v_add_co_u32_e64 v8, s[0:1], 4, v8
	v_addc_co_u32_e64 v9, s[0:1], 0, v9, s[0:1]
	v_mov_b32_e32 v12, s5
	v_add_co_u32_e64 v10, s[0:1], s4, v10
	v_addc_co_u32_e64 v11, s[0:1], v11, v12, s[0:1]
	v_mov_b32_e32 v12, s19
	v_addc_co_u32_e32 v1, vcc, v1, v12, vcc
	v_add_co_u32_e32 v12, vcc, 4, v2
	v_add_co_u32_e64 v10, s[0:1], 4, v10
	v_addc_co_u32_e32 v13, vcc, 0, v1, vcc
	v_addc_co_u32_e64 v11, s[0:1], 0, v11, s[0:1]
	v_cmp_ne_u32_e32 vcc, 2, v23
	v_cndmask_b32_e32 v2, v20, v22, vcc
	v_cmp_ne_u32_e32 vcc, 0, v23
	s_add_i32 s8, s8, s28
	v_cmp_ne_u32_e64 s[0:1], 1, v23
	s_add_i32 s33, s20, -1
	v_add3_u32 v16, s8, v17, v16
	v_cndmask_b32_e64 v1, v20, v0, s[0:1]
	v_cndmask_b32_e32 v0, v20, v21, vcc
.LBB238_7:                              ; =>This Inner Loop Header: Depth=1
	v_cmp_gt_f32_e32 vcc, v1, v0
	v_cndmask_b32_e32 v17, v0, v1, vcc
	v_cmp_gt_f32_e64 s[0:1], v2, v17
	v_cndmask_b32_e64 v17, v17, v2, s[0:1]
	v_cmp_gt_f32_e64 s[2:3], v3, v17
	v_cndmask_b32_e64 v17, v17, v3, s[2:3]
	;; [unrolled: 2-line block ×6, first 2 shown]
	v_sub_f32_e32 v17, v17, v19
	v_mul_f32_e32 v21, 0x3fb8aa3b, v17
	v_fma_f32 v22, v17, s29, -v21
	v_rndne_f32_e32 v23, v21
	v_fmac_f32_e32 v22, 0x32a5705f, v17
	v_sub_f32_e32 v21, v21, v23
	v_add_f32_e32 v21, v21, v22
	v_cndmask_b32_e64 v22, 0, 1, vcc
	v_cndmask_b32_e64 v22, v22, 2, s[0:1]
	v_cndmask_b32_e64 v22, v22, 3, s[2:3]
	;; [unrolled: 1-line block ×6, first 2 shown]
	v_cmp_le_i32_e32 vcc, s21, v22
	v_cmp_gt_i32_e64 s[0:1], s22, v22
	s_and_b64 s[0:1], vcc, s[0:1]
	v_cmp_ne_u32_e64 s[2:3], 7, v22
	v_cmp_ne_u32_e64 s[4:5], 6, v22
	v_cmp_ne_u32_e64 s[6:7], 5, v22
	v_cmp_ne_u32_e64 s[8:9], 4, v22
	v_cmp_ne_u32_e64 s[10:11], 3, v22
	v_cmp_ne_u32_e64 s[12:13], 2, v22
	v_cmp_ne_u32_e64 s[14:15], 1, v22
	v_cmp_ne_u32_e64 s[16:17], 0, v22
	v_subrev_u32_e32 v22, s21, v22
	s_and_b64 vcc, s[26:27], s[0:1]
	v_cndmask_b32_e32 v22, 8, v22, vcc
	global_store_dword v[10:11], v22, off
	v_cvt_i32_f32_e32 v22, v23
	v_exp_f32_e32 v21, v21
	v_cmp_ngt_f32_e32 vcc, s30, v17
	global_store_dword v[8:9], v16, off
	s_add_i32 s33, s33, -1
	v_ldexp_f32 v21, v21, v22
	v_cndmask_b32_e32 v21, 0, v21, vcc
	v_cmp_nlt_f32_e32 vcc, s31, v17
	v_cndmask_b32_e32 v17, v15, v21, vcc
	v_add_co_u32_e32 v8, vcc, 4, v8
	v_addc_co_u32_e32 v9, vcc, 0, v9, vcc
	v_add_co_u32_e32 v10, vcc, 4, v10
	v_addc_co_u32_e32 v11, vcc, 0, v11, vcc
	global_store_dword v[12:13], v17, off
	v_add_co_u32_e32 v12, vcc, 4, v12
	v_add_f32_e32 v18, v18, v17
	v_cndmask_b32_e64 v7, v20, v7, s[2:3]
	v_cndmask_b32_e64 v6, v20, v6, s[4:5]
	;; [unrolled: 1-line block ×8, first 2 shown]
	v_add_u32_e32 v16, s28, v16
	s_cmp_eq_u32 s33, 0
	v_addc_co_u32_e32 v13, vcc, 0, v13, vcc
	s_cbranch_scc0 .LBB238_7
.LBB238_8:
	v_cmp_neq_f32_e32 vcc, 0, v18
	s_and_b64 exec, exec, vcc
	s_cbranch_execnz .LBB238_10
	s_branch .LBB238_20
.LBB238_9:
	v_mov_b32_e32 v18, 0
	v_cmp_neq_f32_e32 vcc, 0, v18
	s_and_b64 exec, exec, vcc
	s_cbranch_execz .LBB238_20
.LBB238_10:
	s_andn2_b64 vcc, exec, s[24:25]
	s_cbranch_vccnz .LBB238_20
; %bb.11:
	v_div_scale_f32 v0, s[0:1], v18, v18, 1.0
	v_rcp_f32_e32 v1, v0
	v_div_scale_f32 v2, vcc, 1.0, v18, 1.0
	s_cmp_gt_u32 s20, 3
	v_fma_f32 v3, -v0, v1, 1.0
	v_fmac_f32_e32 v1, v3, v1
	v_mul_f32_e32 v3, v2, v1
	v_fma_f32 v4, -v0, v3, v2
	v_fmac_f32_e32 v3, v4, v1
	v_fma_f32 v0, -v0, v3, v2
	v_div_fmas_f32 v0, v0, v1, v3
	v_mul_lo_u32 v2, v14, s23
	v_div_fixup_f32 v0, v0, v18, 1.0
	v_ashrrev_i32_e32 v3, 31, v2
	s_cbranch_scc0 .LBB238_15
; %bb.12:
	v_lshlrev_b64 v[4:5], 2, v[2:3]
	v_mov_b32_e32 v6, s19
	v_add_co_u32_e32 v4, vcc, s18, v4
	v_addc_co_u32_e32 v5, vcc, v5, v6, vcc
	s_and_b32 s4, s20, 0x7ffffffc
	v_add_co_u32_e32 v4, vcc, 8, v4
	v_mov_b32_e32 v1, v0
	v_addc_co_u32_e32 v5, vcc, 0, v5, vcc
	s_mov_b32 s0, s4
.LBB238_13:                             ; =>This Inner Loop Header: Depth=1
	global_load_dwordx4 v[6:9], v[4:5], off offset:-8
	s_add_i32 s0, s0, -4
	s_cmp_lg_u32 s0, 0
	s_waitcnt vmcnt(0)
	v_pk_mul_f32 v[6:7], v[0:1], v[6:7]
	v_pk_mul_f32 v[8:9], v[0:1], v[8:9]
	global_store_dwordx4 v[4:5], v[6:9], off offset:-8
	v_add_co_u32_e32 v4, vcc, 16, v4
	v_addc_co_u32_e32 v5, vcc, 0, v5, vcc
	s_cbranch_scc1 .LBB238_13
; %bb.14:
	s_cmp_lg_u32 s4, s20
	s_cselect_b64 s[0:1], -1, 0
	s_branch .LBB238_17
.LBB238_15:
	s_mov_b64 s[0:1], 0
                                        ; implicit-def: $sgpr4
	s_cbranch_execz .LBB238_17
; %bb.16:
	s_mov_b64 s[0:1], -1
	s_mov_b32 s4, 0
.LBB238_17:
	s_andn2_b64 vcc, exec, s[0:1]
	s_cbranch_vccnz .LBB238_20
; %bb.18:
	v_add_co_u32_e32 v2, vcc, s4, v2
	v_addc_co_u32_e32 v3, vcc, 0, v3, vcc
	v_lshlrev_b64 v[2:3], 2, v[2:3]
	v_mov_b32_e32 v1, s19
	v_add_co_u32_e32 v2, vcc, s18, v2
	s_sub_i32 s0, s20, s4
	v_addc_co_u32_e32 v3, vcc, v1, v3, vcc
.LBB238_19:                             ; =>This Inner Loop Header: Depth=1
	global_load_dword v1, v[2:3], off
	s_add_i32 s0, s0, -1
	s_cmp_lg_u32 s0, 0
	s_waitcnt vmcnt(0)
	v_mul_f32_e32 v1, v0, v1
	global_store_dword v[2:3], v1, off
	v_add_co_u32_e32 v2, vcc, 4, v2
	v_addc_co_u32_e32 v3, vcc, 0, v3, vcc
	s_cbranch_scc1 .LBB238_19
.LBB238_20:
	s_endpgm
	.section	.rodata,"a",@progbits
	.p2align	6, 0x0
	.amdhsa_kernel _ZN4vllm3moe17topkGatingSoftmaxItLi8ELi8ELi8ELi16ELb1ELi0ELNS0_23SharedExpertScoringFuncE0EEEvPKT_PKbPfiPiS9_iiiiii
		.amdhsa_group_segment_fixed_size 0
		.amdhsa_private_segment_fixed_size 0
		.amdhsa_kernarg_size 72
		.amdhsa_user_sgpr_count 6
		.amdhsa_user_sgpr_private_segment_buffer 1
		.amdhsa_user_sgpr_dispatch_ptr 0
		.amdhsa_user_sgpr_queue_ptr 0
		.amdhsa_user_sgpr_kernarg_segment_ptr 1
		.amdhsa_user_sgpr_dispatch_id 0
		.amdhsa_user_sgpr_flat_scratch_init 0
		.amdhsa_user_sgpr_kernarg_preload_length 0
		.amdhsa_user_sgpr_kernarg_preload_offset 0
		.amdhsa_user_sgpr_private_segment_size 0
		.amdhsa_uses_dynamic_stack 0
		.amdhsa_system_sgpr_private_segment_wavefront_offset 0
		.amdhsa_system_sgpr_workgroup_id_x 1
		.amdhsa_system_sgpr_workgroup_id_y 0
		.amdhsa_system_sgpr_workgroup_id_z 0
		.amdhsa_system_sgpr_workgroup_info 0
		.amdhsa_system_vgpr_workitem_id 1
		.amdhsa_next_free_vgpr 30
		.amdhsa_next_free_sgpr 34
		.amdhsa_accum_offset 32
		.amdhsa_reserve_vcc 1
		.amdhsa_reserve_flat_scratch 0
		.amdhsa_float_round_mode_32 0
		.amdhsa_float_round_mode_16_64 0
		.amdhsa_float_denorm_mode_32 3
		.amdhsa_float_denorm_mode_16_64 3
		.amdhsa_dx10_clamp 1
		.amdhsa_ieee_mode 1
		.amdhsa_fp16_overflow 0
		.amdhsa_tg_split 0
		.amdhsa_exception_fp_ieee_invalid_op 0
		.amdhsa_exception_fp_denorm_src 0
		.amdhsa_exception_fp_ieee_div_zero 0
		.amdhsa_exception_fp_ieee_overflow 0
		.amdhsa_exception_fp_ieee_underflow 0
		.amdhsa_exception_fp_ieee_inexact 0
		.amdhsa_exception_int_div_zero 0
	.end_amdhsa_kernel
	.section	.text._ZN4vllm3moe17topkGatingSoftmaxItLi8ELi8ELi8ELi16ELb1ELi0ELNS0_23SharedExpertScoringFuncE0EEEvPKT_PKbPfiPiS9_iiiiii,"axG",@progbits,_ZN4vllm3moe17topkGatingSoftmaxItLi8ELi8ELi8ELi16ELb1ELi0ELNS0_23SharedExpertScoringFuncE0EEEvPKT_PKbPfiPiS9_iiiiii,comdat
.Lfunc_end238:
	.size	_ZN4vllm3moe17topkGatingSoftmaxItLi8ELi8ELi8ELi16ELb1ELi0ELNS0_23SharedExpertScoringFuncE0EEEvPKT_PKbPfiPiS9_iiiiii, .Lfunc_end238-_ZN4vllm3moe17topkGatingSoftmaxItLi8ELi8ELi8ELi16ELb1ELi0ELNS0_23SharedExpertScoringFuncE0EEEvPKT_PKbPfiPiS9_iiiiii
                                        ; -- End function
	.section	.AMDGPU.csdata,"",@progbits
; Kernel info:
; codeLenInByte = 1792
; NumSgprs: 38
; NumVgprs: 30
; NumAgprs: 0
; TotalNumVgprs: 30
; ScratchSize: 0
; MemoryBound: 0
; FloatMode: 240
; IeeeMode: 1
; LDSByteSize: 0 bytes/workgroup (compile time only)
; SGPRBlocks: 4
; VGPRBlocks: 3
; NumSGPRsForWavesPerEU: 38
; NumVGPRsForWavesPerEU: 30
; AccumOffset: 32
; Occupancy: 8
; WaveLimiterHint : 0
; COMPUTE_PGM_RSRC2:SCRATCH_EN: 0
; COMPUTE_PGM_RSRC2:USER_SGPR: 6
; COMPUTE_PGM_RSRC2:TRAP_HANDLER: 0
; COMPUTE_PGM_RSRC2:TGID_X_EN: 1
; COMPUTE_PGM_RSRC2:TGID_Y_EN: 0
; COMPUTE_PGM_RSRC2:TGID_Z_EN: 0
; COMPUTE_PGM_RSRC2:TIDIG_COMP_CNT: 1
; COMPUTE_PGM_RSRC3_GFX90A:ACCUM_OFFSET: 7
; COMPUTE_PGM_RSRC3_GFX90A:TG_SPLIT: 0
	.section	.text._ZN4vllm3moe17topkGatingSoftmaxItLi8ELi8ELi8ELi16ELb0ELi0ELNS0_23SharedExpertScoringFuncE0EEEvPKT_PKbPfiPiS9_iiiiii,"axG",@progbits,_ZN4vllm3moe17topkGatingSoftmaxItLi8ELi8ELi8ELi16ELb0ELi0ELNS0_23SharedExpertScoringFuncE0EEEvPKT_PKbPfiPiS9_iiiiii,comdat
	.protected	_ZN4vllm3moe17topkGatingSoftmaxItLi8ELi8ELi8ELi16ELb0ELi0ELNS0_23SharedExpertScoringFuncE0EEEvPKT_PKbPfiPiS9_iiiiii ; -- Begin function _ZN4vllm3moe17topkGatingSoftmaxItLi8ELi8ELi8ELi16ELb0ELi0ELNS0_23SharedExpertScoringFuncE0EEEvPKT_PKbPfiPiS9_iiiiii
	.globl	_ZN4vllm3moe17topkGatingSoftmaxItLi8ELi8ELi8ELi16ELb0ELi0ELNS0_23SharedExpertScoringFuncE0EEEvPKT_PKbPfiPiS9_iiiiii
	.p2align	8
	.type	_ZN4vllm3moe17topkGatingSoftmaxItLi8ELi8ELi8ELi16ELb0ELi0ELNS0_23SharedExpertScoringFuncE0EEEvPKT_PKbPfiPiS9_iiiiii,@function
_ZN4vllm3moe17topkGatingSoftmaxItLi8ELi8ELi8ELi16ELb0ELi0ELNS0_23SharedExpertScoringFuncE0EEEvPKT_PKbPfiPiS9_iiiiii: ; @_ZN4vllm3moe17topkGatingSoftmaxItLi8ELi8ELi8ELi16ELb0ELi0ELNS0_23SharedExpertScoringFuncE0EEEvPKT_PKbPfiPiS9_iiiiii
; %bb.0:
	s_load_dword s33, s[4:5], 0x18
	v_bfe_u32 v1, v0, 10, 10
	s_lshl_b32 s34, s6, 9
	v_lshlrev_b32_e32 v19, 6, v1
	v_and_b32_e32 v20, 0x3ff, v0
	v_add3_u32 v1, v19, v20, s34
	s_waitcnt lgkmcnt(0)
	v_cmp_gt_i32_e32 vcc, s33, v1
	s_and_saveexec_b64 s[0:1], vcc
	s_cbranch_execz .LBB239_20
; %bb.1:
	s_load_dwordx4 s[0:3], s[4:5], 0x0
	s_load_dwordx2 s[18:19], s[4:5], 0x10
	s_waitcnt lgkmcnt(0)
	s_cmp_eq_u64 s[2:3], 0
	s_cbranch_scc1 .LBB239_3
; %bb.2:
	v_ashrrev_i32_e32 v0, 31, v1
	v_mov_b32_e32 v3, s3
	v_add_co_u32_e32 v2, vcc, s2, v1
	v_addc_co_u32_e32 v3, vcc, v3, v0, vcc
	global_load_ubyte v0, v[2:3], off
	s_waitcnt vmcnt(0)
	v_and_b32_e32 v0, 1, v0
	v_cmp_eq_u32_e32 vcc, 1, v0
	s_xor_b64 s[2:3], vcc, -1
	s_orn2_b64 s[30:31], s[2:3], exec
	s_branch .LBB239_4
.LBB239_3:
	s_mov_b64 s[30:31], -1
.LBB239_4:
	s_load_dwordx2 s[14:15], s[4:5], 0x40
	s_load_dwordx4 s[20:23], s[4:5], 0x30
	v_mov_b32_e32 v0, s1
	s_waitcnt lgkmcnt(0)
	v_mul_lo_u32 v2, v1, s15
	v_ashrrev_i32_e32 v3, 31, v2
	v_lshlrev_b64 v[2:3], 1, v[2:3]
	v_add_co_u32_e32 v2, vcc, s0, v2
	v_addc_co_u32_e32 v3, vcc, v0, v3, vcc
	global_load_dwordx4 v[10:13], v[2:3], off
	s_cmp_gt_i32 s20, 0
	s_cselect_b64 s[28:29], -1, 0
	s_cmp_lt_i32 s20, 1
	s_waitcnt vmcnt(0)
	v_cvt_f32_u32_sdwa v9, v10 dst_sel:DWORD dst_unused:UNUSED_PAD src0_sel:WORD_1
	v_cvt_f32_u32_sdwa v8, v10 dst_sel:DWORD dst_unused:UNUSED_PAD src0_sel:WORD_0
	v_cvt_f32_u32_sdwa v2, v11 dst_sel:DWORD dst_unused:UNUSED_PAD src0_sel:WORD_0
	v_cvt_f32_u32_sdwa v3, v11 dst_sel:DWORD dst_unused:UNUSED_PAD src0_sel:WORD_1
	v_cvt_f32_u32_sdwa v4, v12 dst_sel:DWORD dst_unused:UNUSED_PAD src0_sel:WORD_0
	v_cmp_lt_f32_e32 vcc, v8, v9
	v_cndmask_b32_e32 v0, v8, v9, vcc
	v_cmp_lt_f32_e64 s[0:1], v0, v2
	v_cndmask_b32_e64 v0, v0, v2, s[0:1]
	v_cvt_f32_u32_sdwa v5, v12 dst_sel:DWORD dst_unused:UNUSED_PAD src0_sel:WORD_1
	v_cmp_lt_f32_e64 s[2:3], v0, v3
	v_cndmask_b32_e64 v0, v0, v3, s[2:3]
	v_cvt_f32_u32_sdwa v6, v13 dst_sel:DWORD dst_unused:UNUSED_PAD src0_sel:WORD_0
	v_cmp_lt_f32_e64 s[6:7], v0, v4
	v_cndmask_b32_e64 v0, v0, v4, s[6:7]
	v_cvt_f32_u32_sdwa v7, v13 dst_sel:DWORD dst_unused:UNUSED_PAD src0_sel:WORD_1
	v_cmp_lt_f32_e64 s[8:9], v0, v5
	v_cndmask_b32_e64 v0, v0, v5, s[8:9]
	v_cmp_lt_f32_e64 s[10:11], v0, v6
	v_cndmask_b32_e64 v0, v0, v6, s[10:11]
	;; [unrolled: 2-line block ×3, first 2 shown]
	s_cbranch_scc1 .LBB239_8
; %bb.5:
	v_cndmask_b32_e64 v10, 0, 1, vcc
	v_cndmask_b32_e64 v10, v10, 2, s[0:1]
	v_cndmask_b32_e64 v10, v10, 3, s[2:3]
	;; [unrolled: 1-line block ×6, first 2 shown]
	s_load_dwordx4 s[24:27], s[4:5], 0x20
	v_cmp_le_i32_e32 vcc, s21, v18
	v_cmp_gt_i32_e64 s[0:1], s22, v18
	s_and_b64 s[0:1], vcc, s[0:1]
	v_mul_lo_u32 v10, v1, s14
	v_subrev_u32_e32 v11, s21, v18
	s_and_b64 vcc, s[30:31], s[0:1]
	v_cndmask_b32_e32 v14, 8, v11, vcc
	v_ashrrev_i32_e32 v11, 31, v10
	v_lshlrev_b64 v[12:13], 2, v[10:11]
	s_waitcnt lgkmcnt(0)
	v_mov_b32_e32 v11, s25
	v_add_co_u32_e32 v10, vcc, s24, v12
	v_addc_co_u32_e32 v11, vcc, v11, v13, vcc
	global_store_dword v[10:11], v14, off
	v_mul_lo_u32 v10, v1, s20
	v_ashrrev_i32_e32 v11, 31, v10
	v_lshlrev_b64 v[10:11], 2, v[10:11]
	v_mov_b32_e32 v15, s27
	v_add_co_u32_e32 v14, vcc, s26, v10
	v_addc_co_u32_e32 v15, vcc, v15, v11, vcc
	v_sub_f32_e32 v23, v0, v0
	global_store_dword v[14:15], v1, off
	v_mul_f32_e32 v14, 0x3fb8aa3b, v23
	s_mov_b32 s35, 0x3fb8aa3b
	v_rndne_f32_e32 v15, v14
	v_sub_f32_e32 v16, v14, v15
	v_fma_f32 v14, v23, s35, -v14
	v_fmac_f32_e32 v14, 0x32a5705f, v23
	v_add_f32_e32 v14, v16, v14
	v_exp_f32_e32 v14, v14
	v_cvt_i32_f32_e32 v15, v15
	v_mov_b32_e32 v17, s19
	s_mov_b32 s36, 0xc2ce8ed0
	v_cmp_ngt_f32_e64 s[16:17], s36, v23
	v_ldexp_f32 v22, v14, v15
	v_mul_lo_u32 v14, v1, s23
	v_ashrrev_i32_e32 v15, 31, v14
	v_lshlrev_b64 v[14:15], 2, v[14:15]
	v_add_co_u32_e32 v16, vcc, s18, v14
	v_addc_co_u32_e64 v17, s[0:1], v17, v15, vcc
	s_mov_b32 s37, 0x42b17218
	v_mov_b32_e32 v21, 0xff800000
	v_cmp_ne_u32_e64 s[0:1], 7, v18
	v_cmp_ne_u32_e64 s[2:3], 6, v18
	;; [unrolled: 1-line block ×8, first 2 shown]
	v_cndmask_b32_e64 v14, 0, v22, s[16:17]
	v_mov_b32_e32 v22, 0x7f800000
	v_cmp_nlt_f32_e64 s[16:17], s37, v23
	v_cndmask_b32_e64 v18, v22, v14, s[16:17]
	v_cndmask_b32_e64 v7, v21, v7, s[0:1]
	v_cndmask_b32_e64 v6, v21, v6, s[2:3]
	v_cndmask_b32_e64 v5, v21, v5, s[4:5]
	v_cndmask_b32_e64 v4, v21, v4, s[6:7]
	v_cndmask_b32_e64 v3, v21, v3, s[8:9]
	v_cndmask_b32_e64 v2, v21, v2, s[10:11]
	v_cndmask_b32_e64 v9, v21, v9, s[12:13]
	s_cmp_eq_u32 s20, 1
	v_cndmask_b32_e64 v8, v21, v8, s[14:15]
	global_store_dword v[16:17], v18, off
	s_cbranch_scc1 .LBB239_9
; %bb.6:
	v_mov_b32_e32 v14, s27
	v_add_co_u32_e64 v10, s[0:1], s26, v10
	v_addc_co_u32_e64 v11, s[0:1], v11, v14, s[0:1]
	v_add_co_u32_e64 v10, s[0:1], 4, v10
	v_addc_co_u32_e64 v11, s[0:1], 0, v11, s[0:1]
	v_mov_b32_e32 v14, s25
	v_add_co_u32_e64 v12, s[0:1], s24, v12
	v_addc_co_u32_e64 v13, s[0:1], v13, v14, s[0:1]
	v_mov_b32_e32 v14, s19
	v_addc_co_u32_e32 v15, vcc, v15, v14, vcc
	v_add_co_u32_e64 v12, s[0:1], 4, v12
	v_add_co_u32_e32 v14, vcc, 4, v16
	s_add_i32 s34, s34, s33
	v_addc_co_u32_e64 v13, s[0:1], 0, v13, s[0:1]
	v_addc_co_u32_e32 v15, vcc, 0, v15, vcc
	s_add_i32 s24, s20, -1
	v_add3_u32 v16, s34, v20, v19
.LBB239_7:                              ; =>This Inner Loop Header: Depth=1
	v_cmp_gt_f32_e32 vcc, v9, v8
	v_cndmask_b32_e32 v17, v8, v9, vcc
	v_cmp_gt_f32_e64 s[0:1], v2, v17
	v_cndmask_b32_e64 v17, v17, v2, s[0:1]
	v_cmp_gt_f32_e64 s[2:3], v3, v17
	v_cndmask_b32_e64 v17, v17, v3, s[2:3]
	;; [unrolled: 2-line block ×6, first 2 shown]
	v_sub_f32_e32 v17, v17, v0
	v_mul_f32_e32 v19, 0x3fb8aa3b, v17
	v_fma_f32 v20, v17, s35, -v19
	v_rndne_f32_e32 v23, v19
	v_fmac_f32_e32 v20, 0x32a5705f, v17
	v_sub_f32_e32 v19, v19, v23
	v_add_f32_e32 v19, v19, v20
	v_cndmask_b32_e64 v20, 0, 1, vcc
	v_cndmask_b32_e64 v20, v20, 2, s[0:1]
	v_cndmask_b32_e64 v20, v20, 3, s[2:3]
	;; [unrolled: 1-line block ×6, first 2 shown]
	v_cmp_le_i32_e32 vcc, s21, v20
	v_cmp_gt_i32_e64 s[0:1], s22, v20
	s_and_b64 s[0:1], vcc, s[0:1]
	v_cmp_ne_u32_e64 s[2:3], 7, v20
	v_cmp_ne_u32_e64 s[4:5], 6, v20
	;; [unrolled: 1-line block ×8, first 2 shown]
	v_subrev_u32_e32 v20, s21, v20
	s_and_b64 vcc, s[30:31], s[0:1]
	v_cndmask_b32_e32 v20, 8, v20, vcc
	global_store_dword v[12:13], v20, off
	v_cvt_i32_f32_e32 v20, v23
	v_exp_f32_e32 v19, v19
	v_cmp_ngt_f32_e32 vcc, s36, v17
	global_store_dword v[10:11], v16, off
	s_add_i32 s24, s24, -1
	v_ldexp_f32 v19, v19, v20
	v_cndmask_b32_e32 v19, 0, v19, vcc
	v_cmp_nlt_f32_e32 vcc, s37, v17
	v_cndmask_b32_e32 v17, v22, v19, vcc
	v_add_co_u32_e32 v10, vcc, 4, v10
	v_addc_co_u32_e32 v11, vcc, 0, v11, vcc
	v_add_co_u32_e32 v12, vcc, 4, v12
	v_addc_co_u32_e32 v13, vcc, 0, v13, vcc
	global_store_dword v[14:15], v17, off
	v_add_co_u32_e32 v14, vcc, 4, v14
	v_add_f32_e32 v18, v18, v17
	v_cndmask_b32_e64 v7, v21, v7, s[2:3]
	v_cndmask_b32_e64 v6, v21, v6, s[4:5]
	;; [unrolled: 1-line block ×8, first 2 shown]
	v_add_u32_e32 v16, s33, v16
	s_cmp_eq_u32 s24, 0
	v_addc_co_u32_e32 v15, vcc, 0, v15, vcc
	s_cbranch_scc0 .LBB239_7
	s_branch .LBB239_9
.LBB239_8:
	v_mov_b32_e32 v18, 0
.LBB239_9:
	v_pk_add_f32 v[8:9], v[8:9], v[0:1] op_sel_hi:[1,0] neg_lo:[0,1] neg_hi:[0,1]
	s_mov_b32 s0, 0x3fb8aa3b
	v_mul_f32_e32 v10, 0x3fb8aa3b, v9
	v_fma_f32 v11, v9, s0, -v10
	v_rndne_f32_e32 v12, v10
	v_fmac_f32_e32 v11, 0x32a5705f, v9
	v_sub_f32_e32 v10, v10, v12
	v_add_f32_e32 v10, v10, v11
	v_exp_f32_e32 v10, v10
	v_cvt_i32_f32_e32 v11, v12
	s_mov_b32 s1, 0xc2ce8ed0
	v_cmp_ngt_f32_e32 vcc, s1, v9
	s_mov_b32 s2, 0x42b17218
	v_ldexp_f32 v10, v10, v11
	v_mul_f32_e32 v11, 0x3fb8aa3b, v8
	v_fma_f32 v12, v8, s0, -v11
	v_rndne_f32_e32 v13, v11
	v_fmac_f32_e32 v12, 0x32a5705f, v8
	v_sub_f32_e32 v11, v11, v13
	v_add_f32_e32 v11, v11, v12
	v_exp_f32_e32 v11, v11
	v_cvt_i32_f32_e32 v12, v13
	v_cndmask_b32_e32 v10, 0, v10, vcc
	v_mov_b32_e32 v13, 0x7f800000
	v_cmp_nlt_f32_e32 vcc, s2, v9
	v_sub_f32_e32 v2, v2, v0
	v_cndmask_b32_e32 v9, v13, v10, vcc
	v_ldexp_f32 v10, v11, v12
	v_mul_f32_e32 v11, 0x3fb8aa3b, v2
	v_fma_f32 v12, v2, s0, -v11
	v_rndne_f32_e32 v14, v11
	v_fmac_f32_e32 v12, 0x32a5705f, v2
	v_sub_f32_e32 v11, v11, v14
	v_add_f32_e32 v11, v11, v12
	v_exp_f32_e32 v11, v11
	v_cvt_i32_f32_e32 v12, v14
	v_cmp_ngt_f32_e32 vcc, s1, v8
	v_cndmask_b32_e32 v10, 0, v10, vcc
	v_cmp_nlt_f32_e32 vcc, s2, v8
	v_sub_f32_e32 v3, v3, v0
	v_cndmask_b32_e32 v8, v13, v10, vcc
	v_mul_f32_e32 v10, 0x3fb8aa3b, v3
	v_add_f32_e32 v8, v8, v9
	v_ldexp_f32 v9, v11, v12
	v_fma_f32 v11, v3, s0, -v10
	v_rndne_f32_e32 v12, v10
	v_fmac_f32_e32 v11, 0x32a5705f, v3
	v_sub_f32_e32 v10, v10, v12
	v_add_f32_e32 v10, v10, v11
	v_exp_f32_e32 v10, v10
	v_cvt_i32_f32_e32 v11, v12
	v_cmp_ngt_f32_e32 vcc, s1, v2
	v_cndmask_b32_e32 v9, 0, v9, vcc
	v_cmp_nlt_f32_e32 vcc, s2, v2
	v_sub_f32_e32 v4, v4, v0
	v_cndmask_b32_e32 v2, v13, v9, vcc
	v_mul_f32_e32 v9, 0x3fb8aa3b, v4
	v_add_f32_e32 v2, v8, v2
	v_ldexp_f32 v8, v10, v11
	;; [unrolled: 15-line block ×5, first 2 shown]
	v_fma_f32 v6, v0, s0, -v5
	v_rndne_f32_e32 v7, v5
	v_fmac_f32_e32 v6, 0x32a5705f, v0
	v_sub_f32_e32 v5, v5, v7
	v_add_f32_e32 v5, v5, v6
	v_exp_f32_e32 v5, v5
	v_cvt_i32_f32_e32 v6, v7
	v_cmp_ngt_f32_e32 vcc, s1, v4
	v_cndmask_b32_e32 v3, 0, v3, vcc
	v_cmp_nlt_f32_e32 vcc, s2, v4
	v_cndmask_b32_e32 v3, v13, v3, vcc
	v_add_f32_e32 v2, v2, v3
	v_ldexp_f32 v3, v5, v6
	v_cmp_ngt_f32_e32 vcc, s1, v0
	v_cndmask_b32_e32 v3, 0, v3, vcc
	v_cmp_nlt_f32_e32 vcc, s2, v0
	v_cndmask_b32_e32 v0, v13, v3, vcc
	v_add_f32_e32 v0, v2, v0
	v_add_f32_e32 v0, v18, v0
	v_cmp_neq_f32_e32 vcc, 0, v0
	s_and_b64 exec, exec, vcc
	s_cbranch_execz .LBB239_20
; %bb.10:
	s_andn2_b64 vcc, exec, s[28:29]
	s_cbranch_vccnz .LBB239_20
; %bb.11:
	v_div_scale_f32 v2, s[0:1], v0, v0, 1.0
	v_rcp_f32_e32 v3, v2
	v_div_scale_f32 v4, vcc, 1.0, v0, 1.0
	s_cmp_gt_u32 s20, 3
	v_fma_f32 v5, -v2, v3, 1.0
	v_fmac_f32_e32 v3, v5, v3
	v_mul_f32_e32 v5, v4, v3
	v_fma_f32 v6, -v2, v5, v4
	v_fmac_f32_e32 v5, v6, v3
	v_fma_f32 v2, -v2, v5, v4
	v_div_fmas_f32 v2, v2, v3, v5
	v_div_fixup_f32 v0, v2, v0, 1.0
	v_mul_lo_u32 v2, v1, s23
	v_ashrrev_i32_e32 v3, 31, v2
	s_cbranch_scc0 .LBB239_15
; %bb.12:
	v_lshlrev_b64 v[4:5], 2, v[2:3]
	v_mov_b32_e32 v6, s19
	v_add_co_u32_e32 v4, vcc, s18, v4
	v_addc_co_u32_e32 v5, vcc, v5, v6, vcc
	s_and_b32 s4, s20, 0x7ffffffc
	v_add_co_u32_e32 v4, vcc, 8, v4
	v_mov_b32_e32 v1, v0
	v_addc_co_u32_e32 v5, vcc, 0, v5, vcc
	s_mov_b32 s0, s4
.LBB239_13:                             ; =>This Inner Loop Header: Depth=1
	global_load_dwordx4 v[6:9], v[4:5], off offset:-8
	s_add_i32 s0, s0, -4
	s_cmp_lg_u32 s0, 0
	s_waitcnt vmcnt(0)
	v_pk_mul_f32 v[6:7], v[0:1], v[6:7]
	v_pk_mul_f32 v[8:9], v[0:1], v[8:9]
	global_store_dwordx4 v[4:5], v[6:9], off offset:-8
	v_add_co_u32_e32 v4, vcc, 16, v4
	v_addc_co_u32_e32 v5, vcc, 0, v5, vcc
	s_cbranch_scc1 .LBB239_13
; %bb.14:
	s_cmp_lg_u32 s4, s20
	s_cselect_b64 s[0:1], -1, 0
	s_branch .LBB239_17
.LBB239_15:
	s_mov_b64 s[0:1], 0
                                        ; implicit-def: $sgpr4
	s_cbranch_execz .LBB239_17
; %bb.16:
	s_mov_b64 s[0:1], -1
	s_mov_b32 s4, 0
.LBB239_17:
	s_andn2_b64 vcc, exec, s[0:1]
	s_cbranch_vccnz .LBB239_20
; %bb.18:
	v_add_co_u32_e32 v2, vcc, s4, v2
	v_addc_co_u32_e32 v3, vcc, 0, v3, vcc
	v_lshlrev_b64 v[2:3], 2, v[2:3]
	v_mov_b32_e32 v1, s19
	v_add_co_u32_e32 v2, vcc, s18, v2
	s_sub_i32 s0, s20, s4
	v_addc_co_u32_e32 v3, vcc, v1, v3, vcc
.LBB239_19:                             ; =>This Inner Loop Header: Depth=1
	global_load_dword v1, v[2:3], off
	s_add_i32 s0, s0, -1
	s_cmp_lg_u32 s0, 0
	s_waitcnt vmcnt(0)
	v_mul_f32_e32 v1, v0, v1
	global_store_dword v[2:3], v1, off
	v_add_co_u32_e32 v2, vcc, 4, v2
	v_addc_co_u32_e32 v3, vcc, 0, v3, vcc
	s_cbranch_scc1 .LBB239_19
.LBB239_20:
	s_endpgm
	.section	.rodata,"a",@progbits
	.p2align	6, 0x0
	.amdhsa_kernel _ZN4vllm3moe17topkGatingSoftmaxItLi8ELi8ELi8ELi16ELb0ELi0ELNS0_23SharedExpertScoringFuncE0EEEvPKT_PKbPfiPiS9_iiiiii
		.amdhsa_group_segment_fixed_size 0
		.amdhsa_private_segment_fixed_size 0
		.amdhsa_kernarg_size 72
		.amdhsa_user_sgpr_count 6
		.amdhsa_user_sgpr_private_segment_buffer 1
		.amdhsa_user_sgpr_dispatch_ptr 0
		.amdhsa_user_sgpr_queue_ptr 0
		.amdhsa_user_sgpr_kernarg_segment_ptr 1
		.amdhsa_user_sgpr_dispatch_id 0
		.amdhsa_user_sgpr_flat_scratch_init 0
		.amdhsa_user_sgpr_kernarg_preload_length 0
		.amdhsa_user_sgpr_kernarg_preload_offset 0
		.amdhsa_user_sgpr_private_segment_size 0
		.amdhsa_uses_dynamic_stack 0
		.amdhsa_system_sgpr_private_segment_wavefront_offset 0
		.amdhsa_system_sgpr_workgroup_id_x 1
		.amdhsa_system_sgpr_workgroup_id_y 0
		.amdhsa_system_sgpr_workgroup_id_z 0
		.amdhsa_system_sgpr_workgroup_info 0
		.amdhsa_system_vgpr_workitem_id 1
		.amdhsa_next_free_vgpr 24
		.amdhsa_next_free_sgpr 38
		.amdhsa_accum_offset 24
		.amdhsa_reserve_vcc 1
		.amdhsa_reserve_flat_scratch 0
		.amdhsa_float_round_mode_32 0
		.amdhsa_float_round_mode_16_64 0
		.amdhsa_float_denorm_mode_32 3
		.amdhsa_float_denorm_mode_16_64 3
		.amdhsa_dx10_clamp 1
		.amdhsa_ieee_mode 1
		.amdhsa_fp16_overflow 0
		.amdhsa_tg_split 0
		.amdhsa_exception_fp_ieee_invalid_op 0
		.amdhsa_exception_fp_denorm_src 0
		.amdhsa_exception_fp_ieee_div_zero 0
		.amdhsa_exception_fp_ieee_overflow 0
		.amdhsa_exception_fp_ieee_underflow 0
		.amdhsa_exception_fp_ieee_inexact 0
		.amdhsa_exception_int_div_zero 0
	.end_amdhsa_kernel
	.section	.text._ZN4vllm3moe17topkGatingSoftmaxItLi8ELi8ELi8ELi16ELb0ELi0ELNS0_23SharedExpertScoringFuncE0EEEvPKT_PKbPfiPiS9_iiiiii,"axG",@progbits,_ZN4vllm3moe17topkGatingSoftmaxItLi8ELi8ELi8ELi16ELb0ELi0ELNS0_23SharedExpertScoringFuncE0EEEvPKT_PKbPfiPiS9_iiiiii,comdat
.Lfunc_end239:
	.size	_ZN4vllm3moe17topkGatingSoftmaxItLi8ELi8ELi8ELi16ELb0ELi0ELNS0_23SharedExpertScoringFuncE0EEEvPKT_PKbPfiPiS9_iiiiii, .Lfunc_end239-_ZN4vllm3moe17topkGatingSoftmaxItLi8ELi8ELi8ELi16ELb0ELi0ELNS0_23SharedExpertScoringFuncE0EEEvPKT_PKbPfiPiS9_iiiiii
                                        ; -- End function
	.section	.AMDGPU.csdata,"",@progbits
; Kernel info:
; codeLenInByte = 2404
; NumSgprs: 42
; NumVgprs: 24
; NumAgprs: 0
; TotalNumVgprs: 24
; ScratchSize: 0
; MemoryBound: 0
; FloatMode: 240
; IeeeMode: 1
; LDSByteSize: 0 bytes/workgroup (compile time only)
; SGPRBlocks: 5
; VGPRBlocks: 2
; NumSGPRsForWavesPerEU: 42
; NumVGPRsForWavesPerEU: 24
; AccumOffset: 24
; Occupancy: 8
; WaveLimiterHint : 0
; COMPUTE_PGM_RSRC2:SCRATCH_EN: 0
; COMPUTE_PGM_RSRC2:USER_SGPR: 6
; COMPUTE_PGM_RSRC2:TRAP_HANDLER: 0
; COMPUTE_PGM_RSRC2:TGID_X_EN: 1
; COMPUTE_PGM_RSRC2:TGID_Y_EN: 0
; COMPUTE_PGM_RSRC2:TGID_Z_EN: 0
; COMPUTE_PGM_RSRC2:TIDIG_COMP_CNT: 1
; COMPUTE_PGM_RSRC3_GFX90A:ACCUM_OFFSET: 5
; COMPUTE_PGM_RSRC3_GFX90A:TG_SPLIT: 0
	.section	.text._ZN4vllm3moe17topkGatingSoftmaxItLi8ELi8ELi8ELi16ELb1ELi1ELNS0_23SharedExpertScoringFuncE1EEEvPKT_PKbPfiPiS9_iiiiii,"axG",@progbits,_ZN4vllm3moe17topkGatingSoftmaxItLi8ELi8ELi8ELi16ELb1ELi1ELNS0_23SharedExpertScoringFuncE1EEEvPKT_PKbPfiPiS9_iiiiii,comdat
	.protected	_ZN4vllm3moe17topkGatingSoftmaxItLi8ELi8ELi8ELi16ELb1ELi1ELNS0_23SharedExpertScoringFuncE1EEEvPKT_PKbPfiPiS9_iiiiii ; -- Begin function _ZN4vllm3moe17topkGatingSoftmaxItLi8ELi8ELi8ELi16ELb1ELi1ELNS0_23SharedExpertScoringFuncE1EEEvPKT_PKbPfiPiS9_iiiiii
	.globl	_ZN4vllm3moe17topkGatingSoftmaxItLi8ELi8ELi8ELi16ELb1ELi1ELNS0_23SharedExpertScoringFuncE1EEEvPKT_PKbPfiPiS9_iiiiii
	.p2align	8
	.type	_ZN4vllm3moe17topkGatingSoftmaxItLi8ELi8ELi8ELi16ELb1ELi1ELNS0_23SharedExpertScoringFuncE1EEEvPKT_PKbPfiPiS9_iiiiii,@function
_ZN4vllm3moe17topkGatingSoftmaxItLi8ELi8ELi8ELi16ELb1ELi1ELNS0_23SharedExpertScoringFuncE1EEEvPKT_PKbPfiPiS9_iiiiii: ; @_ZN4vllm3moe17topkGatingSoftmaxItLi8ELi8ELi8ELi16ELb1ELi1ELNS0_23SharedExpertScoringFuncE1EEEvPKT_PKbPfiPiS9_iiiiii
; %bb.0:
	s_load_dword s28, s[4:5], 0x18
	v_bfe_u32 v1, v0, 10, 10
	s_lshl_b32 s8, s6, 9
	v_lshlrev_b32_e32 v17, 6, v1
	v_and_b32_e32 v18, 0x3ff, v0
	v_add3_u32 v4, v17, v18, s8
	s_waitcnt lgkmcnt(0)
	v_cmp_gt_i32_e32 vcc, s28, v4
	s_and_saveexec_b64 s[0:1], vcc
	s_cbranch_execz .LBB240_19
; %bb.1:
	s_load_dwordx4 s[0:3], s[4:5], 0x0
	s_load_dwordx2 s[18:19], s[4:5], 0x10
	s_waitcnt lgkmcnt(0)
	s_cmp_eq_u64 s[2:3], 0
	s_cbranch_scc1 .LBB240_3
; %bb.2:
	v_ashrrev_i32_e32 v1, 31, v4
	v_mov_b32_e32 v2, s3
	v_add_co_u32_e32 v0, vcc, s2, v4
	v_addc_co_u32_e32 v1, vcc, v2, v1, vcc
	global_load_ubyte v0, v[0:1], off
	s_waitcnt vmcnt(0)
	v_and_b32_e32 v0, 1, v0
	v_cmp_eq_u32_e32 vcc, 1, v0
	s_xor_b64 s[2:3], vcc, -1
	s_orn2_b64 s[24:25], s[2:3], exec
	s_branch .LBB240_4
.LBB240_3:
	s_mov_b64 s[24:25], -1
.LBB240_4:
	s_load_dwordx2 s[2:3], s[4:5], 0x40
	s_load_dwordx4 s[20:23], s[4:5], 0x30
	v_mov_b32_e32 v2, s1
	s_mov_b32 s1, 0x42ce8ed0
	v_mov_b32_e32 v5, 0x7f800000
	s_waitcnt lgkmcnt(0)
	v_mul_lo_u32 v0, v4, s3
	v_ashrrev_i32_e32 v1, 31, v0
	v_lshlrev_b64 v[0:1], 1, v[0:1]
	v_add_co_u32_e32 v6, vcc, s0, v0
	v_addc_co_u32_e32 v7, vcc, v2, v1, vcc
	global_load_ushort v8, v[6:7], off offset:16
	global_load_dwordx4 v[0:3], v[6:7], off
	s_mov_b32 s0, 0xbfb8aa3b
	s_mov_b32 s3, 0xc2b17218
	v_mov_b32_e32 v9, s19
	s_cmp_gt_i32 s20, 0
	v_mov_b32_e32 v16, 0
	s_cselect_b64 s[26:27], -1, 0
	s_cmp_lt_i32 s20, 1
	s_waitcnt vmcnt(1)
	v_cvt_f32_u32_e32 v10, v8
	v_mul_lo_u32 v8, v4, s23
	v_add_u32_e32 v6, s20, v8
	v_mul_f32_e32 v7, 0xbfb8aa3b, v10
	v_fma_f32 v11, v10, s0, -v7
	v_rndne_f32_e32 v12, v7
	v_fmac_f32_e32 v11, 0xb2a5705f, v10
	v_sub_f32_e32 v7, v7, v12
	v_add_f32_e32 v7, v7, v11
	v_cvt_i32_f32_e32 v12, v12
	v_exp_f32_e32 v11, v7
	v_cmp_nlt_f32_e32 vcc, s1, v10
	v_ashrrev_i32_e32 v7, 31, v6
	v_lshlrev_b64 v[6:7], 2, v[6:7]
	v_ldexp_f32 v11, v11, v12
	v_cndmask_b32_e32 v11, 0, v11, vcc
	v_cmp_ngt_f32_e32 vcc, s3, v10
	v_cndmask_b32_e32 v10, v5, v11, vcc
	v_add_f32_e32 v10, 1.0, v10
	v_div_scale_f32 v11, s[0:1], v10, v10, 1.0
	v_rcp_f32_e32 v12, v11
	v_add_co_u32_e32 v6, vcc, s18, v6
	v_addc_co_u32_e32 v7, vcc, v9, v7, vcc
	v_fma_f32 v13, -v11, v12, 1.0
	v_div_scale_f32 v9, vcc, 1.0, v10, 1.0
	v_fmac_f32_e32 v12, v13, v12
	v_mul_f32_e32 v13, v9, v12
	v_fma_f32 v14, -v11, v13, v9
	v_fmac_f32_e32 v13, v14, v12
	v_fma_f32 v9, -v11, v13, v9
	v_div_fmas_f32 v9, v9, v12, v13
	v_div_fixup_f32 v9, v9, v10, 1.0
	global_store_dword v[6:7], v9, off
	s_cbranch_scc1 .LBB240_8
; %bb.5:
	s_waitcnt vmcnt(1)
	v_cvt_f32_u32_sdwa v20, v0 dst_sel:DWORD dst_unused:UNUSED_PAD src0_sel:WORD_1
	v_cvt_f32_u32_sdwa v21, v0 dst_sel:DWORD dst_unused:UNUSED_PAD src0_sel:WORD_0
	v_cvt_f32_u32_sdwa v22, v1 dst_sel:DWORD dst_unused:UNUSED_PAD src0_sel:WORD_0
	v_cvt_f32_u32_sdwa v14, v1 dst_sel:DWORD dst_unused:UNUSED_PAD src0_sel:WORD_1
	v_cvt_f32_u32_sdwa v15, v2 dst_sel:DWORD dst_unused:UNUSED_PAD src0_sel:WORD_0
	v_cmp_lt_f32_e32 vcc, v21, v20
	v_cndmask_b32_e32 v1, v21, v20, vcc
	v_cndmask_b32_e64 v0, 0, 1, vcc
	v_cmp_lt_f32_e32 vcc, v1, v22
	v_cndmask_b32_e32 v1, v1, v22, vcc
	v_cvt_f32_u32_sdwa v24, v2 dst_sel:DWORD dst_unused:UNUSED_PAD src0_sel:WORD_1
	v_cndmask_b32_e64 v0, v0, 2, vcc
	v_cmp_lt_f32_e32 vcc, v1, v14
	v_cndmask_b32_e32 v1, v1, v14, vcc
	v_cvt_f32_u32_sdwa v6, v3 dst_sel:DWORD dst_unused:UNUSED_PAD src0_sel:WORD_0
	v_cndmask_b32_e64 v0, v0, 3, vcc
	v_cmp_lt_f32_e32 vcc, v1, v15
	v_cndmask_b32_e32 v1, v1, v15, vcc
	v_cvt_f32_u32_sdwa v7, v3 dst_sel:DWORD dst_unused:UNUSED_PAD src0_sel:WORD_1
	v_cndmask_b32_e64 v0, v0, 4, vcc
	v_cmp_lt_f32_e32 vcc, v1, v24
	v_cndmask_b32_e32 v1, v1, v24, vcc
	v_cndmask_b32_e64 v0, v0, 5, vcc
	v_cmp_lt_f32_e32 vcc, v1, v6
	v_cndmask_b32_e32 v1, v1, v6, vcc
	;; [unrolled: 3-line block ×3, first 2 shown]
	v_cndmask_b32_e64 v23, v0, 7, vcc
	v_sub_f32_e32 v0, v19, v19
	s_mov_b32 s23, 0x3fb8aa3b
	v_mul_f32_e32 v1, 0x3fb8aa3b, v0
	v_fma_f32 v2, v0, s23, -v1
	v_rndne_f32_e32 v3, v1
	v_fmac_f32_e32 v2, 0x32a5705f, v0
	v_sub_f32_e32 v1, v1, v3
	v_add_f32_e32 v1, v1, v2
	v_exp_f32_e32 v1, v1
	v_cvt_i32_f32_e32 v2, v3
	v_cmp_le_i32_e32 vcc, s21, v23
	v_cmp_gt_i32_e64 s[0:1], s22, v23
	s_mov_b32 s29, 0xc2ce8ed0
	v_mul_lo_u32 v10, v4, s2
	s_and_b64 s[2:3], vcc, s[0:1]
	v_ldexp_f32 v1, v1, v2
	v_cmp_ngt_f32_e32 vcc, s29, v0
	s_mov_b32 s30, 0x42b17218
	s_load_dwordx4 s[4:7], s[4:5], 0x20
	v_cndmask_b32_e32 v1, 0, v1, vcc
	v_cmp_nlt_f32_e32 vcc, s30, v0
	v_ashrrev_i32_e32 v9, 31, v8
	v_cndmask_b32_e32 v16, v5, v1, vcc
	v_lshlrev_b64 v[0:1], 2, v[8:9]
	v_mov_b32_e32 v3, s19
	v_add_co_u32_e32 v2, vcc, s18, v0
	v_addc_co_u32_e64 v3, s[0:1], v3, v1, vcc
	v_ashrrev_i32_e32 v11, 31, v10
	v_subrev_u32_e32 v0, s21, v23
	s_and_b64 s[0:1], s[24:25], s[2:3]
	v_lshlrev_b64 v[12:13], 2, v[10:11]
	v_mul_lo_u32 v26, v4, s20
	global_store_dword v[2:3], v16, off
	v_cndmask_b32_e64 v0, 8, v0, s[0:1]
	s_waitcnt lgkmcnt(0)
	v_mov_b32_e32 v3, s5
	v_add_co_u32_e64 v10, s[0:1], s4, v12
	v_addc_co_u32_e64 v11, s[0:1], v3, v13, s[0:1]
	v_ashrrev_i32_e32 v27, 31, v26
	global_store_dword v[10:11], v0, off
	v_lshlrev_b64 v[10:11], 2, v[26:27]
	v_mov_b32_e32 v0, s7
	v_add_co_u32_e64 v26, s[0:1], s6, v10
	v_addc_co_u32_e64 v27, s[0:1], v0, v11, s[0:1]
	s_cmp_eq_u32 s20, 1
	global_store_dword v[26:27], v4, off
	s_cbranch_scc1 .LBB240_8
; %bb.6:
	v_mov_b32_e32 v9, 0xff800000
	v_cmp_ne_u32_e64 s[0:1], 7, v23
	v_cndmask_b32_e64 v7, v9, v7, s[0:1]
	v_cmp_ne_u32_e64 s[0:1], 6, v23
	v_cndmask_b32_e64 v6, v9, v6, s[0:1]
	;; [unrolled: 2-line block ×5, first 2 shown]
	v_mov_b32_e32 v0, s7
	v_add_co_u32_e64 v10, s[0:1], s6, v10
	v_addc_co_u32_e64 v0, s[0:1], v11, v0, s[0:1]
	v_add_co_u32_e64 v10, s[0:1], 4, v10
	v_addc_co_u32_e64 v11, s[0:1], 0, v0, s[0:1]
	v_mov_b32_e32 v0, s5
	v_add_co_u32_e64 v12, s[0:1], s4, v12
	v_addc_co_u32_e64 v0, s[0:1], v13, v0, s[0:1]
	v_add_co_u32_e64 v12, s[0:1], 4, v12
	v_addc_co_u32_e64 v13, s[0:1], 0, v0, s[0:1]
	v_mov_b32_e32 v0, s19
	v_addc_co_u32_e32 v0, vcc, v1, v0, vcc
	v_add_co_u32_e32 v14, vcc, 4, v2
	v_addc_co_u32_e32 v15, vcc, 0, v0, vcc
	v_cmp_ne_u32_e32 vcc, 2, v23
	v_cndmask_b32_e32 v2, v9, v22, vcc
	v_cmp_ne_u32_e32 vcc, 0, v23
	s_add_i32 s8, s8, s28
	v_cmp_ne_u32_e64 s[0:1], 1, v23
	s_add_i32 s31, s20, -1
	v_add3_u32 v17, s8, v18, v17
	v_mov_b32_e32 v18, 0x7f800000
	v_cndmask_b32_e64 v1, v9, v20, s[0:1]
	v_cndmask_b32_e32 v0, v9, v21, vcc
.LBB240_7:                              ; =>This Inner Loop Header: Depth=1
	v_cmp_gt_f32_e32 vcc, v1, v0
	v_cndmask_b32_e32 v20, v0, v1, vcc
	v_cmp_gt_f32_e64 s[0:1], v2, v20
	v_cndmask_b32_e64 v20, v20, v2, s[0:1]
	v_cmp_gt_f32_e64 s[2:3], v3, v20
	v_cndmask_b32_e64 v20, v20, v3, s[2:3]
	;; [unrolled: 2-line block ×6, first 2 shown]
	v_sub_f32_e32 v20, v20, v19
	v_mul_f32_e32 v21, 0x3fb8aa3b, v20
	v_fma_f32 v22, v20, s23, -v21
	v_rndne_f32_e32 v23, v21
	v_fmac_f32_e32 v22, 0x32a5705f, v20
	v_sub_f32_e32 v21, v21, v23
	v_add_f32_e32 v21, v21, v22
	v_cndmask_b32_e64 v22, 0, 1, vcc
	v_cndmask_b32_e64 v22, v22, 2, s[0:1]
	v_cndmask_b32_e64 v22, v22, 3, s[2:3]
	v_cndmask_b32_e64 v22, v22, 4, s[4:5]
	v_cndmask_b32_e64 v22, v22, 5, s[6:7]
	v_cndmask_b32_e64 v22, v22, 6, s[8:9]
	v_cndmask_b32_e64 v22, v22, 7, s[10:11]
	v_cmp_le_i32_e32 vcc, s21, v22
	v_cmp_gt_i32_e64 s[0:1], s22, v22
	s_and_b64 s[0:1], vcc, s[0:1]
	v_cmp_ne_u32_e64 s[2:3], 7, v22
	v_cmp_ne_u32_e64 s[4:5], 6, v22
	;; [unrolled: 1-line block ×8, first 2 shown]
	v_subrev_u32_e32 v22, s21, v22
	s_and_b64 vcc, s[24:25], s[0:1]
	v_cndmask_b32_e32 v22, 8, v22, vcc
	global_store_dword v[12:13], v22, off
	v_cvt_i32_f32_e32 v22, v23
	v_exp_f32_e32 v21, v21
	v_cmp_ngt_f32_e32 vcc, s29, v20
	global_store_dword v[10:11], v17, off
	s_add_i32 s31, s31, -1
	v_ldexp_f32 v21, v21, v22
	v_cndmask_b32_e32 v21, 0, v21, vcc
	v_cmp_nlt_f32_e32 vcc, s30, v20
	v_cndmask_b32_e32 v20, v18, v21, vcc
	v_add_co_u32_e32 v10, vcc, 4, v10
	v_addc_co_u32_e32 v11, vcc, 0, v11, vcc
	v_add_co_u32_e32 v12, vcc, 4, v12
	v_addc_co_u32_e32 v13, vcc, 0, v13, vcc
	global_store_dword v[14:15], v20, off
	v_add_co_u32_e32 v14, vcc, 4, v14
	v_add_f32_e32 v16, v16, v20
	v_cndmask_b32_e64 v7, v9, v7, s[2:3]
	v_cndmask_b32_e64 v6, v9, v6, s[4:5]
	;; [unrolled: 1-line block ×8, first 2 shown]
	v_add_u32_e32 v17, s28, v17
	s_cmp_eq_u32 s31, 0
	v_addc_co_u32_e32 v15, vcc, 0, v15, vcc
	s_cbranch_scc0 .LBB240_7
.LBB240_8:
	v_cmp_neq_f32_e32 vcc, 0, v16
	s_and_b64 exec, exec, vcc
	s_cbranch_execz .LBB240_19
; %bb.9:
	s_andn2_b64 vcc, exec, s[26:27]
	s_cbranch_vccnz .LBB240_19
; %bb.10:
	s_waitcnt vmcnt(1)
	v_div_scale_f32 v0, s[0:1], v16, v16, 1.0
	v_rcp_f32_e32 v1, v0
	v_div_scale_f32 v2, vcc, 1.0, v16, 1.0
	s_cmp_gt_u32 s20, 3
	v_fma_f32 v3, -v0, v1, 1.0
	v_fmac_f32_e32 v1, v3, v1
	v_mul_f32_e32 v3, v2, v1
	v_fma_f32 v4, -v0, v3, v2
	v_fmac_f32_e32 v3, v4, v1
	v_fma_f32 v0, -v0, v3, v2
	v_div_fmas_f32 v0, v0, v1, v3
	v_div_fixup_f32 v0, v0, v16, 1.0
	v_ashrrev_i32_e32 v9, 31, v8
	s_cbranch_scc0 .LBB240_14
; %bb.11:
	v_lshlrev_b64 v[2:3], 2, v[8:9]
	v_mov_b32_e32 v4, s19
	v_add_co_u32_e32 v2, vcc, s18, v2
	v_addc_co_u32_e32 v3, vcc, v3, v4, vcc
	s_and_b32 s4, s20, 0x7ffffffc
	v_add_co_u32_e32 v2, vcc, 8, v2
	v_mov_b32_e32 v1, v0
	v_addc_co_u32_e32 v3, vcc, 0, v3, vcc
	s_mov_b32 s0, s4
.LBB240_12:                             ; =>This Inner Loop Header: Depth=1
	global_load_dwordx4 v[4:7], v[2:3], off offset:-8
	s_add_i32 s0, s0, -4
	s_cmp_lg_u32 s0, 0
	s_waitcnt vmcnt(0)
	v_pk_mul_f32 v[4:5], v[0:1], v[4:5]
	v_pk_mul_f32 v[6:7], v[0:1], v[6:7]
	global_store_dwordx4 v[2:3], v[4:7], off offset:-8
	v_add_co_u32_e32 v2, vcc, 16, v2
	v_addc_co_u32_e32 v3, vcc, 0, v3, vcc
	s_cbranch_scc1 .LBB240_12
; %bb.13:
	s_cmp_lg_u32 s4, s20
	s_cselect_b64 s[0:1], -1, 0
	s_branch .LBB240_16
.LBB240_14:
	s_mov_b64 s[0:1], 0
                                        ; implicit-def: $sgpr4
	s_cbranch_execz .LBB240_16
; %bb.15:
	s_mov_b64 s[0:1], -1
	s_mov_b32 s4, 0
.LBB240_16:
	s_andn2_b64 vcc, exec, s[0:1]
	s_cbranch_vccnz .LBB240_19
; %bb.17:
	v_add_co_u32_e32 v2, vcc, s4, v8
	v_addc_co_u32_e32 v3, vcc, 0, v9, vcc
	v_lshlrev_b64 v[2:3], 2, v[2:3]
	v_mov_b32_e32 v1, s19
	v_add_co_u32_e32 v2, vcc, s18, v2
	s_sub_i32 s0, s20, s4
	v_addc_co_u32_e32 v3, vcc, v1, v3, vcc
.LBB240_18:                             ; =>This Inner Loop Header: Depth=1
	global_load_dword v1, v[2:3], off
	s_add_i32 s0, s0, -1
	s_cmp_lg_u32 s0, 0
	s_waitcnt vmcnt(0)
	v_mul_f32_e32 v1, v0, v1
	global_store_dword v[2:3], v1, off
	v_add_co_u32_e32 v2, vcc, 4, v2
	v_addc_co_u32_e32 v3, vcc, 0, v3, vcc
	s_cbranch_scc1 .LBB240_18
.LBB240_19:
	s_endpgm
	.section	.rodata,"a",@progbits
	.p2align	6, 0x0
	.amdhsa_kernel _ZN4vllm3moe17topkGatingSoftmaxItLi8ELi8ELi8ELi16ELb1ELi1ELNS0_23SharedExpertScoringFuncE1EEEvPKT_PKbPfiPiS9_iiiiii
		.amdhsa_group_segment_fixed_size 0
		.amdhsa_private_segment_fixed_size 0
		.amdhsa_kernarg_size 72
		.amdhsa_user_sgpr_count 6
		.amdhsa_user_sgpr_private_segment_buffer 1
		.amdhsa_user_sgpr_dispatch_ptr 0
		.amdhsa_user_sgpr_queue_ptr 0
		.amdhsa_user_sgpr_kernarg_segment_ptr 1
		.amdhsa_user_sgpr_dispatch_id 0
		.amdhsa_user_sgpr_flat_scratch_init 0
		.amdhsa_user_sgpr_kernarg_preload_length 0
		.amdhsa_user_sgpr_kernarg_preload_offset 0
		.amdhsa_user_sgpr_private_segment_size 0
		.amdhsa_uses_dynamic_stack 0
		.amdhsa_system_sgpr_private_segment_wavefront_offset 0
		.amdhsa_system_sgpr_workgroup_id_x 1
		.amdhsa_system_sgpr_workgroup_id_y 0
		.amdhsa_system_sgpr_workgroup_id_z 0
		.amdhsa_system_sgpr_workgroup_info 0
		.amdhsa_system_vgpr_workitem_id 1
		.amdhsa_next_free_vgpr 28
		.amdhsa_next_free_sgpr 32
		.amdhsa_accum_offset 28
		.amdhsa_reserve_vcc 1
		.amdhsa_reserve_flat_scratch 0
		.amdhsa_float_round_mode_32 0
		.amdhsa_float_round_mode_16_64 0
		.amdhsa_float_denorm_mode_32 3
		.amdhsa_float_denorm_mode_16_64 3
		.amdhsa_dx10_clamp 1
		.amdhsa_ieee_mode 1
		.amdhsa_fp16_overflow 0
		.amdhsa_tg_split 0
		.amdhsa_exception_fp_ieee_invalid_op 0
		.amdhsa_exception_fp_denorm_src 0
		.amdhsa_exception_fp_ieee_div_zero 0
		.amdhsa_exception_fp_ieee_overflow 0
		.amdhsa_exception_fp_ieee_underflow 0
		.amdhsa_exception_fp_ieee_inexact 0
		.amdhsa_exception_int_div_zero 0
	.end_amdhsa_kernel
	.section	.text._ZN4vllm3moe17topkGatingSoftmaxItLi8ELi8ELi8ELi16ELb1ELi1ELNS0_23SharedExpertScoringFuncE1EEEvPKT_PKbPfiPiS9_iiiiii,"axG",@progbits,_ZN4vllm3moe17topkGatingSoftmaxItLi8ELi8ELi8ELi16ELb1ELi1ELNS0_23SharedExpertScoringFuncE1EEEvPKT_PKbPfiPiS9_iiiiii,comdat
.Lfunc_end240:
	.size	_ZN4vllm3moe17topkGatingSoftmaxItLi8ELi8ELi8ELi16ELb1ELi1ELNS0_23SharedExpertScoringFuncE1EEEvPKT_PKbPfiPiS9_iiiiii, .Lfunc_end240-_ZN4vllm3moe17topkGatingSoftmaxItLi8ELi8ELi8ELi16ELb1ELi1ELNS0_23SharedExpertScoringFuncE1EEEvPKT_PKbPfiPiS9_iiiiii
                                        ; -- End function
	.section	.AMDGPU.csdata,"",@progbits
; Kernel info:
; codeLenInByte = 1924
; NumSgprs: 36
; NumVgprs: 28
; NumAgprs: 0
; TotalNumVgprs: 28
; ScratchSize: 0
; MemoryBound: 0
; FloatMode: 240
; IeeeMode: 1
; LDSByteSize: 0 bytes/workgroup (compile time only)
; SGPRBlocks: 4
; VGPRBlocks: 3
; NumSGPRsForWavesPerEU: 36
; NumVGPRsForWavesPerEU: 28
; AccumOffset: 28
; Occupancy: 8
; WaveLimiterHint : 0
; COMPUTE_PGM_RSRC2:SCRATCH_EN: 0
; COMPUTE_PGM_RSRC2:USER_SGPR: 6
; COMPUTE_PGM_RSRC2:TRAP_HANDLER: 0
; COMPUTE_PGM_RSRC2:TGID_X_EN: 1
; COMPUTE_PGM_RSRC2:TGID_Y_EN: 0
; COMPUTE_PGM_RSRC2:TGID_Z_EN: 0
; COMPUTE_PGM_RSRC2:TIDIG_COMP_CNT: 1
; COMPUTE_PGM_RSRC3_GFX90A:ACCUM_OFFSET: 6
; COMPUTE_PGM_RSRC3_GFX90A:TG_SPLIT: 0
	.section	.text._ZN4vllm3moe17topkGatingSoftmaxItLi8ELi8ELi8ELi16ELb0ELi1ELNS0_23SharedExpertScoringFuncE1EEEvPKT_PKbPfiPiS9_iiiiii,"axG",@progbits,_ZN4vllm3moe17topkGatingSoftmaxItLi8ELi8ELi8ELi16ELb0ELi1ELNS0_23SharedExpertScoringFuncE1EEEvPKT_PKbPfiPiS9_iiiiii,comdat
	.protected	_ZN4vllm3moe17topkGatingSoftmaxItLi8ELi8ELi8ELi16ELb0ELi1ELNS0_23SharedExpertScoringFuncE1EEEvPKT_PKbPfiPiS9_iiiiii ; -- Begin function _ZN4vllm3moe17topkGatingSoftmaxItLi8ELi8ELi8ELi16ELb0ELi1ELNS0_23SharedExpertScoringFuncE1EEEvPKT_PKbPfiPiS9_iiiiii
	.globl	_ZN4vllm3moe17topkGatingSoftmaxItLi8ELi8ELi8ELi16ELb0ELi1ELNS0_23SharedExpertScoringFuncE1EEEvPKT_PKbPfiPiS9_iiiiii
	.p2align	8
	.type	_ZN4vllm3moe17topkGatingSoftmaxItLi8ELi8ELi8ELi16ELb0ELi1ELNS0_23SharedExpertScoringFuncE1EEEvPKT_PKbPfiPiS9_iiiiii,@function
_ZN4vllm3moe17topkGatingSoftmaxItLi8ELi8ELi8ELi16ELb0ELi1ELNS0_23SharedExpertScoringFuncE1EEEvPKT_PKbPfiPiS9_iiiiii: ; @_ZN4vllm3moe17topkGatingSoftmaxItLi8ELi8ELi8ELi16ELb0ELi1ELNS0_23SharedExpertScoringFuncE1EEEvPKT_PKbPfiPiS9_iiiiii
; %bb.0:
	s_load_dword s33, s[4:5], 0x18
	v_bfe_u32 v1, v0, 10, 10
	s_lshl_b32 s34, s6, 9
	v_lshlrev_b32_e32 v20, 6, v1
	v_and_b32_e32 v21, 0x3ff, v0
	v_add3_u32 v16, v20, v21, s34
	s_waitcnt lgkmcnt(0)
	v_cmp_gt_i32_e32 vcc, s33, v16
	s_and_saveexec_b64 s[0:1], vcc
	s_cbranch_execz .LBB241_19
; %bb.1:
	s_load_dwordx4 s[0:3], s[4:5], 0x0
	s_load_dwordx2 s[18:19], s[4:5], 0x10
	s_waitcnt lgkmcnt(0)
	s_cmp_eq_u64 s[2:3], 0
	s_cbranch_scc1 .LBB241_3
; %bb.2:
	v_ashrrev_i32_e32 v1, 31, v16
	v_mov_b32_e32 v2, s3
	v_add_co_u32_e32 v0, vcc, s2, v16
	v_addc_co_u32_e32 v1, vcc, v2, v1, vcc
	global_load_ubyte v0, v[0:1], off
	s_waitcnt vmcnt(0)
	v_and_b32_e32 v0, 1, v0
	v_cmp_eq_u32_e32 vcc, 1, v0
	s_xor_b64 s[2:3], vcc, -1
	s_orn2_b64 s[30:31], s[2:3], exec
	s_branch .LBB241_4
.LBB241_3:
	s_mov_b64 s[30:31], -1
.LBB241_4:
	s_load_dwordx2 s[14:15], s[4:5], 0x40
	s_load_dwordx4 s[20:23], s[4:5], 0x30
	v_mov_b32_e32 v2, s1
	v_mov_b32_e32 v5, s19
	s_mov_b32 s1, 0x42ce8ed0
	s_waitcnt lgkmcnt(0)
	v_mul_lo_u32 v0, v16, s15
	v_ashrrev_i32_e32 v1, 31, v0
	v_lshlrev_b64 v[0:1], 1, v[0:1]
	v_add_co_u32_e32 v0, vcc, s0, v0
	v_addc_co_u32_e32 v1, vcc, v2, v1, vcc
	global_load_ushort v4, v[0:1], off offset:16
	global_load_dwordx4 v[12:15], v[0:1], off
	v_mul_lo_u32 v0, v16, s23
	v_add_u32_e32 v2, s20, v0
	v_ashrrev_i32_e32 v3, 31, v2
	v_lshlrev_b64 v[2:3], 2, v[2:3]
	s_mov_b32 s0, 0xbfb8aa3b
	v_add_co_u32_e32 v18, vcc, s18, v2
	v_addc_co_u32_e32 v19, vcc, v5, v3, vcc
	s_mov_b32 s2, 0xc2b17218
	v_mov_b32_e32 v9, 0x7f800000
	s_cmp_gt_i32 s20, 0
	v_mov_b32_e32 v1, 0
	s_cselect_b64 s[28:29], -1, 0
	s_cmp_lt_i32 s20, 1
	s_waitcnt vmcnt(1)
	v_cvt_f32_u32_e32 v6, v4
	s_waitcnt vmcnt(0)
	v_cvt_f32_u32_sdwa v11, v12 dst_sel:DWORD dst_unused:UNUSED_PAD src0_sel:WORD_1
	v_cvt_f32_u32_sdwa v10, v12 dst_sel:DWORD dst_unused:UNUSED_PAD src0_sel:WORD_0
	v_cvt_f32_u32_sdwa v3, v13 dst_sel:DWORD dst_unused:UNUSED_PAD src0_sel:WORD_1
	v_mul_f32_e32 v2, 0xbfb8aa3b, v6
	v_fma_f32 v4, v6, s0, -v2
	v_rndne_f32_e32 v5, v2
	v_fmac_f32_e32 v4, 0xb2a5705f, v6
	v_sub_f32_e32 v2, v2, v5
	v_add_f32_e32 v2, v2, v4
	v_cvt_i32_f32_e32 v7, v5
	v_exp_f32_e32 v8, v2
	v_cmp_nlt_f32_e32 vcc, s1, v6
	v_cvt_f32_u32_sdwa v5, v14 dst_sel:DWORD dst_unused:UNUSED_PAD src0_sel:WORD_1
	v_cvt_f32_u32_sdwa v4, v14 dst_sel:DWORD dst_unused:UNUSED_PAD src0_sel:WORD_0
	v_ldexp_f32 v7, v8, v7
	v_cndmask_b32_e32 v7, 0, v7, vcc
	v_cmp_ngt_f32_e32 vcc, s2, v6
	v_cndmask_b32_e32 v6, v9, v7, vcc
	v_add_f32_e32 v8, 1.0, v6
	v_div_scale_f32 v6, s[0:1], v8, v8, 1.0
	v_rcp_f32_e32 v12, v6
	v_cvt_f32_u32_sdwa v2, v13 dst_sel:DWORD dst_unused:UNUSED_PAD src0_sel:WORD_0
	v_div_scale_f32 v13, vcc, 1.0, v8, 1.0
	v_fma_f32 v14, -v6, v12, 1.0
	v_fmac_f32_e32 v12, v14, v12
	v_mul_f32_e32 v14, v13, v12
	v_fma_f32 v17, -v6, v14, v13
	v_fmac_f32_e32 v14, v17, v12
	v_fma_f32 v6, -v6, v14, v13
	v_div_fmas_f32 v12, v6, v12, v14
	v_cmp_lt_f32_e32 vcc, v10, v11
	v_cndmask_b32_e32 v13, v10, v11, vcc
	v_cmp_lt_f32_e64 s[0:1], v13, v2
	v_cndmask_b32_e64 v13, v13, v2, s[0:1]
	v_cmp_lt_f32_e64 s[2:3], v13, v3
	v_cndmask_b32_e64 v13, v13, v3, s[2:3]
	v_cvt_f32_u32_sdwa v6, v15 dst_sel:DWORD dst_unused:UNUSED_PAD src0_sel:WORD_0
	v_cmp_lt_f32_e64 s[6:7], v13, v4
	v_cndmask_b32_e64 v13, v13, v4, s[6:7]
	v_cvt_f32_u32_sdwa v7, v15 dst_sel:DWORD dst_unused:UNUSED_PAD src0_sel:WORD_1
	v_cmp_lt_f32_e64 s[8:9], v13, v5
	v_cndmask_b32_e64 v13, v13, v5, s[8:9]
	v_cmp_lt_f32_e64 s[10:11], v13, v6
	v_cndmask_b32_e64 v13, v13, v6, s[10:11]
	v_div_fixup_f32 v8, v12, v8, 1.0
	v_cmp_lt_f32_e64 s[12:13], v13, v7
	global_store_dword v[18:19], v8, off
	v_cndmask_b32_e64 v8, v13, v7, s[12:13]
	s_cbranch_scc1 .LBB241_8
; %bb.5:
	s_load_dwordx4 s[24:27], s[4:5], 0x20
	v_mul_lo_u32 v12, v16, s14
	v_ashrrev_i32_e32 v13, 31, v12
	v_lshlrev_b64 v[14:15], 2, v[12:13]
	v_sub_f32_e32 v24, v8, v8
	s_waitcnt lgkmcnt(0)
	v_mov_b32_e32 v1, s25
	v_add_co_u32_e64 v12, s[4:5], s24, v14
	v_addc_co_u32_e64 v13, s[4:5], v1, v15, s[4:5]
	v_cndmask_b32_e64 v1, 0, 1, vcc
	v_cndmask_b32_e64 v1, v1, 2, s[0:1]
	v_cndmask_b32_e64 v1, v1, 3, s[2:3]
	;; [unrolled: 1-line block ×6, first 2 shown]
	v_cmp_le_i32_e32 vcc, s21, v23
	v_cmp_gt_i32_e64 s[0:1], s22, v23
	s_and_b64 s[0:1], vcc, s[0:1]
	v_subrev_u32_e32 v1, s21, v23
	s_and_b64 vcc, s[30:31], s[0:1]
	v_cndmask_b32_e32 v1, 8, v1, vcc
	global_store_dword v[12:13], v1, off
	v_mul_lo_u32 v12, v16, s20
	v_ashrrev_i32_e32 v13, 31, v12
	v_lshlrev_b64 v[12:13], 2, v[12:13]
	v_mov_b32_e32 v1, s27
	v_add_co_u32_e32 v18, vcc, s26, v12
	v_addc_co_u32_e32 v19, vcc, v1, v13, vcc
	v_mul_f32_e32 v1, 0x3fb8aa3b, v24
	global_store_dword v[18:19], v16, off
	s_mov_b32 s23, 0x3fb8aa3b
	v_rndne_f32_e32 v16, v1
	v_sub_f32_e32 v17, v1, v16
	v_fma_f32 v1, v24, s23, -v1
	v_fmac_f32_e32 v1, 0x32a5705f, v24
	v_add_f32_e32 v1, v17, v1
	v_exp_f32_e32 v1, v1
	v_cvt_i32_f32_e32 v16, v16
	v_mov_b32_e32 v19, s19
	s_mov_b32 s35, 0xc2ce8ed0
	v_cmp_ngt_f32_e64 s[16:17], s35, v24
	v_ldexp_f32 v25, v1, v16
	v_ashrrev_i32_e32 v1, 31, v0
	v_lshlrev_b64 v[16:17], 2, v[0:1]
	v_add_co_u32_e32 v18, vcc, s18, v16
	v_addc_co_u32_e64 v19, s[0:1], v19, v17, vcc
	s_mov_b32 s36, 0x42b17218
	v_mov_b32_e32 v22, 0xff800000
	v_cmp_ne_u32_e64 s[0:1], 7, v23
	v_cmp_ne_u32_e64 s[2:3], 6, v23
	;; [unrolled: 1-line block ×8, first 2 shown]
	v_cndmask_b32_e64 v1, 0, v25, s[16:17]
	v_cmp_nlt_f32_e64 s[16:17], s36, v24
	v_cndmask_b32_e64 v1, v9, v1, s[16:17]
	v_cndmask_b32_e64 v7, v22, v7, s[0:1]
	;; [unrolled: 1-line block ×8, first 2 shown]
	s_cmp_eq_u32 s20, 1
	v_cndmask_b32_e64 v10, v22, v10, s[14:15]
	global_store_dword v[18:19], v1, off
	s_cbranch_scc1 .LBB241_8
; %bb.6:
	v_mov_b32_e32 v16, s27
	v_add_co_u32_e64 v12, s[0:1], s26, v12
	v_addc_co_u32_e64 v13, s[0:1], v13, v16, s[0:1]
	v_add_co_u32_e64 v12, s[0:1], 4, v12
	v_addc_co_u32_e64 v13, s[0:1], 0, v13, s[0:1]
	v_mov_b32_e32 v16, s25
	v_add_co_u32_e64 v14, s[0:1], s24, v14
	v_addc_co_u32_e64 v15, s[0:1], v15, v16, s[0:1]
	v_mov_b32_e32 v16, s19
	v_addc_co_u32_e32 v17, vcc, v17, v16, vcc
	v_add_co_u32_e64 v14, s[0:1], 4, v14
	v_add_co_u32_e32 v16, vcc, 4, v18
	s_add_i32 s34, s34, s33
	v_addc_co_u32_e64 v15, s[0:1], 0, v15, s[0:1]
	v_addc_co_u32_e32 v17, vcc, 0, v17, vcc
	s_add_i32 s24, s20, -1
	v_add3_u32 v18, s34, v21, v20
	v_mov_b32_e32 v19, 0x7f800000
.LBB241_7:                              ; =>This Inner Loop Header: Depth=1
	v_cmp_gt_f32_e32 vcc, v11, v10
	v_cndmask_b32_e32 v20, v10, v11, vcc
	v_cmp_gt_f32_e64 s[0:1], v2, v20
	v_cndmask_b32_e64 v20, v20, v2, s[0:1]
	v_cmp_gt_f32_e64 s[2:3], v3, v20
	v_cndmask_b32_e64 v20, v20, v3, s[2:3]
	;; [unrolled: 2-line block ×6, first 2 shown]
	v_sub_f32_e32 v20, v20, v8
	v_mul_f32_e32 v21, 0x3fb8aa3b, v20
	v_fma_f32 v23, v20, s23, -v21
	v_rndne_f32_e32 v24, v21
	v_fmac_f32_e32 v23, 0x32a5705f, v20
	v_sub_f32_e32 v21, v21, v24
	v_add_f32_e32 v21, v21, v23
	v_cndmask_b32_e64 v23, 0, 1, vcc
	v_cndmask_b32_e64 v23, v23, 2, s[0:1]
	v_cndmask_b32_e64 v23, v23, 3, s[2:3]
	;; [unrolled: 1-line block ×6, first 2 shown]
	v_cmp_le_i32_e32 vcc, s21, v23
	v_cmp_gt_i32_e64 s[0:1], s22, v23
	s_and_b64 s[0:1], vcc, s[0:1]
	v_cmp_ne_u32_e64 s[2:3], 7, v23
	v_cmp_ne_u32_e64 s[4:5], 6, v23
	;; [unrolled: 1-line block ×8, first 2 shown]
	v_subrev_u32_e32 v23, s21, v23
	s_and_b64 vcc, s[30:31], s[0:1]
	v_cndmask_b32_e32 v23, 8, v23, vcc
	global_store_dword v[14:15], v23, off
	v_cvt_i32_f32_e32 v23, v24
	v_exp_f32_e32 v21, v21
	v_cmp_ngt_f32_e32 vcc, s35, v20
	global_store_dword v[12:13], v18, off
	s_add_i32 s24, s24, -1
	v_ldexp_f32 v21, v21, v23
	v_cndmask_b32_e32 v21, 0, v21, vcc
	v_cmp_nlt_f32_e32 vcc, s36, v20
	v_cndmask_b32_e32 v20, v19, v21, vcc
	v_add_co_u32_e32 v12, vcc, 4, v12
	v_addc_co_u32_e32 v13, vcc, 0, v13, vcc
	v_add_co_u32_e32 v14, vcc, 4, v14
	v_addc_co_u32_e32 v15, vcc, 0, v15, vcc
	global_store_dword v[16:17], v20, off
	v_add_co_u32_e32 v16, vcc, 4, v16
	v_add_f32_e32 v1, v1, v20
	v_cndmask_b32_e64 v7, v22, v7, s[2:3]
	v_cndmask_b32_e64 v6, v22, v6, s[4:5]
	;; [unrolled: 1-line block ×8, first 2 shown]
	v_add_u32_e32 v18, s33, v18
	s_cmp_eq_u32 s24, 0
	v_addc_co_u32_e32 v17, vcc, 0, v17, vcc
	s_cbranch_scc0 .LBB241_7
.LBB241_8:
	v_pk_add_f32 v[10:11], v[10:11], v[8:9] op_sel_hi:[1,0] neg_lo:[0,1] neg_hi:[0,1]
	s_mov_b32 s0, 0x3fb8aa3b
	v_mul_f32_e32 v12, 0x3fb8aa3b, v11
	v_fma_f32 v13, v11, s0, -v12
	v_rndne_f32_e32 v14, v12
	v_fmac_f32_e32 v13, 0x32a5705f, v11
	v_sub_f32_e32 v12, v12, v14
	v_add_f32_e32 v12, v12, v13
	v_exp_f32_e32 v12, v12
	v_cvt_i32_f32_e32 v13, v14
	s_mov_b32 s1, 0xc2ce8ed0
	v_cmp_ngt_f32_e32 vcc, s1, v11
	s_mov_b32 s2, 0x42b17218
	v_ldexp_f32 v12, v12, v13
	v_mul_f32_e32 v13, 0x3fb8aa3b, v10
	v_fma_f32 v14, v10, s0, -v13
	v_rndne_f32_e32 v15, v13
	v_fmac_f32_e32 v14, 0x32a5705f, v10
	v_sub_f32_e32 v13, v13, v15
	v_add_f32_e32 v13, v13, v14
	v_exp_f32_e32 v13, v13
	v_cvt_i32_f32_e32 v14, v15
	v_cndmask_b32_e32 v12, 0, v12, vcc
	v_cmp_nlt_f32_e32 vcc, s2, v11
	v_sub_f32_e32 v2, v2, v8
	v_cndmask_b32_e32 v11, v9, v12, vcc
	v_ldexp_f32 v12, v13, v14
	v_mul_f32_e32 v13, 0x3fb8aa3b, v2
	v_fma_f32 v14, v2, s0, -v13
	v_rndne_f32_e32 v15, v13
	v_fmac_f32_e32 v14, 0x32a5705f, v2
	v_sub_f32_e32 v13, v13, v15
	v_add_f32_e32 v13, v13, v14
	v_exp_f32_e32 v13, v13
	v_cvt_i32_f32_e32 v14, v15
	v_cmp_ngt_f32_e32 vcc, s1, v10
	v_cndmask_b32_e32 v12, 0, v12, vcc
	v_cmp_nlt_f32_e32 vcc, s2, v10
	v_sub_f32_e32 v3, v3, v8
	v_cndmask_b32_e32 v10, v9, v12, vcc
	v_mul_f32_e32 v12, 0x3fb8aa3b, v3
	v_add_f32_e32 v10, v10, v11
	v_ldexp_f32 v11, v13, v14
	v_fma_f32 v13, v3, s0, -v12
	v_rndne_f32_e32 v14, v12
	v_fmac_f32_e32 v13, 0x32a5705f, v3
	v_sub_f32_e32 v12, v12, v14
	v_add_f32_e32 v12, v12, v13
	v_exp_f32_e32 v12, v12
	v_cvt_i32_f32_e32 v13, v14
	v_cmp_ngt_f32_e32 vcc, s1, v2
	v_cndmask_b32_e32 v11, 0, v11, vcc
	v_cmp_nlt_f32_e32 vcc, s2, v2
	v_sub_f32_e32 v4, v4, v8
	v_cndmask_b32_e32 v2, v9, v11, vcc
	v_mul_f32_e32 v11, 0x3fb8aa3b, v4
	v_add_f32_e32 v2, v10, v2
	v_ldexp_f32 v10, v12, v13
	;; [unrolled: 15-line block ×4, first 2 shown]
	v_fma_f32 v10, v4, s0, -v6
	v_rndne_f32_e32 v11, v6
	v_fmac_f32_e32 v10, 0x32a5705f, v4
	v_sub_f32_e32 v6, v6, v11
	v_add_f32_e32 v6, v6, v10
	v_exp_f32_e32 v6, v6
	v_cvt_i32_f32_e32 v10, v11
	v_cmp_ngt_f32_e32 vcc, s1, v5
	v_cndmask_b32_e32 v3, 0, v3, vcc
	v_cmp_nlt_f32_e32 vcc, s2, v5
	v_cndmask_b32_e32 v3, v9, v3, vcc
	v_sub_f32_e32 v5, v7, v8
	v_add_f32_e32 v2, v2, v3
	v_ldexp_f32 v3, v6, v10
	v_mul_f32_e32 v6, 0x3fb8aa3b, v5
	v_fma_f32 v7, v5, s0, -v6
	v_rndne_f32_e32 v8, v6
	v_fmac_f32_e32 v7, 0x32a5705f, v5
	v_sub_f32_e32 v6, v6, v8
	v_add_f32_e32 v6, v6, v7
	v_exp_f32_e32 v6, v6
	v_cvt_i32_f32_e32 v7, v8
	v_cmp_ngt_f32_e32 vcc, s1, v4
	v_cndmask_b32_e32 v3, 0, v3, vcc
	v_cmp_nlt_f32_e32 vcc, s2, v4
	v_cndmask_b32_e32 v3, v9, v3, vcc
	v_add_f32_e32 v2, v2, v3
	v_ldexp_f32 v3, v6, v7
	v_cmp_ngt_f32_e32 vcc, s1, v5
	v_cndmask_b32_e32 v3, 0, v3, vcc
	v_cmp_nlt_f32_e32 vcc, s2, v5
	v_cndmask_b32_e32 v3, v9, v3, vcc
	v_add_f32_e32 v2, v2, v3
	v_add_f32_e32 v1, v1, v2
	v_cmp_neq_f32_e32 vcc, 0, v1
	s_and_b64 exec, exec, vcc
	s_cbranch_execz .LBB241_19
; %bb.9:
	s_andn2_b64 vcc, exec, s[28:29]
	s_cbranch_vccnz .LBB241_19
; %bb.10:
	v_div_scale_f32 v2, s[0:1], v1, v1, 1.0
	v_rcp_f32_e32 v3, v2
	v_div_scale_f32 v4, vcc, 1.0, v1, 1.0
	s_cmp_gt_u32 s20, 3
	v_fma_f32 v5, -v2, v3, 1.0
	v_fmac_f32_e32 v3, v5, v3
	v_mul_f32_e32 v5, v4, v3
	v_fma_f32 v6, -v2, v5, v4
	v_fmac_f32_e32 v5, v6, v3
	v_fma_f32 v2, -v2, v5, v4
	v_div_fmas_f32 v2, v2, v3, v5
	v_div_fixup_f32 v2, v2, v1, 1.0
	v_ashrrev_i32_e32 v1, 31, v0
	s_cbranch_scc0 .LBB241_14
; %bb.11:
	v_lshlrev_b64 v[4:5], 2, v[0:1]
	v_mov_b32_e32 v6, s19
	v_add_co_u32_e32 v4, vcc, s18, v4
	v_addc_co_u32_e32 v5, vcc, v5, v6, vcc
	s_and_b32 s4, s20, 0x7ffffffc
	v_add_co_u32_e32 v4, vcc, 8, v4
	v_mov_b32_e32 v3, v2
	v_addc_co_u32_e32 v5, vcc, 0, v5, vcc
	s_mov_b32 s0, s4
.LBB241_12:                             ; =>This Inner Loop Header: Depth=1
	global_load_dwordx4 v[6:9], v[4:5], off offset:-8
	s_add_i32 s0, s0, -4
	s_cmp_lg_u32 s0, 0
	s_waitcnt vmcnt(0)
	v_pk_mul_f32 v[6:7], v[2:3], v[6:7]
	v_pk_mul_f32 v[8:9], v[2:3], v[8:9]
	global_store_dwordx4 v[4:5], v[6:9], off offset:-8
	v_add_co_u32_e32 v4, vcc, 16, v4
	v_addc_co_u32_e32 v5, vcc, 0, v5, vcc
	s_cbranch_scc1 .LBB241_12
; %bb.13:
	s_cmp_lg_u32 s4, s20
	s_cselect_b64 s[0:1], -1, 0
	s_branch .LBB241_16
.LBB241_14:
	s_mov_b64 s[0:1], 0
                                        ; implicit-def: $sgpr4
	s_cbranch_execz .LBB241_16
; %bb.15:
	s_mov_b64 s[0:1], -1
	s_mov_b32 s4, 0
.LBB241_16:
	s_andn2_b64 vcc, exec, s[0:1]
	s_cbranch_vccnz .LBB241_19
; %bb.17:
	v_add_co_u32_e32 v0, vcc, s4, v0
	v_addc_co_u32_e32 v1, vcc, 0, v1, vcc
	v_lshlrev_b64 v[0:1], 2, v[0:1]
	v_mov_b32_e32 v3, s19
	v_add_co_u32_e32 v0, vcc, s18, v0
	s_sub_i32 s0, s20, s4
	v_addc_co_u32_e32 v1, vcc, v3, v1, vcc
.LBB241_18:                             ; =>This Inner Loop Header: Depth=1
	global_load_dword v3, v[0:1], off
	s_add_i32 s0, s0, -1
	s_cmp_lg_u32 s0, 0
	s_waitcnt vmcnt(0)
	v_mul_f32_e32 v3, v2, v3
	global_store_dword v[0:1], v3, off
	v_add_co_u32_e32 v0, vcc, 4, v0
	v_addc_co_u32_e32 v1, vcc, 0, v1, vcc
	s_cbranch_scc1 .LBB241_18
.LBB241_19:
	s_endpgm
	.section	.rodata,"a",@progbits
	.p2align	6, 0x0
	.amdhsa_kernel _ZN4vllm3moe17topkGatingSoftmaxItLi8ELi8ELi8ELi16ELb0ELi1ELNS0_23SharedExpertScoringFuncE1EEEvPKT_PKbPfiPiS9_iiiiii
		.amdhsa_group_segment_fixed_size 0
		.amdhsa_private_segment_fixed_size 0
		.amdhsa_kernarg_size 72
		.amdhsa_user_sgpr_count 6
		.amdhsa_user_sgpr_private_segment_buffer 1
		.amdhsa_user_sgpr_dispatch_ptr 0
		.amdhsa_user_sgpr_queue_ptr 0
		.amdhsa_user_sgpr_kernarg_segment_ptr 1
		.amdhsa_user_sgpr_dispatch_id 0
		.amdhsa_user_sgpr_flat_scratch_init 0
		.amdhsa_user_sgpr_kernarg_preload_length 0
		.amdhsa_user_sgpr_kernarg_preload_offset 0
		.amdhsa_user_sgpr_private_segment_size 0
		.amdhsa_uses_dynamic_stack 0
		.amdhsa_system_sgpr_private_segment_wavefront_offset 0
		.amdhsa_system_sgpr_workgroup_id_x 1
		.amdhsa_system_sgpr_workgroup_id_y 0
		.amdhsa_system_sgpr_workgroup_id_z 0
		.amdhsa_system_sgpr_workgroup_info 0
		.amdhsa_system_vgpr_workitem_id 1
		.amdhsa_next_free_vgpr 26
		.amdhsa_next_free_sgpr 37
		.amdhsa_accum_offset 28
		.amdhsa_reserve_vcc 1
		.amdhsa_reserve_flat_scratch 0
		.amdhsa_float_round_mode_32 0
		.amdhsa_float_round_mode_16_64 0
		.amdhsa_float_denorm_mode_32 3
		.amdhsa_float_denorm_mode_16_64 3
		.amdhsa_dx10_clamp 1
		.amdhsa_ieee_mode 1
		.amdhsa_fp16_overflow 0
		.amdhsa_tg_split 0
		.amdhsa_exception_fp_ieee_invalid_op 0
		.amdhsa_exception_fp_denorm_src 0
		.amdhsa_exception_fp_ieee_div_zero 0
		.amdhsa_exception_fp_ieee_overflow 0
		.amdhsa_exception_fp_ieee_underflow 0
		.amdhsa_exception_fp_ieee_inexact 0
		.amdhsa_exception_int_div_zero 0
	.end_amdhsa_kernel
	.section	.text._ZN4vllm3moe17topkGatingSoftmaxItLi8ELi8ELi8ELi16ELb0ELi1ELNS0_23SharedExpertScoringFuncE1EEEvPKT_PKbPfiPiS9_iiiiii,"axG",@progbits,_ZN4vllm3moe17topkGatingSoftmaxItLi8ELi8ELi8ELi16ELb0ELi1ELNS0_23SharedExpertScoringFuncE1EEEvPKT_PKbPfiPiS9_iiiiii,comdat
.Lfunc_end241:
	.size	_ZN4vllm3moe17topkGatingSoftmaxItLi8ELi8ELi8ELi16ELb0ELi1ELNS0_23SharedExpertScoringFuncE1EEEvPKT_PKbPfiPiS9_iiiiii, .Lfunc_end241-_ZN4vllm3moe17topkGatingSoftmaxItLi8ELi8ELi8ELi16ELb0ELi1ELNS0_23SharedExpertScoringFuncE1EEEvPKT_PKbPfiPiS9_iiiiii
                                        ; -- End function
	.section	.AMDGPU.csdata,"",@progbits
; Kernel info:
; codeLenInByte = 2620
; NumSgprs: 41
; NumVgprs: 26
; NumAgprs: 0
; TotalNumVgprs: 26
; ScratchSize: 0
; MemoryBound: 0
; FloatMode: 240
; IeeeMode: 1
; LDSByteSize: 0 bytes/workgroup (compile time only)
; SGPRBlocks: 5
; VGPRBlocks: 3
; NumSGPRsForWavesPerEU: 41
; NumVGPRsForWavesPerEU: 26
; AccumOffset: 28
; Occupancy: 8
; WaveLimiterHint : 0
; COMPUTE_PGM_RSRC2:SCRATCH_EN: 0
; COMPUTE_PGM_RSRC2:USER_SGPR: 6
; COMPUTE_PGM_RSRC2:TRAP_HANDLER: 0
; COMPUTE_PGM_RSRC2:TGID_X_EN: 1
; COMPUTE_PGM_RSRC2:TGID_Y_EN: 0
; COMPUTE_PGM_RSRC2:TGID_Z_EN: 0
; COMPUTE_PGM_RSRC2:TIDIG_COMP_CNT: 1
; COMPUTE_PGM_RSRC3_GFX90A:ACCUM_OFFSET: 6
; COMPUTE_PGM_RSRC3_GFX90A:TG_SPLIT: 0
	.section	.text._ZN4vllm3moe17topkGatingSoftmaxItLi8ELi8ELi8ELi16ELb1ELi2ELNS0_23SharedExpertScoringFuncE1EEEvPKT_PKbPfiPiS9_iiiiii,"axG",@progbits,_ZN4vllm3moe17topkGatingSoftmaxItLi8ELi8ELi8ELi16ELb1ELi2ELNS0_23SharedExpertScoringFuncE1EEEvPKT_PKbPfiPiS9_iiiiii,comdat
	.protected	_ZN4vllm3moe17topkGatingSoftmaxItLi8ELi8ELi8ELi16ELb1ELi2ELNS0_23SharedExpertScoringFuncE1EEEvPKT_PKbPfiPiS9_iiiiii ; -- Begin function _ZN4vllm3moe17topkGatingSoftmaxItLi8ELi8ELi8ELi16ELb1ELi2ELNS0_23SharedExpertScoringFuncE1EEEvPKT_PKbPfiPiS9_iiiiii
	.globl	_ZN4vllm3moe17topkGatingSoftmaxItLi8ELi8ELi8ELi16ELb1ELi2ELNS0_23SharedExpertScoringFuncE1EEEvPKT_PKbPfiPiS9_iiiiii
	.p2align	8
	.type	_ZN4vllm3moe17topkGatingSoftmaxItLi8ELi8ELi8ELi16ELb1ELi2ELNS0_23SharedExpertScoringFuncE1EEEvPKT_PKbPfiPiS9_iiiiii,@function
_ZN4vllm3moe17topkGatingSoftmaxItLi8ELi8ELi8ELi16ELb1ELi2ELNS0_23SharedExpertScoringFuncE1EEEvPKT_PKbPfiPiS9_iiiiii: ; @_ZN4vllm3moe17topkGatingSoftmaxItLi8ELi8ELi8ELi16ELb1ELi2ELNS0_23SharedExpertScoringFuncE1EEEvPKT_PKbPfiPiS9_iiiiii
; %bb.0:
	s_load_dword s28, s[4:5], 0x18
	v_bfe_u32 v1, v0, 10, 10
	s_lshl_b32 s8, s6, 9
	v_lshlrev_b32_e32 v17, 6, v1
	v_and_b32_e32 v18, 0x3ff, v0
	v_add3_u32 v4, v17, v18, s8
	s_waitcnt lgkmcnt(0)
	v_cmp_gt_i32_e32 vcc, s28, v4
	s_and_saveexec_b64 s[0:1], vcc
	s_cbranch_execz .LBB242_19
; %bb.1:
	s_load_dwordx4 s[0:3], s[4:5], 0x0
	s_load_dwordx2 s[18:19], s[4:5], 0x10
	s_waitcnt lgkmcnt(0)
	s_cmp_eq_u64 s[2:3], 0
	s_cbranch_scc1 .LBB242_3
; %bb.2:
	v_ashrrev_i32_e32 v1, 31, v4
	v_mov_b32_e32 v2, s3
	v_add_co_u32_e32 v0, vcc, s2, v4
	v_addc_co_u32_e32 v1, vcc, v2, v1, vcc
	global_load_ubyte v0, v[0:1], off
	s_waitcnt vmcnt(0)
	v_and_b32_e32 v0, 1, v0
	v_cmp_eq_u32_e32 vcc, 1, v0
	s_xor_b64 s[2:3], vcc, -1
	s_orn2_b64 s[24:25], s[2:3], exec
	s_branch .LBB242_4
.LBB242_3:
	s_mov_b64 s[24:25], -1
.LBB242_4:
	s_load_dwordx2 s[2:3], s[4:5], 0x40
	s_load_dwordx4 s[20:23], s[4:5], 0x30
	v_mov_b32_e32 v2, s1
	v_mov_b32_e32 v10, s19
	s_mov_b32 s1, 0x42ce8ed0
	s_waitcnt lgkmcnt(0)
	v_mul_lo_u32 v0, v4, s3
	v_ashrrev_i32_e32 v1, 31, v0
	v_lshlrev_b64 v[0:1], 1, v[0:1]
	v_add_co_u32_e32 v6, vcc, s0, v0
	v_addc_co_u32_e32 v7, vcc, v2, v1, vcc
	global_load_dword v9, v[6:7], off offset:16
	global_load_dwordx4 v[0:3], v[6:7], off
	s_mov_b32 s0, 0xbfb8aa3b
	v_mul_lo_u32 v8, v4, s23
	v_add_u32_e32 v6, s20, v8
	v_ashrrev_i32_e32 v7, 31, v6
	v_lshlrev_b64 v[6:7], 2, v[6:7]
	v_add_co_u32_e32 v6, vcc, s18, v6
	v_addc_co_u32_e32 v7, vcc, v10, v7, vcc
	s_mov_b32 s3, 0xc2b17218
	v_mov_b32_e32 v5, 0x7f800000
	s_cmp_gt_i32 s20, 0
	v_mov_b32_e32 v16, 0
	s_cselect_b64 s[26:27], -1, 0
	s_cmp_lt_i32 s20, 1
	s_waitcnt vmcnt(1)
	v_cvt_f32_u32_sdwa v11, v9 dst_sel:DWORD dst_unused:UNUSED_PAD src0_sel:WORD_1
	v_cvt_f32_u32_sdwa v9, v9 dst_sel:DWORD dst_unused:UNUSED_PAD src0_sel:WORD_0
	v_mul_f32_e32 v12, 0xbfb8aa3b, v11
	v_mul_f32_e32 v13, 0xbfb8aa3b, v9
	v_fma_f32 v14, v11, s0, -v12
	v_rndne_f32_e32 v15, v12
	v_fma_f32 v19, v9, s0, -v13
	v_rndne_f32_e32 v20, v13
	v_fmac_f32_e32 v14, 0xb2a5705f, v11
	v_sub_f32_e32 v12, v12, v15
	v_fmac_f32_e32 v19, 0xb2a5705f, v9
	v_sub_f32_e32 v13, v13, v20
	v_add_f32_e32 v12, v12, v14
	v_cvt_i32_f32_e32 v15, v15
	v_add_f32_e32 v13, v13, v19
	v_exp_f32_e32 v12, v12
	v_cvt_i32_f32_e32 v20, v20
	v_exp_f32_e32 v13, v13
	v_cmp_nlt_f32_e32 vcc, s1, v11
	v_ldexp_f32 v10, v12, v15
	v_cndmask_b32_e32 v10, 0, v10, vcc
	v_ldexp_f32 v12, v13, v20
	v_cmp_nlt_f32_e32 vcc, s1, v9
	v_cndmask_b32_e32 v12, 0, v12, vcc
	v_cmp_ngt_f32_e32 vcc, s3, v11
	v_cndmask_b32_e32 v11, v5, v10, vcc
	v_cmp_ngt_f32_e32 vcc, s3, v9
	v_cndmask_b32_e32 v10, v5, v12, vcc
	v_pk_add_f32 v[10:11], v[10:11], 1.0 op_sel_hi:[1,0]
	v_div_scale_f32 v9, s[0:1], v11, v11, 1.0
	v_div_scale_f32 v13, s[0:1], v10, v10, 1.0
	v_rcp_f32_e32 v14, v9
	v_rcp_f32_e32 v15, v13
	v_div_scale_f32 v12, vcc, 1.0, v11, 1.0
	v_fma_f32 v20, -v9, v14, 1.0
	v_fma_f32 v21, -v13, v15, 1.0
	v_fmac_f32_e32 v14, v20, v14
	v_div_scale_f32 v19, s[0:1], 1.0, v10, 1.0
	v_fmac_f32_e32 v15, v21, v15
	v_mul_f32_e32 v20, v12, v14
	v_mul_f32_e32 v21, v19, v15
	v_fma_f32 v22, -v9, v20, v12
	v_fma_f32 v23, -v13, v21, v19
	v_fmac_f32_e32 v20, v22, v14
	v_fmac_f32_e32 v21, v23, v15
	v_fma_f32 v9, -v9, v20, v12
	v_fma_f32 v12, -v13, v21, v19
	v_div_fmas_f32 v9, v9, v14, v20
	s_mov_b64 vcc, s[0:1]
	v_div_fixup_f32 v11, v9, v11, 1.0
	v_div_fmas_f32 v9, v12, v15, v21
	v_div_fixup_f32 v10, v9, v10, 1.0
	global_store_dwordx2 v[6:7], v[10:11], off
	s_cbranch_scc1 .LBB242_8
; %bb.5:
	s_waitcnt vmcnt(1)
	v_cvt_f32_u32_sdwa v20, v0 dst_sel:DWORD dst_unused:UNUSED_PAD src0_sel:WORD_1
	v_cvt_f32_u32_sdwa v21, v0 dst_sel:DWORD dst_unused:UNUSED_PAD src0_sel:WORD_0
	v_cvt_f32_u32_sdwa v22, v1 dst_sel:DWORD dst_unused:UNUSED_PAD src0_sel:WORD_0
	v_cvt_f32_u32_sdwa v14, v1 dst_sel:DWORD dst_unused:UNUSED_PAD src0_sel:WORD_1
	v_cvt_f32_u32_sdwa v15, v2 dst_sel:DWORD dst_unused:UNUSED_PAD src0_sel:WORD_0
	v_cmp_lt_f32_e32 vcc, v21, v20
	v_cndmask_b32_e32 v1, v21, v20, vcc
	v_cndmask_b32_e64 v0, 0, 1, vcc
	v_cmp_lt_f32_e32 vcc, v1, v22
	v_cndmask_b32_e32 v1, v1, v22, vcc
	v_cvt_f32_u32_sdwa v24, v2 dst_sel:DWORD dst_unused:UNUSED_PAD src0_sel:WORD_1
	v_cndmask_b32_e64 v0, v0, 2, vcc
	v_cmp_lt_f32_e32 vcc, v1, v14
	v_cndmask_b32_e32 v1, v1, v14, vcc
	v_cvt_f32_u32_sdwa v6, v3 dst_sel:DWORD dst_unused:UNUSED_PAD src0_sel:WORD_0
	v_cndmask_b32_e64 v0, v0, 3, vcc
	v_cmp_lt_f32_e32 vcc, v1, v15
	v_cndmask_b32_e32 v1, v1, v15, vcc
	v_cvt_f32_u32_sdwa v7, v3 dst_sel:DWORD dst_unused:UNUSED_PAD src0_sel:WORD_1
	v_cndmask_b32_e64 v0, v0, 4, vcc
	v_cmp_lt_f32_e32 vcc, v1, v24
	v_cndmask_b32_e32 v1, v1, v24, vcc
	v_cndmask_b32_e64 v0, v0, 5, vcc
	v_cmp_lt_f32_e32 vcc, v1, v6
	v_cndmask_b32_e32 v1, v1, v6, vcc
	;; [unrolled: 3-line block ×3, first 2 shown]
	v_cndmask_b32_e64 v23, v0, 7, vcc
	v_sub_f32_e32 v0, v19, v19
	s_mov_b32 s23, 0x3fb8aa3b
	v_mul_f32_e32 v1, 0x3fb8aa3b, v0
	v_fma_f32 v2, v0, s23, -v1
	v_rndne_f32_e32 v3, v1
	v_fmac_f32_e32 v2, 0x32a5705f, v0
	v_sub_f32_e32 v1, v1, v3
	v_add_f32_e32 v1, v1, v2
	v_exp_f32_e32 v1, v1
	v_cvt_i32_f32_e32 v2, v3
	v_cmp_le_i32_e32 vcc, s21, v23
	v_cmp_gt_i32_e64 s[0:1], s22, v23
	s_mov_b32 s29, 0xc2ce8ed0
	v_mul_lo_u32 v10, v4, s2
	s_and_b64 s[2:3], vcc, s[0:1]
	v_ldexp_f32 v1, v1, v2
	v_cmp_ngt_f32_e32 vcc, s29, v0
	s_mov_b32 s30, 0x42b17218
	s_load_dwordx4 s[4:7], s[4:5], 0x20
	v_cndmask_b32_e32 v1, 0, v1, vcc
	v_cmp_nlt_f32_e32 vcc, s30, v0
	v_ashrrev_i32_e32 v9, 31, v8
	v_cndmask_b32_e32 v16, v5, v1, vcc
	v_lshlrev_b64 v[0:1], 2, v[8:9]
	v_mov_b32_e32 v3, s19
	v_add_co_u32_e32 v2, vcc, s18, v0
	v_addc_co_u32_e64 v3, s[0:1], v3, v1, vcc
	v_ashrrev_i32_e32 v11, 31, v10
	v_subrev_u32_e32 v0, s21, v23
	s_and_b64 s[0:1], s[24:25], s[2:3]
	v_lshlrev_b64 v[12:13], 2, v[10:11]
	v_mul_lo_u32 v26, v4, s20
	global_store_dword v[2:3], v16, off
	v_cndmask_b32_e64 v0, 8, v0, s[0:1]
	s_waitcnt lgkmcnt(0)
	v_mov_b32_e32 v3, s5
	v_add_co_u32_e64 v10, s[0:1], s4, v12
	v_addc_co_u32_e64 v11, s[0:1], v3, v13, s[0:1]
	v_ashrrev_i32_e32 v27, 31, v26
	global_store_dword v[10:11], v0, off
	v_lshlrev_b64 v[10:11], 2, v[26:27]
	v_mov_b32_e32 v0, s7
	v_add_co_u32_e64 v26, s[0:1], s6, v10
	v_addc_co_u32_e64 v27, s[0:1], v0, v11, s[0:1]
	s_cmp_eq_u32 s20, 1
	global_store_dword v[26:27], v4, off
	s_cbranch_scc1 .LBB242_8
; %bb.6:
	v_mov_b32_e32 v9, 0xff800000
	v_cmp_ne_u32_e64 s[0:1], 7, v23
	v_cndmask_b32_e64 v7, v9, v7, s[0:1]
	v_cmp_ne_u32_e64 s[0:1], 6, v23
	v_cndmask_b32_e64 v6, v9, v6, s[0:1]
	;; [unrolled: 2-line block ×5, first 2 shown]
	v_mov_b32_e32 v0, s7
	v_add_co_u32_e64 v10, s[0:1], s6, v10
	v_addc_co_u32_e64 v0, s[0:1], v11, v0, s[0:1]
	v_add_co_u32_e64 v10, s[0:1], 4, v10
	v_addc_co_u32_e64 v11, s[0:1], 0, v0, s[0:1]
	v_mov_b32_e32 v0, s5
	v_add_co_u32_e64 v12, s[0:1], s4, v12
	v_addc_co_u32_e64 v0, s[0:1], v13, v0, s[0:1]
	v_add_co_u32_e64 v12, s[0:1], 4, v12
	v_addc_co_u32_e64 v13, s[0:1], 0, v0, s[0:1]
	v_mov_b32_e32 v0, s19
	v_addc_co_u32_e32 v0, vcc, v1, v0, vcc
	v_add_co_u32_e32 v14, vcc, 4, v2
	v_addc_co_u32_e32 v15, vcc, 0, v0, vcc
	v_cmp_ne_u32_e32 vcc, 2, v23
	v_cndmask_b32_e32 v2, v9, v22, vcc
	v_cmp_ne_u32_e32 vcc, 0, v23
	s_add_i32 s8, s8, s28
	v_cmp_ne_u32_e64 s[0:1], 1, v23
	s_add_i32 s31, s20, -1
	v_add3_u32 v17, s8, v18, v17
	v_mov_b32_e32 v18, 0x7f800000
	v_cndmask_b32_e64 v1, v9, v20, s[0:1]
	v_cndmask_b32_e32 v0, v9, v21, vcc
.LBB242_7:                              ; =>This Inner Loop Header: Depth=1
	v_cmp_gt_f32_e32 vcc, v1, v0
	v_cndmask_b32_e32 v20, v0, v1, vcc
	v_cmp_gt_f32_e64 s[0:1], v2, v20
	v_cndmask_b32_e64 v20, v20, v2, s[0:1]
	v_cmp_gt_f32_e64 s[2:3], v3, v20
	v_cndmask_b32_e64 v20, v20, v3, s[2:3]
	;; [unrolled: 2-line block ×6, first 2 shown]
	v_sub_f32_e32 v20, v20, v19
	v_mul_f32_e32 v21, 0x3fb8aa3b, v20
	v_fma_f32 v22, v20, s23, -v21
	v_rndne_f32_e32 v23, v21
	v_fmac_f32_e32 v22, 0x32a5705f, v20
	v_sub_f32_e32 v21, v21, v23
	v_add_f32_e32 v21, v21, v22
	v_cndmask_b32_e64 v22, 0, 1, vcc
	v_cndmask_b32_e64 v22, v22, 2, s[0:1]
	v_cndmask_b32_e64 v22, v22, 3, s[2:3]
	;; [unrolled: 1-line block ×6, first 2 shown]
	v_cmp_le_i32_e32 vcc, s21, v22
	v_cmp_gt_i32_e64 s[0:1], s22, v22
	s_and_b64 s[0:1], vcc, s[0:1]
	v_cmp_ne_u32_e64 s[2:3], 7, v22
	v_cmp_ne_u32_e64 s[4:5], 6, v22
	;; [unrolled: 1-line block ×8, first 2 shown]
	v_subrev_u32_e32 v22, s21, v22
	s_and_b64 vcc, s[24:25], s[0:1]
	v_cndmask_b32_e32 v22, 8, v22, vcc
	global_store_dword v[12:13], v22, off
	v_cvt_i32_f32_e32 v22, v23
	v_exp_f32_e32 v21, v21
	v_cmp_ngt_f32_e32 vcc, s29, v20
	global_store_dword v[10:11], v17, off
	s_add_i32 s31, s31, -1
	v_ldexp_f32 v21, v21, v22
	v_cndmask_b32_e32 v21, 0, v21, vcc
	v_cmp_nlt_f32_e32 vcc, s30, v20
	v_cndmask_b32_e32 v20, v18, v21, vcc
	v_add_co_u32_e32 v10, vcc, 4, v10
	v_addc_co_u32_e32 v11, vcc, 0, v11, vcc
	v_add_co_u32_e32 v12, vcc, 4, v12
	v_addc_co_u32_e32 v13, vcc, 0, v13, vcc
	global_store_dword v[14:15], v20, off
	v_add_co_u32_e32 v14, vcc, 4, v14
	v_add_f32_e32 v16, v16, v20
	v_cndmask_b32_e64 v7, v9, v7, s[2:3]
	v_cndmask_b32_e64 v6, v9, v6, s[4:5]
	;; [unrolled: 1-line block ×8, first 2 shown]
	v_add_u32_e32 v17, s28, v17
	s_cmp_eq_u32 s31, 0
	v_addc_co_u32_e32 v15, vcc, 0, v15, vcc
	s_cbranch_scc0 .LBB242_7
.LBB242_8:
	v_cmp_neq_f32_e32 vcc, 0, v16
	s_and_b64 exec, exec, vcc
	s_cbranch_execz .LBB242_19
; %bb.9:
	s_andn2_b64 vcc, exec, s[26:27]
	s_cbranch_vccnz .LBB242_19
; %bb.10:
	s_waitcnt vmcnt(1)
	v_div_scale_f32 v0, s[0:1], v16, v16, 1.0
	v_rcp_f32_e32 v1, v0
	v_div_scale_f32 v2, vcc, 1.0, v16, 1.0
	s_cmp_gt_u32 s20, 3
	v_fma_f32 v3, -v0, v1, 1.0
	v_fmac_f32_e32 v1, v3, v1
	v_mul_f32_e32 v3, v2, v1
	v_fma_f32 v4, -v0, v3, v2
	v_fmac_f32_e32 v3, v4, v1
	v_fma_f32 v0, -v0, v3, v2
	v_div_fmas_f32 v0, v0, v1, v3
	v_div_fixup_f32 v0, v0, v16, 1.0
	v_ashrrev_i32_e32 v9, 31, v8
	s_cbranch_scc0 .LBB242_14
; %bb.11:
	v_lshlrev_b64 v[2:3], 2, v[8:9]
	v_mov_b32_e32 v4, s19
	v_add_co_u32_e32 v2, vcc, s18, v2
	v_addc_co_u32_e32 v3, vcc, v3, v4, vcc
	s_and_b32 s4, s20, 0x7ffffffc
	v_add_co_u32_e32 v2, vcc, 8, v2
	v_mov_b32_e32 v1, v0
	v_addc_co_u32_e32 v3, vcc, 0, v3, vcc
	s_mov_b32 s0, s4
.LBB242_12:                             ; =>This Inner Loop Header: Depth=1
	global_load_dwordx4 v[4:7], v[2:3], off offset:-8
	s_add_i32 s0, s0, -4
	s_cmp_lg_u32 s0, 0
	s_waitcnt vmcnt(0)
	v_pk_mul_f32 v[4:5], v[0:1], v[4:5]
	v_pk_mul_f32 v[6:7], v[0:1], v[6:7]
	global_store_dwordx4 v[2:3], v[4:7], off offset:-8
	v_add_co_u32_e32 v2, vcc, 16, v2
	v_addc_co_u32_e32 v3, vcc, 0, v3, vcc
	s_cbranch_scc1 .LBB242_12
; %bb.13:
	s_cmp_lg_u32 s4, s20
	s_cselect_b64 s[0:1], -1, 0
	s_branch .LBB242_16
.LBB242_14:
	s_mov_b64 s[0:1], 0
                                        ; implicit-def: $sgpr4
	s_cbranch_execz .LBB242_16
; %bb.15:
	s_mov_b64 s[0:1], -1
	s_mov_b32 s4, 0
.LBB242_16:
	s_andn2_b64 vcc, exec, s[0:1]
	s_cbranch_vccnz .LBB242_19
; %bb.17:
	v_add_co_u32_e32 v2, vcc, s4, v8
	v_addc_co_u32_e32 v3, vcc, 0, v9, vcc
	v_lshlrev_b64 v[2:3], 2, v[2:3]
	v_mov_b32_e32 v1, s19
	v_add_co_u32_e32 v2, vcc, s18, v2
	s_sub_i32 s0, s20, s4
	v_addc_co_u32_e32 v3, vcc, v1, v3, vcc
.LBB242_18:                             ; =>This Inner Loop Header: Depth=1
	global_load_dword v1, v[2:3], off
	s_add_i32 s0, s0, -1
	s_cmp_lg_u32 s0, 0
	s_waitcnt vmcnt(0)
	v_mul_f32_e32 v1, v0, v1
	global_store_dword v[2:3], v1, off
	v_add_co_u32_e32 v2, vcc, 4, v2
	v_addc_co_u32_e32 v3, vcc, 0, v3, vcc
	s_cbranch_scc1 .LBB242_18
.LBB242_19:
	s_endpgm
	.section	.rodata,"a",@progbits
	.p2align	6, 0x0
	.amdhsa_kernel _ZN4vllm3moe17topkGatingSoftmaxItLi8ELi8ELi8ELi16ELb1ELi2ELNS0_23SharedExpertScoringFuncE1EEEvPKT_PKbPfiPiS9_iiiiii
		.amdhsa_group_segment_fixed_size 0
		.amdhsa_private_segment_fixed_size 0
		.amdhsa_kernarg_size 72
		.amdhsa_user_sgpr_count 6
		.amdhsa_user_sgpr_private_segment_buffer 1
		.amdhsa_user_sgpr_dispatch_ptr 0
		.amdhsa_user_sgpr_queue_ptr 0
		.amdhsa_user_sgpr_kernarg_segment_ptr 1
		.amdhsa_user_sgpr_dispatch_id 0
		.amdhsa_user_sgpr_flat_scratch_init 0
		.amdhsa_user_sgpr_kernarg_preload_length 0
		.amdhsa_user_sgpr_kernarg_preload_offset 0
		.amdhsa_user_sgpr_private_segment_size 0
		.amdhsa_uses_dynamic_stack 0
		.amdhsa_system_sgpr_private_segment_wavefront_offset 0
		.amdhsa_system_sgpr_workgroup_id_x 1
		.amdhsa_system_sgpr_workgroup_id_y 0
		.amdhsa_system_sgpr_workgroup_id_z 0
		.amdhsa_system_sgpr_workgroup_info 0
		.amdhsa_system_vgpr_workitem_id 1
		.amdhsa_next_free_vgpr 28
		.amdhsa_next_free_sgpr 32
		.amdhsa_accum_offset 28
		.amdhsa_reserve_vcc 1
		.amdhsa_reserve_flat_scratch 0
		.amdhsa_float_round_mode_32 0
		.amdhsa_float_round_mode_16_64 0
		.amdhsa_float_denorm_mode_32 3
		.amdhsa_float_denorm_mode_16_64 3
		.amdhsa_dx10_clamp 1
		.amdhsa_ieee_mode 1
		.amdhsa_fp16_overflow 0
		.amdhsa_tg_split 0
		.amdhsa_exception_fp_ieee_invalid_op 0
		.amdhsa_exception_fp_denorm_src 0
		.amdhsa_exception_fp_ieee_div_zero 0
		.amdhsa_exception_fp_ieee_overflow 0
		.amdhsa_exception_fp_ieee_underflow 0
		.amdhsa_exception_fp_ieee_inexact 0
		.amdhsa_exception_int_div_zero 0
	.end_amdhsa_kernel
	.section	.text._ZN4vllm3moe17topkGatingSoftmaxItLi8ELi8ELi8ELi16ELb1ELi2ELNS0_23SharedExpertScoringFuncE1EEEvPKT_PKbPfiPiS9_iiiiii,"axG",@progbits,_ZN4vllm3moe17topkGatingSoftmaxItLi8ELi8ELi8ELi16ELb1ELi2ELNS0_23SharedExpertScoringFuncE1EEEvPKT_PKbPfiPiS9_iiiiii,comdat
.Lfunc_end242:
	.size	_ZN4vllm3moe17topkGatingSoftmaxItLi8ELi8ELi8ELi16ELb1ELi2ELNS0_23SharedExpertScoringFuncE1EEEvPKT_PKbPfiPiS9_iiiiii, .Lfunc_end242-_ZN4vllm3moe17topkGatingSoftmaxItLi8ELi8ELi8ELi16ELb1ELi2ELNS0_23SharedExpertScoringFuncE1EEEvPKT_PKbPfiPiS9_iiiiii
                                        ; -- End function
	.section	.AMDGPU.csdata,"",@progbits
; Kernel info:
; codeLenInByte = 2084
; NumSgprs: 36
; NumVgprs: 28
; NumAgprs: 0
; TotalNumVgprs: 28
; ScratchSize: 0
; MemoryBound: 0
; FloatMode: 240
; IeeeMode: 1
; LDSByteSize: 0 bytes/workgroup (compile time only)
; SGPRBlocks: 4
; VGPRBlocks: 3
; NumSGPRsForWavesPerEU: 36
; NumVGPRsForWavesPerEU: 28
; AccumOffset: 28
; Occupancy: 8
; WaveLimiterHint : 0
; COMPUTE_PGM_RSRC2:SCRATCH_EN: 0
; COMPUTE_PGM_RSRC2:USER_SGPR: 6
; COMPUTE_PGM_RSRC2:TRAP_HANDLER: 0
; COMPUTE_PGM_RSRC2:TGID_X_EN: 1
; COMPUTE_PGM_RSRC2:TGID_Y_EN: 0
; COMPUTE_PGM_RSRC2:TGID_Z_EN: 0
; COMPUTE_PGM_RSRC2:TIDIG_COMP_CNT: 1
; COMPUTE_PGM_RSRC3_GFX90A:ACCUM_OFFSET: 6
; COMPUTE_PGM_RSRC3_GFX90A:TG_SPLIT: 0
	.section	.text._ZN4vllm3moe17topkGatingSoftmaxItLi8ELi8ELi8ELi16ELb0ELi2ELNS0_23SharedExpertScoringFuncE1EEEvPKT_PKbPfiPiS9_iiiiii,"axG",@progbits,_ZN4vllm3moe17topkGatingSoftmaxItLi8ELi8ELi8ELi16ELb0ELi2ELNS0_23SharedExpertScoringFuncE1EEEvPKT_PKbPfiPiS9_iiiiii,comdat
	.protected	_ZN4vllm3moe17topkGatingSoftmaxItLi8ELi8ELi8ELi16ELb0ELi2ELNS0_23SharedExpertScoringFuncE1EEEvPKT_PKbPfiPiS9_iiiiii ; -- Begin function _ZN4vllm3moe17topkGatingSoftmaxItLi8ELi8ELi8ELi16ELb0ELi2ELNS0_23SharedExpertScoringFuncE1EEEvPKT_PKbPfiPiS9_iiiiii
	.globl	_ZN4vllm3moe17topkGatingSoftmaxItLi8ELi8ELi8ELi16ELb0ELi2ELNS0_23SharedExpertScoringFuncE1EEEvPKT_PKbPfiPiS9_iiiiii
	.p2align	8
	.type	_ZN4vllm3moe17topkGatingSoftmaxItLi8ELi8ELi8ELi16ELb0ELi2ELNS0_23SharedExpertScoringFuncE1EEEvPKT_PKbPfiPiS9_iiiiii,@function
_ZN4vllm3moe17topkGatingSoftmaxItLi8ELi8ELi8ELi16ELb0ELi2ELNS0_23SharedExpertScoringFuncE1EEEvPKT_PKbPfiPiS9_iiiiii: ; @_ZN4vllm3moe17topkGatingSoftmaxItLi8ELi8ELi8ELi16ELb0ELi2ELNS0_23SharedExpertScoringFuncE1EEEvPKT_PKbPfiPiS9_iiiiii
; %bb.0:
	s_load_dword s33, s[4:5], 0x18
	v_bfe_u32 v1, v0, 10, 10
	s_lshl_b32 s34, s6, 9
	v_lshlrev_b32_e32 v20, 6, v1
	v_and_b32_e32 v21, 0x3ff, v0
	v_add3_u32 v16, v20, v21, s34
	s_waitcnt lgkmcnt(0)
	v_cmp_gt_i32_e32 vcc, s33, v16
	s_and_saveexec_b64 s[0:1], vcc
	s_cbranch_execz .LBB243_19
; %bb.1:
	s_load_dwordx4 s[0:3], s[4:5], 0x0
	s_load_dwordx2 s[18:19], s[4:5], 0x10
	s_waitcnt lgkmcnt(0)
	s_cmp_eq_u64 s[2:3], 0
	s_cbranch_scc1 .LBB243_3
; %bb.2:
	v_ashrrev_i32_e32 v1, 31, v16
	v_mov_b32_e32 v2, s3
	v_add_co_u32_e32 v0, vcc, s2, v16
	v_addc_co_u32_e32 v1, vcc, v2, v1, vcc
	global_load_ubyte v0, v[0:1], off
	s_waitcnt vmcnt(0)
	v_and_b32_e32 v0, 1, v0
	v_cmp_eq_u32_e32 vcc, 1, v0
	s_xor_b64 s[2:3], vcc, -1
	s_orn2_b64 s[30:31], s[2:3], exec
	s_branch .LBB243_4
.LBB243_3:
	s_mov_b64 s[30:31], -1
.LBB243_4:
	s_load_dwordx2 s[14:15], s[4:5], 0x40
	s_load_dwordx4 s[20:23], s[4:5], 0x30
	v_mov_b32_e32 v2, s1
	v_mov_b32_e32 v5, s19
	s_mov_b32 s1, 0x42ce8ed0
	s_waitcnt lgkmcnt(0)
	v_mul_lo_u32 v0, v16, s15
	v_ashrrev_i32_e32 v1, 31, v0
	v_lshlrev_b64 v[0:1], 1, v[0:1]
	v_add_co_u32_e32 v0, vcc, s0, v0
	v_addc_co_u32_e32 v1, vcc, v2, v1, vcc
	global_load_dwordx4 v[12:15], v[0:1], off
	global_load_dword v4, v[0:1], off offset:16
	v_mul_lo_u32 v0, v16, s23
	v_add_u32_e32 v2, s20, v0
	v_ashrrev_i32_e32 v3, 31, v2
	v_lshlrev_b64 v[2:3], 2, v[2:3]
	s_mov_b32 s0, 0xbfb8aa3b
	v_add_co_u32_e32 v18, vcc, s18, v2
	v_addc_co_u32_e32 v19, vcc, v5, v3, vcc
	s_mov_b32 s2, 0xc2b17218
	v_mov_b32_e32 v9, 0x7f800000
	s_cmp_gt_i32 s20, 0
	v_mov_b32_e32 v1, 0
	s_cselect_b64 s[28:29], -1, 0
	s_cmp_lt_i32 s20, 1
	s_waitcnt vmcnt(1)
	v_cvt_f32_u32_sdwa v11, v12 dst_sel:DWORD dst_unused:UNUSED_PAD src0_sel:WORD_1
	s_waitcnt vmcnt(0)
	v_cvt_f32_u32_sdwa v6, v4 dst_sel:DWORD dst_unused:UNUSED_PAD src0_sel:WORD_1
	v_cvt_f32_u32_sdwa v8, v4 dst_sel:DWORD dst_unused:UNUSED_PAD src0_sel:WORD_0
	v_cvt_f32_u32_sdwa v10, v12 dst_sel:DWORD dst_unused:UNUSED_PAD src0_sel:WORD_0
	v_cvt_f32_u32_sdwa v3, v13 dst_sel:DWORD dst_unused:UNUSED_PAD src0_sel:WORD_1
	v_mul_f32_e32 v4, 0xbfb8aa3b, v6
	v_mul_f32_e32 v5, 0xbfb8aa3b, v8
	v_fma_f32 v7, v6, s0, -v4
	v_rndne_f32_e32 v12, v4
	v_cvt_f32_u32_sdwa v2, v13 dst_sel:DWORD dst_unused:UNUSED_PAD src0_sel:WORD_0
	v_fma_f32 v13, v8, s0, -v5
	v_rndne_f32_e32 v17, v5
	v_fmac_f32_e32 v7, 0xb2a5705f, v6
	v_sub_f32_e32 v4, v4, v12
	v_fmac_f32_e32 v13, 0xb2a5705f, v8
	v_sub_f32_e32 v5, v5, v17
	v_add_f32_e32 v4, v4, v7
	v_cvt_i32_f32_e32 v12, v12
	v_add_f32_e32 v5, v5, v13
	v_exp_f32_e32 v7, v4
	v_cvt_i32_f32_e32 v17, v17
	v_exp_f32_e32 v13, v5
	v_cmp_nlt_f32_e32 vcc, s1, v6
	v_ldexp_f32 v7, v7, v12
	v_cndmask_b32_e32 v7, 0, v7, vcc
	v_ldexp_f32 v12, v13, v17
	v_cmp_nlt_f32_e32 vcc, s1, v8
	v_cndmask_b32_e32 v12, 0, v12, vcc
	v_cmp_ngt_f32_e32 vcc, s2, v6
	v_cndmask_b32_e32 v7, v9, v7, vcc
	v_cmp_ngt_f32_e32 vcc, s2, v8
	v_cndmask_b32_e32 v6, v9, v12, vcc
	v_pk_add_f32 v[12:13], v[6:7], 1.0 op_sel_hi:[1,0]
	v_div_scale_f32 v6, s[0:1], v13, v13, 1.0
	v_cvt_f32_u32_sdwa v5, v14 dst_sel:DWORD dst_unused:UNUSED_PAD src0_sel:WORD_1
	v_cvt_f32_u32_sdwa v4, v14 dst_sel:DWORD dst_unused:UNUSED_PAD src0_sel:WORD_0
	v_div_scale_f32 v8, s[0:1], v12, v12, 1.0
	v_rcp_f32_e32 v14, v6
	v_rcp_f32_e32 v17, v8
	v_div_scale_f32 v7, vcc, 1.0, v13, 1.0
	v_fma_f32 v23, -v6, v14, 1.0
	v_fma_f32 v24, -v8, v17, 1.0
	v_fmac_f32_e32 v14, v23, v14
	v_div_scale_f32 v22, s[0:1], 1.0, v12, 1.0
	v_fmac_f32_e32 v17, v24, v17
	v_mul_f32_e32 v23, v7, v14
	v_mul_f32_e32 v24, v22, v17
	v_fma_f32 v25, -v6, v23, v7
	v_fma_f32 v26, -v8, v24, v22
	v_fmac_f32_e32 v23, v25, v14
	v_fmac_f32_e32 v24, v26, v17
	v_fma_f32 v6, -v6, v23, v7
	v_div_fmas_f32 v6, v6, v14, v23
	v_fma_f32 v8, -v8, v24, v22
	s_mov_b64 vcc, s[0:1]
	v_div_fixup_f32 v13, v6, v13, 1.0
	v_div_fmas_f32 v6, v8, v17, v24
	v_cmp_lt_f32_e32 vcc, v10, v11
	v_cndmask_b32_e32 v8, v10, v11, vcc
	v_cmp_lt_f32_e64 s[0:1], v8, v2
	v_cndmask_b32_e64 v8, v8, v2, s[0:1]
	v_cmp_lt_f32_e64 s[2:3], v8, v3
	v_cndmask_b32_e64 v8, v8, v3, s[2:3]
	v_div_fixup_f32 v12, v6, v12, 1.0
	v_cvt_f32_u32_sdwa v6, v15 dst_sel:DWORD dst_unused:UNUSED_PAD src0_sel:WORD_0
	v_cmp_lt_f32_e64 s[6:7], v8, v4
	v_cndmask_b32_e64 v8, v8, v4, s[6:7]
	v_cvt_f32_u32_sdwa v7, v15 dst_sel:DWORD dst_unused:UNUSED_PAD src0_sel:WORD_1
	v_cmp_lt_f32_e64 s[8:9], v8, v5
	v_cndmask_b32_e64 v8, v8, v5, s[8:9]
	v_cmp_lt_f32_e64 s[10:11], v8, v6
	v_cndmask_b32_e64 v8, v8, v6, s[10:11]
	;; [unrolled: 2-line block ×3, first 2 shown]
	global_store_dwordx2 v[18:19], v[12:13], off
	s_cbranch_scc1 .LBB243_8
; %bb.5:
	s_load_dwordx4 s[24:27], s[4:5], 0x20
	v_mul_lo_u32 v12, v16, s14
	v_ashrrev_i32_e32 v13, 31, v12
	v_lshlrev_b64 v[14:15], 2, v[12:13]
	v_sub_f32_e32 v24, v8, v8
	s_waitcnt lgkmcnt(0)
	v_mov_b32_e32 v1, s25
	v_add_co_u32_e64 v12, s[4:5], s24, v14
	v_addc_co_u32_e64 v13, s[4:5], v1, v15, s[4:5]
	v_cndmask_b32_e64 v1, 0, 1, vcc
	v_cndmask_b32_e64 v1, v1, 2, s[0:1]
	v_cndmask_b32_e64 v1, v1, 3, s[2:3]
	;; [unrolled: 1-line block ×6, first 2 shown]
	v_cmp_le_i32_e32 vcc, s21, v23
	v_cmp_gt_i32_e64 s[0:1], s22, v23
	s_and_b64 s[0:1], vcc, s[0:1]
	v_subrev_u32_e32 v1, s21, v23
	s_and_b64 vcc, s[30:31], s[0:1]
	v_cndmask_b32_e32 v1, 8, v1, vcc
	global_store_dword v[12:13], v1, off
	v_mul_lo_u32 v12, v16, s20
	v_ashrrev_i32_e32 v13, 31, v12
	v_lshlrev_b64 v[12:13], 2, v[12:13]
	v_mov_b32_e32 v1, s27
	v_add_co_u32_e32 v18, vcc, s26, v12
	v_addc_co_u32_e32 v19, vcc, v1, v13, vcc
	v_mul_f32_e32 v1, 0x3fb8aa3b, v24
	global_store_dword v[18:19], v16, off
	s_mov_b32 s23, 0x3fb8aa3b
	v_rndne_f32_e32 v16, v1
	v_sub_f32_e32 v17, v1, v16
	v_fma_f32 v1, v24, s23, -v1
	v_fmac_f32_e32 v1, 0x32a5705f, v24
	v_add_f32_e32 v1, v17, v1
	v_exp_f32_e32 v1, v1
	v_cvt_i32_f32_e32 v16, v16
	v_mov_b32_e32 v19, s19
	s_mov_b32 s35, 0xc2ce8ed0
	v_cmp_ngt_f32_e64 s[16:17], s35, v24
	v_ldexp_f32 v25, v1, v16
	v_ashrrev_i32_e32 v1, 31, v0
	v_lshlrev_b64 v[16:17], 2, v[0:1]
	v_add_co_u32_e32 v18, vcc, s18, v16
	v_addc_co_u32_e64 v19, s[0:1], v19, v17, vcc
	s_mov_b32 s36, 0x42b17218
	v_mov_b32_e32 v22, 0xff800000
	v_cmp_ne_u32_e64 s[0:1], 7, v23
	v_cmp_ne_u32_e64 s[2:3], 6, v23
	;; [unrolled: 1-line block ×8, first 2 shown]
	v_cndmask_b32_e64 v1, 0, v25, s[16:17]
	v_cmp_nlt_f32_e64 s[16:17], s36, v24
	v_cndmask_b32_e64 v1, v9, v1, s[16:17]
	v_cndmask_b32_e64 v7, v22, v7, s[0:1]
	v_cndmask_b32_e64 v6, v22, v6, s[2:3]
	v_cndmask_b32_e64 v5, v22, v5, s[4:5]
	v_cndmask_b32_e64 v4, v22, v4, s[6:7]
	v_cndmask_b32_e64 v3, v22, v3, s[8:9]
	v_cndmask_b32_e64 v2, v22, v2, s[10:11]
	v_cndmask_b32_e64 v11, v22, v11, s[12:13]
	s_cmp_eq_u32 s20, 1
	v_cndmask_b32_e64 v10, v22, v10, s[14:15]
	global_store_dword v[18:19], v1, off
	s_cbranch_scc1 .LBB243_8
; %bb.6:
	v_mov_b32_e32 v16, s27
	v_add_co_u32_e64 v12, s[0:1], s26, v12
	v_addc_co_u32_e64 v13, s[0:1], v13, v16, s[0:1]
	v_add_co_u32_e64 v12, s[0:1], 4, v12
	v_addc_co_u32_e64 v13, s[0:1], 0, v13, s[0:1]
	v_mov_b32_e32 v16, s25
	v_add_co_u32_e64 v14, s[0:1], s24, v14
	v_addc_co_u32_e64 v15, s[0:1], v15, v16, s[0:1]
	v_mov_b32_e32 v16, s19
	v_addc_co_u32_e32 v17, vcc, v17, v16, vcc
	v_add_co_u32_e64 v14, s[0:1], 4, v14
	v_add_co_u32_e32 v16, vcc, 4, v18
	s_add_i32 s34, s34, s33
	v_addc_co_u32_e64 v15, s[0:1], 0, v15, s[0:1]
	v_addc_co_u32_e32 v17, vcc, 0, v17, vcc
	s_add_i32 s24, s20, -1
	v_add3_u32 v18, s34, v21, v20
	v_mov_b32_e32 v19, 0x7f800000
.LBB243_7:                              ; =>This Inner Loop Header: Depth=1
	v_cmp_gt_f32_e32 vcc, v11, v10
	v_cndmask_b32_e32 v20, v10, v11, vcc
	v_cmp_gt_f32_e64 s[0:1], v2, v20
	v_cndmask_b32_e64 v20, v20, v2, s[0:1]
	v_cmp_gt_f32_e64 s[2:3], v3, v20
	v_cndmask_b32_e64 v20, v20, v3, s[2:3]
	;; [unrolled: 2-line block ×6, first 2 shown]
	v_sub_f32_e32 v20, v20, v8
	v_mul_f32_e32 v21, 0x3fb8aa3b, v20
	v_fma_f32 v23, v20, s23, -v21
	v_rndne_f32_e32 v24, v21
	v_fmac_f32_e32 v23, 0x32a5705f, v20
	v_sub_f32_e32 v21, v21, v24
	v_add_f32_e32 v21, v21, v23
	v_cndmask_b32_e64 v23, 0, 1, vcc
	v_cndmask_b32_e64 v23, v23, 2, s[0:1]
	v_cndmask_b32_e64 v23, v23, 3, s[2:3]
	;; [unrolled: 1-line block ×6, first 2 shown]
	v_cmp_le_i32_e32 vcc, s21, v23
	v_cmp_gt_i32_e64 s[0:1], s22, v23
	s_and_b64 s[0:1], vcc, s[0:1]
	v_cmp_ne_u32_e64 s[2:3], 7, v23
	v_cmp_ne_u32_e64 s[4:5], 6, v23
	;; [unrolled: 1-line block ×8, first 2 shown]
	v_subrev_u32_e32 v23, s21, v23
	s_and_b64 vcc, s[30:31], s[0:1]
	v_cndmask_b32_e32 v23, 8, v23, vcc
	global_store_dword v[14:15], v23, off
	v_cvt_i32_f32_e32 v23, v24
	v_exp_f32_e32 v21, v21
	v_cmp_ngt_f32_e32 vcc, s35, v20
	global_store_dword v[12:13], v18, off
	s_add_i32 s24, s24, -1
	v_ldexp_f32 v21, v21, v23
	v_cndmask_b32_e32 v21, 0, v21, vcc
	v_cmp_nlt_f32_e32 vcc, s36, v20
	v_cndmask_b32_e32 v20, v19, v21, vcc
	v_add_co_u32_e32 v12, vcc, 4, v12
	v_addc_co_u32_e32 v13, vcc, 0, v13, vcc
	v_add_co_u32_e32 v14, vcc, 4, v14
	v_addc_co_u32_e32 v15, vcc, 0, v15, vcc
	global_store_dword v[16:17], v20, off
	v_add_co_u32_e32 v16, vcc, 4, v16
	v_add_f32_e32 v1, v1, v20
	v_cndmask_b32_e64 v7, v22, v7, s[2:3]
	v_cndmask_b32_e64 v6, v22, v6, s[4:5]
	v_cndmask_b32_e64 v5, v22, v5, s[6:7]
	v_cndmask_b32_e64 v4, v22, v4, s[8:9]
	v_cndmask_b32_e64 v3, v22, v3, s[10:11]
	v_cndmask_b32_e64 v2, v22, v2, s[12:13]
	v_cndmask_b32_e64 v11, v22, v11, s[14:15]
	v_cndmask_b32_e64 v10, v22, v10, s[16:17]
	v_add_u32_e32 v18, s33, v18
	s_cmp_eq_u32 s24, 0
	v_addc_co_u32_e32 v17, vcc, 0, v17, vcc
	s_cbranch_scc0 .LBB243_7
.LBB243_8:
	v_pk_add_f32 v[10:11], v[10:11], v[8:9] op_sel_hi:[1,0] neg_lo:[0,1] neg_hi:[0,1]
	s_mov_b32 s0, 0x3fb8aa3b
	v_mul_f32_e32 v12, 0x3fb8aa3b, v11
	v_fma_f32 v13, v11, s0, -v12
	v_rndne_f32_e32 v14, v12
	v_fmac_f32_e32 v13, 0x32a5705f, v11
	v_sub_f32_e32 v12, v12, v14
	v_add_f32_e32 v12, v12, v13
	v_exp_f32_e32 v12, v12
	v_cvt_i32_f32_e32 v13, v14
	s_mov_b32 s1, 0xc2ce8ed0
	v_cmp_ngt_f32_e32 vcc, s1, v11
	s_mov_b32 s2, 0x42b17218
	v_ldexp_f32 v12, v12, v13
	v_mul_f32_e32 v13, 0x3fb8aa3b, v10
	v_fma_f32 v14, v10, s0, -v13
	v_rndne_f32_e32 v15, v13
	v_fmac_f32_e32 v14, 0x32a5705f, v10
	v_sub_f32_e32 v13, v13, v15
	v_add_f32_e32 v13, v13, v14
	v_exp_f32_e32 v13, v13
	v_cvt_i32_f32_e32 v14, v15
	v_cndmask_b32_e32 v12, 0, v12, vcc
	v_cmp_nlt_f32_e32 vcc, s2, v11
	v_sub_f32_e32 v2, v2, v8
	v_cndmask_b32_e32 v11, v9, v12, vcc
	v_ldexp_f32 v12, v13, v14
	v_mul_f32_e32 v13, 0x3fb8aa3b, v2
	v_fma_f32 v14, v2, s0, -v13
	v_rndne_f32_e32 v15, v13
	v_fmac_f32_e32 v14, 0x32a5705f, v2
	v_sub_f32_e32 v13, v13, v15
	v_add_f32_e32 v13, v13, v14
	v_exp_f32_e32 v13, v13
	v_cvt_i32_f32_e32 v14, v15
	v_cmp_ngt_f32_e32 vcc, s1, v10
	v_cndmask_b32_e32 v12, 0, v12, vcc
	v_cmp_nlt_f32_e32 vcc, s2, v10
	v_sub_f32_e32 v3, v3, v8
	v_cndmask_b32_e32 v10, v9, v12, vcc
	v_mul_f32_e32 v12, 0x3fb8aa3b, v3
	v_add_f32_e32 v10, v10, v11
	v_ldexp_f32 v11, v13, v14
	v_fma_f32 v13, v3, s0, -v12
	v_rndne_f32_e32 v14, v12
	v_fmac_f32_e32 v13, 0x32a5705f, v3
	v_sub_f32_e32 v12, v12, v14
	v_add_f32_e32 v12, v12, v13
	v_exp_f32_e32 v12, v12
	v_cvt_i32_f32_e32 v13, v14
	v_cmp_ngt_f32_e32 vcc, s1, v2
	v_cndmask_b32_e32 v11, 0, v11, vcc
	v_cmp_nlt_f32_e32 vcc, s2, v2
	v_sub_f32_e32 v4, v4, v8
	v_cndmask_b32_e32 v2, v9, v11, vcc
	v_mul_f32_e32 v11, 0x3fb8aa3b, v4
	v_add_f32_e32 v2, v10, v2
	v_ldexp_f32 v10, v12, v13
	;; [unrolled: 15-line block ×4, first 2 shown]
	v_fma_f32 v10, v4, s0, -v6
	v_rndne_f32_e32 v11, v6
	v_fmac_f32_e32 v10, 0x32a5705f, v4
	v_sub_f32_e32 v6, v6, v11
	v_add_f32_e32 v6, v6, v10
	v_exp_f32_e32 v6, v6
	v_cvt_i32_f32_e32 v10, v11
	v_cmp_ngt_f32_e32 vcc, s1, v5
	v_cndmask_b32_e32 v3, 0, v3, vcc
	v_cmp_nlt_f32_e32 vcc, s2, v5
	v_cndmask_b32_e32 v3, v9, v3, vcc
	v_sub_f32_e32 v5, v7, v8
	v_add_f32_e32 v2, v2, v3
	v_ldexp_f32 v3, v6, v10
	v_mul_f32_e32 v6, 0x3fb8aa3b, v5
	v_fma_f32 v7, v5, s0, -v6
	v_rndne_f32_e32 v8, v6
	v_fmac_f32_e32 v7, 0x32a5705f, v5
	v_sub_f32_e32 v6, v6, v8
	v_add_f32_e32 v6, v6, v7
	v_exp_f32_e32 v6, v6
	v_cvt_i32_f32_e32 v7, v8
	v_cmp_ngt_f32_e32 vcc, s1, v4
	v_cndmask_b32_e32 v3, 0, v3, vcc
	v_cmp_nlt_f32_e32 vcc, s2, v4
	v_cndmask_b32_e32 v3, v9, v3, vcc
	v_add_f32_e32 v2, v2, v3
	v_ldexp_f32 v3, v6, v7
	v_cmp_ngt_f32_e32 vcc, s1, v5
	v_cndmask_b32_e32 v3, 0, v3, vcc
	v_cmp_nlt_f32_e32 vcc, s2, v5
	v_cndmask_b32_e32 v3, v9, v3, vcc
	v_add_f32_e32 v2, v2, v3
	v_add_f32_e32 v1, v1, v2
	v_cmp_neq_f32_e32 vcc, 0, v1
	s_and_b64 exec, exec, vcc
	s_cbranch_execz .LBB243_19
; %bb.9:
	s_andn2_b64 vcc, exec, s[28:29]
	s_cbranch_vccnz .LBB243_19
; %bb.10:
	v_div_scale_f32 v2, s[0:1], v1, v1, 1.0
	v_rcp_f32_e32 v3, v2
	v_div_scale_f32 v4, vcc, 1.0, v1, 1.0
	s_cmp_gt_u32 s20, 3
	v_fma_f32 v5, -v2, v3, 1.0
	v_fmac_f32_e32 v3, v5, v3
	v_mul_f32_e32 v5, v4, v3
	v_fma_f32 v6, -v2, v5, v4
	v_fmac_f32_e32 v5, v6, v3
	v_fma_f32 v2, -v2, v5, v4
	v_div_fmas_f32 v2, v2, v3, v5
	v_div_fixup_f32 v2, v2, v1, 1.0
	v_ashrrev_i32_e32 v1, 31, v0
	s_cbranch_scc0 .LBB243_14
; %bb.11:
	v_lshlrev_b64 v[4:5], 2, v[0:1]
	v_mov_b32_e32 v6, s19
	v_add_co_u32_e32 v4, vcc, s18, v4
	v_addc_co_u32_e32 v5, vcc, v5, v6, vcc
	s_and_b32 s4, s20, 0x7ffffffc
	v_add_co_u32_e32 v4, vcc, 8, v4
	v_mov_b32_e32 v3, v2
	v_addc_co_u32_e32 v5, vcc, 0, v5, vcc
	s_mov_b32 s0, s4
.LBB243_12:                             ; =>This Inner Loop Header: Depth=1
	global_load_dwordx4 v[6:9], v[4:5], off offset:-8
	s_add_i32 s0, s0, -4
	s_cmp_lg_u32 s0, 0
	s_waitcnt vmcnt(0)
	v_pk_mul_f32 v[6:7], v[2:3], v[6:7]
	v_pk_mul_f32 v[8:9], v[2:3], v[8:9]
	global_store_dwordx4 v[4:5], v[6:9], off offset:-8
	v_add_co_u32_e32 v4, vcc, 16, v4
	v_addc_co_u32_e32 v5, vcc, 0, v5, vcc
	s_cbranch_scc1 .LBB243_12
; %bb.13:
	s_cmp_lg_u32 s4, s20
	s_cselect_b64 s[0:1], -1, 0
	s_branch .LBB243_16
.LBB243_14:
	s_mov_b64 s[0:1], 0
                                        ; implicit-def: $sgpr4
	s_cbranch_execz .LBB243_16
; %bb.15:
	s_mov_b64 s[0:1], -1
	s_mov_b32 s4, 0
.LBB243_16:
	s_andn2_b64 vcc, exec, s[0:1]
	s_cbranch_vccnz .LBB243_19
; %bb.17:
	v_add_co_u32_e32 v0, vcc, s4, v0
	v_addc_co_u32_e32 v1, vcc, 0, v1, vcc
	v_lshlrev_b64 v[0:1], 2, v[0:1]
	v_mov_b32_e32 v3, s19
	v_add_co_u32_e32 v0, vcc, s18, v0
	s_sub_i32 s0, s20, s4
	v_addc_co_u32_e32 v1, vcc, v3, v1, vcc
.LBB243_18:                             ; =>This Inner Loop Header: Depth=1
	global_load_dword v3, v[0:1], off
	s_add_i32 s0, s0, -1
	s_cmp_lg_u32 s0, 0
	s_waitcnt vmcnt(0)
	v_mul_f32_e32 v3, v2, v3
	global_store_dword v[0:1], v3, off
	v_add_co_u32_e32 v0, vcc, 4, v0
	v_addc_co_u32_e32 v1, vcc, 0, v1, vcc
	s_cbranch_scc1 .LBB243_18
.LBB243_19:
	s_endpgm
	.section	.rodata,"a",@progbits
	.p2align	6, 0x0
	.amdhsa_kernel _ZN4vllm3moe17topkGatingSoftmaxItLi8ELi8ELi8ELi16ELb0ELi2ELNS0_23SharedExpertScoringFuncE1EEEvPKT_PKbPfiPiS9_iiiiii
		.amdhsa_group_segment_fixed_size 0
		.amdhsa_private_segment_fixed_size 0
		.amdhsa_kernarg_size 72
		.amdhsa_user_sgpr_count 6
		.amdhsa_user_sgpr_private_segment_buffer 1
		.amdhsa_user_sgpr_dispatch_ptr 0
		.amdhsa_user_sgpr_queue_ptr 0
		.amdhsa_user_sgpr_kernarg_segment_ptr 1
		.amdhsa_user_sgpr_dispatch_id 0
		.amdhsa_user_sgpr_flat_scratch_init 0
		.amdhsa_user_sgpr_kernarg_preload_length 0
		.amdhsa_user_sgpr_kernarg_preload_offset 0
		.amdhsa_user_sgpr_private_segment_size 0
		.amdhsa_uses_dynamic_stack 0
		.amdhsa_system_sgpr_private_segment_wavefront_offset 0
		.amdhsa_system_sgpr_workgroup_id_x 1
		.amdhsa_system_sgpr_workgroup_id_y 0
		.amdhsa_system_sgpr_workgroup_id_z 0
		.amdhsa_system_sgpr_workgroup_info 0
		.amdhsa_system_vgpr_workitem_id 1
		.amdhsa_next_free_vgpr 27
		.amdhsa_next_free_sgpr 37
		.amdhsa_accum_offset 28
		.amdhsa_reserve_vcc 1
		.amdhsa_reserve_flat_scratch 0
		.amdhsa_float_round_mode_32 0
		.amdhsa_float_round_mode_16_64 0
		.amdhsa_float_denorm_mode_32 3
		.amdhsa_float_denorm_mode_16_64 3
		.amdhsa_dx10_clamp 1
		.amdhsa_ieee_mode 1
		.amdhsa_fp16_overflow 0
		.amdhsa_tg_split 0
		.amdhsa_exception_fp_ieee_invalid_op 0
		.amdhsa_exception_fp_denorm_src 0
		.amdhsa_exception_fp_ieee_div_zero 0
		.amdhsa_exception_fp_ieee_overflow 0
		.amdhsa_exception_fp_ieee_underflow 0
		.amdhsa_exception_fp_ieee_inexact 0
		.amdhsa_exception_int_div_zero 0
	.end_amdhsa_kernel
	.section	.text._ZN4vllm3moe17topkGatingSoftmaxItLi8ELi8ELi8ELi16ELb0ELi2ELNS0_23SharedExpertScoringFuncE1EEEvPKT_PKbPfiPiS9_iiiiii,"axG",@progbits,_ZN4vllm3moe17topkGatingSoftmaxItLi8ELi8ELi8ELi16ELb0ELi2ELNS0_23SharedExpertScoringFuncE1EEEvPKT_PKbPfiPiS9_iiiiii,comdat
.Lfunc_end243:
	.size	_ZN4vllm3moe17topkGatingSoftmaxItLi8ELi8ELi8ELi16ELb0ELi2ELNS0_23SharedExpertScoringFuncE1EEEvPKT_PKbPfiPiS9_iiiiii, .Lfunc_end243-_ZN4vllm3moe17topkGatingSoftmaxItLi8ELi8ELi8ELi16ELb0ELi2ELNS0_23SharedExpertScoringFuncE1EEEvPKT_PKbPfiPiS9_iiiiii
                                        ; -- End function
	.section	.AMDGPU.csdata,"",@progbits
; Kernel info:
; codeLenInByte = 2780
; NumSgprs: 41
; NumVgprs: 27
; NumAgprs: 0
; TotalNumVgprs: 27
; ScratchSize: 0
; MemoryBound: 0
; FloatMode: 240
; IeeeMode: 1
; LDSByteSize: 0 bytes/workgroup (compile time only)
; SGPRBlocks: 5
; VGPRBlocks: 3
; NumSGPRsForWavesPerEU: 41
; NumVGPRsForWavesPerEU: 27
; AccumOffset: 28
; Occupancy: 8
; WaveLimiterHint : 0
; COMPUTE_PGM_RSRC2:SCRATCH_EN: 0
; COMPUTE_PGM_RSRC2:USER_SGPR: 6
; COMPUTE_PGM_RSRC2:TRAP_HANDLER: 0
; COMPUTE_PGM_RSRC2:TGID_X_EN: 1
; COMPUTE_PGM_RSRC2:TGID_Y_EN: 0
; COMPUTE_PGM_RSRC2:TGID_Z_EN: 0
; COMPUTE_PGM_RSRC2:TIDIG_COMP_CNT: 1
; COMPUTE_PGM_RSRC3_GFX90A:ACCUM_OFFSET: 6
; COMPUTE_PGM_RSRC3_GFX90A:TG_SPLIT: 0
	.section	.text._ZN4vllm3moe17topkGatingSoftmaxItLi8ELi8ELi8ELi16ELb1ELi4ELNS0_23SharedExpertScoringFuncE1EEEvPKT_PKbPfiPiS9_iiiiii,"axG",@progbits,_ZN4vllm3moe17topkGatingSoftmaxItLi8ELi8ELi8ELi16ELb1ELi4ELNS0_23SharedExpertScoringFuncE1EEEvPKT_PKbPfiPiS9_iiiiii,comdat
	.protected	_ZN4vllm3moe17topkGatingSoftmaxItLi8ELi8ELi8ELi16ELb1ELi4ELNS0_23SharedExpertScoringFuncE1EEEvPKT_PKbPfiPiS9_iiiiii ; -- Begin function _ZN4vllm3moe17topkGatingSoftmaxItLi8ELi8ELi8ELi16ELb1ELi4ELNS0_23SharedExpertScoringFuncE1EEEvPKT_PKbPfiPiS9_iiiiii
	.globl	_ZN4vllm3moe17topkGatingSoftmaxItLi8ELi8ELi8ELi16ELb1ELi4ELNS0_23SharedExpertScoringFuncE1EEEvPKT_PKbPfiPiS9_iiiiii
	.p2align	8
	.type	_ZN4vllm3moe17topkGatingSoftmaxItLi8ELi8ELi8ELi16ELb1ELi4ELNS0_23SharedExpertScoringFuncE1EEEvPKT_PKbPfiPiS9_iiiiii,@function
_ZN4vllm3moe17topkGatingSoftmaxItLi8ELi8ELi8ELi16ELb1ELi4ELNS0_23SharedExpertScoringFuncE1EEEvPKT_PKbPfiPiS9_iiiiii: ; @_ZN4vllm3moe17topkGatingSoftmaxItLi8ELi8ELi8ELi16ELb1ELi4ELNS0_23SharedExpertScoringFuncE1EEEvPKT_PKbPfiPiS9_iiiiii
; %bb.0:
	s_load_dword s28, s[4:5], 0x18
	v_bfe_u32 v1, v0, 10, 10
	s_lshl_b32 s10, s6, 9
	v_lshlrev_b32_e32 v17, 6, v1
	v_and_b32_e32 v18, 0x3ff, v0
	v_add3_u32 v4, v17, v18, s10
	s_waitcnt lgkmcnt(0)
	v_cmp_gt_i32_e32 vcc, s28, v4
	s_and_saveexec_b64 s[0:1], vcc
	s_cbranch_execz .LBB244_19
; %bb.1:
	s_load_dwordx4 s[0:3], s[4:5], 0x0
	s_load_dwordx2 s[18:19], s[4:5], 0x10
	s_waitcnt lgkmcnt(0)
	s_cmp_eq_u64 s[2:3], 0
	s_cbranch_scc1 .LBB244_3
; %bb.2:
	v_ashrrev_i32_e32 v1, 31, v4
	v_mov_b32_e32 v2, s3
	v_add_co_u32_e32 v0, vcc, s2, v4
	v_addc_co_u32_e32 v1, vcc, v2, v1, vcc
	global_load_ubyte v0, v[0:1], off
	s_waitcnt vmcnt(0)
	v_and_b32_e32 v0, 1, v0
	v_cmp_eq_u32_e32 vcc, 1, v0
	s_xor_b64 s[2:3], vcc, -1
	s_orn2_b64 s[24:25], s[2:3], exec
	s_branch .LBB244_4
.LBB244_3:
	s_mov_b64 s[24:25], -1
.LBB244_4:
	s_load_dwordx2 s[8:9], s[4:5], 0x40
	s_load_dwordx4 s[20:23], s[4:5], 0x30
	v_mov_b32_e32 v2, s1
	v_mov_b32_e32 v9, s19
	s_mov_b32 s1, 0x42ce8ed0
	s_waitcnt lgkmcnt(0)
	v_mul_lo_u32 v0, v4, s9
	v_ashrrev_i32_e32 v1, 31, v0
	v_lshlrev_b64 v[0:1], 1, v[0:1]
	v_add_co_u32_e32 v0, vcc, s0, v0
	v_addc_co_u32_e32 v1, vcc, v2, v1, vcc
	global_load_dwordx2 v[6:7], v[0:1], off offset:16
	v_mul_lo_u32 v8, v4, s23
	global_load_dwordx4 v[0:3], v[0:1], off
	v_add_u32_e32 v10, s20, v8
	v_ashrrev_i32_e32 v11, 31, v10
	v_lshlrev_b64 v[10:11], 2, v[10:11]
	v_add_co_u32_e32 v14, vcc, s18, v10
	v_addc_co_u32_e32 v15, vcc, v9, v11, vcc
	s_mov_b32 s0, 0xbfb8aa3b
	s_mov_b32 s2, 0xc2b17218
	v_mov_b32_e32 v5, 0x7f800000
	s_cmp_gt_i32 s20, 0
	v_mov_b32_e32 v16, 0
	s_cselect_b64 s[26:27], -1, 0
	s_cmp_lt_i32 s20, 1
	s_waitcnt vmcnt(1)
	v_cvt_f32_u32_sdwa v9, v6 dst_sel:DWORD dst_unused:UNUSED_PAD src0_sel:WORD_1
	v_cvt_f32_u32_sdwa v6, v6 dst_sel:DWORD dst_unused:UNUSED_PAD src0_sel:WORD_0
	v_cvt_f32_u32_sdwa v10, v7 dst_sel:DWORD dst_unused:UNUSED_PAD src0_sel:WORD_1
	v_cvt_f32_u32_sdwa v12, v7 dst_sel:DWORD dst_unused:UNUSED_PAD src0_sel:WORD_0
	v_mul_f32_e32 v7, 0xbfb8aa3b, v9
	v_mul_f32_e32 v11, 0xbfb8aa3b, v6
	v_fma_f32 v20, v9, s0, -v7
	v_rndne_f32_e32 v21, v7
	v_mul_f32_e32 v13, 0xbfb8aa3b, v10
	v_fma_f32 v22, v6, s0, -v11
	v_rndne_f32_e32 v23, v11
	v_fmac_f32_e32 v20, 0xb2a5705f, v9
	v_sub_f32_e32 v7, v7, v21
	v_mul_f32_e32 v19, 0xbfb8aa3b, v12
	v_fma_f32 v24, v10, s0, -v13
	v_rndne_f32_e32 v25, v13
	v_fmac_f32_e32 v22, 0xb2a5705f, v6
	v_sub_f32_e32 v11, v11, v23
	v_add_f32_e32 v7, v7, v20
	v_fma_f32 v26, v12, s0, -v19
	v_rndne_f32_e32 v27, v19
	v_cvt_i32_f32_e32 v21, v21
	v_fmac_f32_e32 v24, 0xb2a5705f, v10
	v_sub_f32_e32 v13, v13, v25
	v_add_f32_e32 v11, v11, v22
	v_exp_f32_e32 v7, v7
	v_cvt_i32_f32_e32 v23, v23
	v_fmac_f32_e32 v26, 0xb2a5705f, v12
	v_sub_f32_e32 v19, v19, v27
	v_add_f32_e32 v13, v13, v24
	v_exp_f32_e32 v11, v11
	v_cvt_i32_f32_e32 v25, v25
	v_add_f32_e32 v19, v19, v26
	v_exp_f32_e32 v13, v13
	v_cvt_i32_f32_e32 v27, v27
	v_exp_f32_e32 v19, v19
	v_ldexp_f32 v7, v7, v21
	v_cmp_nlt_f32_e32 vcc, s1, v9
	v_ldexp_f32 v11, v11, v23
	v_cndmask_b32_e32 v7, 0, v7, vcc
	v_cmp_nlt_f32_e32 vcc, s1, v6
	v_ldexp_f32 v13, v13, v25
	v_cndmask_b32_e32 v11, 0, v11, vcc
	;; [unrolled: 3-line block ×3, first 2 shown]
	v_cmp_nlt_f32_e32 vcc, s1, v12
	v_cndmask_b32_e32 v19, 0, v19, vcc
	v_cmp_ngt_f32_e32 vcc, s2, v9
	v_cndmask_b32_e32 v7, v5, v7, vcc
	v_cmp_ngt_f32_e32 vcc, s2, v6
	;; [unrolled: 2-line block ×4, first 2 shown]
	v_pk_add_f32 v[6:7], v[6:7], 1.0 op_sel_hi:[1,0]
	v_cndmask_b32_e32 v10, v5, v19, vcc
	v_div_scale_f32 v9, s[0:1], v7, v7, 1.0
	v_pk_add_f32 v[12:13], v[10:11], 1.0 op_sel_hi:[1,0]
	v_div_scale_f32 v11, s[0:1], v6, v6, 1.0
	v_rcp_f32_e32 v21, v9
	v_div_scale_f32 v20, s[2:3], v13, v13, 1.0
	v_rcp_f32_e32 v22, v11
	v_rcp_f32_e32 v23, v20
	v_fma_f32 v25, -v9, v21, 1.0
	v_div_scale_f32 v10, vcc, 1.0, v7, 1.0
	v_fma_f32 v26, -v11, v22, 1.0
	v_fmac_f32_e32 v21, v25, v21
	v_div_scale_f32 v19, s[0:1], 1.0, v6, 1.0
	v_fma_f32 v27, -v20, v23, 1.0
	v_fmac_f32_e32 v22, v26, v22
	v_mul_f32_e32 v25, v10, v21
	v_fmac_f32_e32 v23, v27, v23
	v_mul_f32_e32 v26, v19, v22
	v_fma_f32 v27, -v9, v25, v10
	v_fma_f32 v28, -v11, v26, v19
	v_fmac_f32_e32 v25, v27, v21
	v_fmac_f32_e32 v26, v28, v22
	v_fma_f32 v9, -v9, v25, v10
	v_fma_f32 v10, -v11, v26, v19
	v_div_fmas_f32 v9, v9, v21, v25
	s_mov_b64 vcc, s[0:1]
	v_div_scale_f32 v24, s[2:3], 1.0, v13, 1.0
	v_div_fixup_f32 v11, v9, v7, 1.0
	v_div_fmas_f32 v7, v10, v22, v26
	v_div_fixup_f32 v10, v7, v6, 1.0
	v_mul_f32_e32 v6, v24, v23
	v_div_scale_f32 v9, s[0:1], v12, v12, 1.0
	v_fma_f32 v7, -v20, v6, v24
	v_rcp_f32_e32 v19, v9
	v_fmac_f32_e32 v6, v7, v23
	v_fma_f32 v7, -v20, v6, v24
	s_mov_b64 vcc, s[2:3]
	v_div_fmas_f32 v6, v7, v23, v6
	v_div_fixup_f32 v13, v6, v13, 1.0
	v_fma_f32 v6, -v9, v19, 1.0
	v_fmac_f32_e32 v19, v6, v19
	v_div_scale_f32 v6, vcc, 1.0, v12, 1.0
	v_mul_f32_e32 v7, v6, v19
	v_fma_f32 v20, -v9, v7, v6
	v_fmac_f32_e32 v7, v20, v19
	v_fma_f32 v6, -v9, v7, v6
	v_div_fmas_f32 v6, v6, v19, v7
	v_div_fixup_f32 v12, v6, v12, 1.0
	global_store_dwordx4 v[14:15], v[10:13], off
	s_cbranch_scc1 .LBB244_8
; %bb.5:
	s_waitcnt vmcnt(1)
	v_cvt_f32_u32_sdwa v20, v0 dst_sel:DWORD dst_unused:UNUSED_PAD src0_sel:WORD_1
	v_cvt_f32_u32_sdwa v21, v0 dst_sel:DWORD dst_unused:UNUSED_PAD src0_sel:WORD_0
	v_cvt_f32_u32_sdwa v22, v1 dst_sel:DWORD dst_unused:UNUSED_PAD src0_sel:WORD_0
	v_cvt_f32_u32_sdwa v14, v1 dst_sel:DWORD dst_unused:UNUSED_PAD src0_sel:WORD_1
	v_cvt_f32_u32_sdwa v15, v2 dst_sel:DWORD dst_unused:UNUSED_PAD src0_sel:WORD_0
	v_cmp_lt_f32_e32 vcc, v21, v20
	v_cndmask_b32_e32 v1, v21, v20, vcc
	v_cndmask_b32_e64 v0, 0, 1, vcc
	v_cmp_lt_f32_e32 vcc, v1, v22
	v_cndmask_b32_e32 v1, v1, v22, vcc
	v_cvt_f32_u32_sdwa v24, v2 dst_sel:DWORD dst_unused:UNUSED_PAD src0_sel:WORD_1
	v_cndmask_b32_e64 v0, v0, 2, vcc
	v_cmp_lt_f32_e32 vcc, v1, v14
	v_cndmask_b32_e32 v1, v1, v14, vcc
	v_cvt_f32_u32_sdwa v6, v3 dst_sel:DWORD dst_unused:UNUSED_PAD src0_sel:WORD_0
	v_cndmask_b32_e64 v0, v0, 3, vcc
	v_cmp_lt_f32_e32 vcc, v1, v15
	v_cndmask_b32_e32 v1, v1, v15, vcc
	v_cvt_f32_u32_sdwa v7, v3 dst_sel:DWORD dst_unused:UNUSED_PAD src0_sel:WORD_1
	v_cndmask_b32_e64 v0, v0, 4, vcc
	v_cmp_lt_f32_e32 vcc, v1, v24
	v_cndmask_b32_e32 v1, v1, v24, vcc
	v_cndmask_b32_e64 v0, v0, 5, vcc
	v_cmp_lt_f32_e32 vcc, v1, v6
	v_cndmask_b32_e32 v1, v1, v6, vcc
	;; [unrolled: 3-line block ×3, first 2 shown]
	v_cndmask_b32_e64 v23, v0, 7, vcc
	v_sub_f32_e32 v0, v19, v19
	s_mov_b32 s23, 0x3fb8aa3b
	v_mul_f32_e32 v1, 0x3fb8aa3b, v0
	v_fma_f32 v2, v0, s23, -v1
	v_rndne_f32_e32 v3, v1
	v_fmac_f32_e32 v2, 0x32a5705f, v0
	v_sub_f32_e32 v1, v1, v3
	v_add_f32_e32 v1, v1, v2
	v_exp_f32_e32 v1, v1
	v_cvt_i32_f32_e32 v2, v3
	v_cmp_le_i32_e32 vcc, s21, v23
	v_cmp_gt_i32_e64 s[0:1], s22, v23
	s_mov_b32 s29, 0xc2ce8ed0
	s_and_b64 s[2:3], vcc, s[0:1]
	v_ldexp_f32 v1, v1, v2
	v_cmp_ngt_f32_e32 vcc, s29, v0
	s_mov_b32 s30, 0x42b17218
	s_load_dwordx4 s[4:7], s[4:5], 0x20
	v_cndmask_b32_e32 v1, 0, v1, vcc
	v_cmp_nlt_f32_e32 vcc, s30, v0
	v_ashrrev_i32_e32 v9, 31, v8
	v_cndmask_b32_e32 v16, v5, v1, vcc
	v_lshlrev_b64 v[0:1], 2, v[8:9]
	v_mul_lo_u32 v10, v4, s8
	v_mov_b32_e32 v3, s19
	v_add_co_u32_e32 v2, vcc, s18, v0
	v_addc_co_u32_e64 v3, s[0:1], v3, v1, vcc
	v_ashrrev_i32_e32 v11, 31, v10
	v_subrev_u32_e32 v0, s21, v23
	s_and_b64 s[0:1], s[24:25], s[2:3]
	v_lshlrev_b64 v[12:13], 2, v[10:11]
	v_mul_lo_u32 v26, v4, s20
	global_store_dword v[2:3], v16, off
	v_cndmask_b32_e64 v0, 8, v0, s[0:1]
	s_waitcnt lgkmcnt(0)
	v_mov_b32_e32 v3, s5
	v_add_co_u32_e64 v10, s[0:1], s4, v12
	v_addc_co_u32_e64 v11, s[0:1], v3, v13, s[0:1]
	v_ashrrev_i32_e32 v27, 31, v26
	global_store_dword v[10:11], v0, off
	v_lshlrev_b64 v[10:11], 2, v[26:27]
	v_mov_b32_e32 v0, s7
	v_add_co_u32_e64 v26, s[0:1], s6, v10
	v_addc_co_u32_e64 v27, s[0:1], v0, v11, s[0:1]
	s_cmp_eq_u32 s20, 1
	global_store_dword v[26:27], v4, off
	s_cbranch_scc1 .LBB244_8
; %bb.6:
	v_mov_b32_e32 v9, 0xff800000
	v_cmp_ne_u32_e64 s[0:1], 7, v23
	v_cndmask_b32_e64 v7, v9, v7, s[0:1]
	v_cmp_ne_u32_e64 s[0:1], 6, v23
	v_cndmask_b32_e64 v6, v9, v6, s[0:1]
	;; [unrolled: 2-line block ×5, first 2 shown]
	v_mov_b32_e32 v0, s7
	v_add_co_u32_e64 v10, s[0:1], s6, v10
	v_addc_co_u32_e64 v0, s[0:1], v11, v0, s[0:1]
	v_add_co_u32_e64 v10, s[0:1], 4, v10
	v_addc_co_u32_e64 v11, s[0:1], 0, v0, s[0:1]
	v_mov_b32_e32 v0, s5
	v_add_co_u32_e64 v12, s[0:1], s4, v12
	v_addc_co_u32_e64 v0, s[0:1], v13, v0, s[0:1]
	v_add_co_u32_e64 v12, s[0:1], 4, v12
	v_addc_co_u32_e64 v13, s[0:1], 0, v0, s[0:1]
	v_mov_b32_e32 v0, s19
	v_addc_co_u32_e32 v0, vcc, v1, v0, vcc
	v_add_co_u32_e32 v14, vcc, 4, v2
	v_addc_co_u32_e32 v15, vcc, 0, v0, vcc
	v_cmp_ne_u32_e32 vcc, 2, v23
	v_cndmask_b32_e32 v2, v9, v22, vcc
	v_cmp_ne_u32_e32 vcc, 0, v23
	s_add_i32 s10, s10, s28
	v_cmp_ne_u32_e64 s[0:1], 1, v23
	s_add_i32 s31, s20, -1
	v_add3_u32 v17, s10, v18, v17
	v_mov_b32_e32 v18, 0x7f800000
	v_cndmask_b32_e64 v1, v9, v20, s[0:1]
	v_cndmask_b32_e32 v0, v9, v21, vcc
.LBB244_7:                              ; =>This Inner Loop Header: Depth=1
	v_cmp_gt_f32_e32 vcc, v1, v0
	v_cndmask_b32_e32 v20, v0, v1, vcc
	v_cmp_gt_f32_e64 s[0:1], v2, v20
	v_cndmask_b32_e64 v20, v20, v2, s[0:1]
	v_cmp_gt_f32_e64 s[2:3], v3, v20
	v_cndmask_b32_e64 v20, v20, v3, s[2:3]
	v_cmp_gt_f32_e64 s[4:5], v4, v20
	v_cndmask_b32_e64 v20, v20, v4, s[4:5]
	v_cmp_gt_f32_e64 s[6:7], v5, v20
	v_cndmask_b32_e64 v20, v20, v5, s[6:7]
	v_cmp_gt_f32_e64 s[8:9], v6, v20
	v_cndmask_b32_e64 v20, v20, v6, s[8:9]
	v_cmp_gt_f32_e64 s[10:11], v7, v20
	v_cndmask_b32_e64 v20, v20, v7, s[10:11]
	v_sub_f32_e32 v20, v20, v19
	v_mul_f32_e32 v21, 0x3fb8aa3b, v20
	v_fma_f32 v22, v20, s23, -v21
	v_rndne_f32_e32 v23, v21
	v_fmac_f32_e32 v22, 0x32a5705f, v20
	v_sub_f32_e32 v21, v21, v23
	v_add_f32_e32 v21, v21, v22
	v_cndmask_b32_e64 v22, 0, 1, vcc
	v_cndmask_b32_e64 v22, v22, 2, s[0:1]
	v_cndmask_b32_e64 v22, v22, 3, s[2:3]
	;; [unrolled: 1-line block ×6, first 2 shown]
	v_cmp_le_i32_e32 vcc, s21, v22
	v_cmp_gt_i32_e64 s[0:1], s22, v22
	s_and_b64 s[0:1], vcc, s[0:1]
	v_cmp_ne_u32_e64 s[2:3], 7, v22
	v_cmp_ne_u32_e64 s[4:5], 6, v22
	;; [unrolled: 1-line block ×8, first 2 shown]
	v_subrev_u32_e32 v22, s21, v22
	s_and_b64 vcc, s[24:25], s[0:1]
	v_cndmask_b32_e32 v22, 8, v22, vcc
	global_store_dword v[12:13], v22, off
	v_cvt_i32_f32_e32 v22, v23
	v_exp_f32_e32 v21, v21
	v_cmp_ngt_f32_e32 vcc, s29, v20
	global_store_dword v[10:11], v17, off
	s_add_i32 s31, s31, -1
	v_ldexp_f32 v21, v21, v22
	v_cndmask_b32_e32 v21, 0, v21, vcc
	v_cmp_nlt_f32_e32 vcc, s30, v20
	v_cndmask_b32_e32 v20, v18, v21, vcc
	v_add_co_u32_e32 v10, vcc, 4, v10
	v_addc_co_u32_e32 v11, vcc, 0, v11, vcc
	v_add_co_u32_e32 v12, vcc, 4, v12
	v_addc_co_u32_e32 v13, vcc, 0, v13, vcc
	global_store_dword v[14:15], v20, off
	v_add_co_u32_e32 v14, vcc, 4, v14
	v_add_f32_e32 v16, v16, v20
	v_cndmask_b32_e64 v7, v9, v7, s[2:3]
	v_cndmask_b32_e64 v6, v9, v6, s[4:5]
	;; [unrolled: 1-line block ×8, first 2 shown]
	v_add_u32_e32 v17, s28, v17
	s_cmp_eq_u32 s31, 0
	v_addc_co_u32_e32 v15, vcc, 0, v15, vcc
	s_cbranch_scc0 .LBB244_7
.LBB244_8:
	v_cmp_neq_f32_e32 vcc, 0, v16
	s_and_b64 exec, exec, vcc
	s_cbranch_execz .LBB244_19
; %bb.9:
	s_andn2_b64 vcc, exec, s[26:27]
	s_cbranch_vccnz .LBB244_19
; %bb.10:
	s_waitcnt vmcnt(1)
	v_div_scale_f32 v0, s[0:1], v16, v16, 1.0
	v_rcp_f32_e32 v1, v0
	v_div_scale_f32 v2, vcc, 1.0, v16, 1.0
	s_cmp_gt_u32 s20, 3
	v_fma_f32 v3, -v0, v1, 1.0
	v_fmac_f32_e32 v1, v3, v1
	v_mul_f32_e32 v3, v2, v1
	v_fma_f32 v4, -v0, v3, v2
	v_fmac_f32_e32 v3, v4, v1
	v_fma_f32 v0, -v0, v3, v2
	v_div_fmas_f32 v0, v0, v1, v3
	v_div_fixup_f32 v0, v0, v16, 1.0
	v_ashrrev_i32_e32 v9, 31, v8
	s_cbranch_scc0 .LBB244_14
; %bb.11:
	v_lshlrev_b64 v[2:3], 2, v[8:9]
	v_mov_b32_e32 v4, s19
	v_add_co_u32_e32 v2, vcc, s18, v2
	v_addc_co_u32_e32 v3, vcc, v3, v4, vcc
	s_and_b32 s4, s20, 0x7ffffffc
	v_add_co_u32_e32 v2, vcc, 8, v2
	v_mov_b32_e32 v1, v0
	v_addc_co_u32_e32 v3, vcc, 0, v3, vcc
	s_mov_b32 s0, s4
.LBB244_12:                             ; =>This Inner Loop Header: Depth=1
	global_load_dwordx4 v[4:7], v[2:3], off offset:-8
	s_add_i32 s0, s0, -4
	s_cmp_lg_u32 s0, 0
	s_waitcnt vmcnt(0)
	v_pk_mul_f32 v[4:5], v[0:1], v[4:5]
	v_pk_mul_f32 v[6:7], v[0:1], v[6:7]
	global_store_dwordx4 v[2:3], v[4:7], off offset:-8
	v_add_co_u32_e32 v2, vcc, 16, v2
	v_addc_co_u32_e32 v3, vcc, 0, v3, vcc
	s_cbranch_scc1 .LBB244_12
; %bb.13:
	s_cmp_lg_u32 s4, s20
	s_cselect_b64 s[0:1], -1, 0
	s_branch .LBB244_16
.LBB244_14:
	s_mov_b64 s[0:1], 0
                                        ; implicit-def: $sgpr4
	s_cbranch_execz .LBB244_16
; %bb.15:
	s_mov_b64 s[0:1], -1
	s_mov_b32 s4, 0
.LBB244_16:
	s_andn2_b64 vcc, exec, s[0:1]
	s_cbranch_vccnz .LBB244_19
; %bb.17:
	v_add_co_u32_e32 v2, vcc, s4, v8
	v_addc_co_u32_e32 v3, vcc, 0, v9, vcc
	v_lshlrev_b64 v[2:3], 2, v[2:3]
	v_mov_b32_e32 v1, s19
	v_add_co_u32_e32 v2, vcc, s18, v2
	s_sub_i32 s0, s20, s4
	v_addc_co_u32_e32 v3, vcc, v1, v3, vcc
.LBB244_18:                             ; =>This Inner Loop Header: Depth=1
	global_load_dword v1, v[2:3], off
	s_add_i32 s0, s0, -1
	s_cmp_lg_u32 s0, 0
	s_waitcnt vmcnt(0)
	v_mul_f32_e32 v1, v0, v1
	global_store_dword v[2:3], v1, off
	v_add_co_u32_e32 v2, vcc, 4, v2
	v_addc_co_u32_e32 v3, vcc, 0, v3, vcc
	s_cbranch_scc1 .LBB244_18
.LBB244_19:
	s_endpgm
	.section	.rodata,"a",@progbits
	.p2align	6, 0x0
	.amdhsa_kernel _ZN4vllm3moe17topkGatingSoftmaxItLi8ELi8ELi8ELi16ELb1ELi4ELNS0_23SharedExpertScoringFuncE1EEEvPKT_PKbPfiPiS9_iiiiii
		.amdhsa_group_segment_fixed_size 0
		.amdhsa_private_segment_fixed_size 0
		.amdhsa_kernarg_size 72
		.amdhsa_user_sgpr_count 6
		.amdhsa_user_sgpr_private_segment_buffer 1
		.amdhsa_user_sgpr_dispatch_ptr 0
		.amdhsa_user_sgpr_queue_ptr 0
		.amdhsa_user_sgpr_kernarg_segment_ptr 1
		.amdhsa_user_sgpr_dispatch_id 0
		.amdhsa_user_sgpr_flat_scratch_init 0
		.amdhsa_user_sgpr_kernarg_preload_length 0
		.amdhsa_user_sgpr_kernarg_preload_offset 0
		.amdhsa_user_sgpr_private_segment_size 0
		.amdhsa_uses_dynamic_stack 0
		.amdhsa_system_sgpr_private_segment_wavefront_offset 0
		.amdhsa_system_sgpr_workgroup_id_x 1
		.amdhsa_system_sgpr_workgroup_id_y 0
		.amdhsa_system_sgpr_workgroup_id_z 0
		.amdhsa_system_sgpr_workgroup_info 0
		.amdhsa_system_vgpr_workitem_id 1
		.amdhsa_next_free_vgpr 29
		.amdhsa_next_free_sgpr 32
		.amdhsa_accum_offset 32
		.amdhsa_reserve_vcc 1
		.amdhsa_reserve_flat_scratch 0
		.amdhsa_float_round_mode_32 0
		.amdhsa_float_round_mode_16_64 0
		.amdhsa_float_denorm_mode_32 3
		.amdhsa_float_denorm_mode_16_64 3
		.amdhsa_dx10_clamp 1
		.amdhsa_ieee_mode 1
		.amdhsa_fp16_overflow 0
		.amdhsa_tg_split 0
		.amdhsa_exception_fp_ieee_invalid_op 0
		.amdhsa_exception_fp_denorm_src 0
		.amdhsa_exception_fp_ieee_div_zero 0
		.amdhsa_exception_fp_ieee_overflow 0
		.amdhsa_exception_fp_ieee_underflow 0
		.amdhsa_exception_fp_ieee_inexact 0
		.amdhsa_exception_int_div_zero 0
	.end_amdhsa_kernel
	.section	.text._ZN4vllm3moe17topkGatingSoftmaxItLi8ELi8ELi8ELi16ELb1ELi4ELNS0_23SharedExpertScoringFuncE1EEEvPKT_PKbPfiPiS9_iiiiii,"axG",@progbits,_ZN4vllm3moe17topkGatingSoftmaxItLi8ELi8ELi8ELi16ELb1ELi4ELNS0_23SharedExpertScoringFuncE1EEEvPKT_PKbPfiPiS9_iiiiii,comdat
.Lfunc_end244:
	.size	_ZN4vllm3moe17topkGatingSoftmaxItLi8ELi8ELi8ELi16ELb1ELi4ELNS0_23SharedExpertScoringFuncE1EEEvPKT_PKbPfiPiS9_iiiiii, .Lfunc_end244-_ZN4vllm3moe17topkGatingSoftmaxItLi8ELi8ELi8ELi16ELb1ELi4ELNS0_23SharedExpertScoringFuncE1EEEvPKT_PKbPfiPiS9_iiiiii
                                        ; -- End function
	.section	.AMDGPU.csdata,"",@progbits
; Kernel info:
; codeLenInByte = 2392
; NumSgprs: 36
; NumVgprs: 29
; NumAgprs: 0
; TotalNumVgprs: 29
; ScratchSize: 0
; MemoryBound: 0
; FloatMode: 240
; IeeeMode: 1
; LDSByteSize: 0 bytes/workgroup (compile time only)
; SGPRBlocks: 4
; VGPRBlocks: 3
; NumSGPRsForWavesPerEU: 36
; NumVGPRsForWavesPerEU: 29
; AccumOffset: 32
; Occupancy: 8
; WaveLimiterHint : 0
; COMPUTE_PGM_RSRC2:SCRATCH_EN: 0
; COMPUTE_PGM_RSRC2:USER_SGPR: 6
; COMPUTE_PGM_RSRC2:TRAP_HANDLER: 0
; COMPUTE_PGM_RSRC2:TGID_X_EN: 1
; COMPUTE_PGM_RSRC2:TGID_Y_EN: 0
; COMPUTE_PGM_RSRC2:TGID_Z_EN: 0
; COMPUTE_PGM_RSRC2:TIDIG_COMP_CNT: 1
; COMPUTE_PGM_RSRC3_GFX90A:ACCUM_OFFSET: 7
; COMPUTE_PGM_RSRC3_GFX90A:TG_SPLIT: 0
	.section	.text._ZN4vllm3moe17topkGatingSoftmaxItLi8ELi8ELi8ELi16ELb0ELi4ELNS0_23SharedExpertScoringFuncE1EEEvPKT_PKbPfiPiS9_iiiiii,"axG",@progbits,_ZN4vllm3moe17topkGatingSoftmaxItLi8ELi8ELi8ELi16ELb0ELi4ELNS0_23SharedExpertScoringFuncE1EEEvPKT_PKbPfiPiS9_iiiiii,comdat
	.protected	_ZN4vllm3moe17topkGatingSoftmaxItLi8ELi8ELi8ELi16ELb0ELi4ELNS0_23SharedExpertScoringFuncE1EEEvPKT_PKbPfiPiS9_iiiiii ; -- Begin function _ZN4vllm3moe17topkGatingSoftmaxItLi8ELi8ELi8ELi16ELb0ELi4ELNS0_23SharedExpertScoringFuncE1EEEvPKT_PKbPfiPiS9_iiiiii
	.globl	_ZN4vllm3moe17topkGatingSoftmaxItLi8ELi8ELi8ELi16ELb0ELi4ELNS0_23SharedExpertScoringFuncE1EEEvPKT_PKbPfiPiS9_iiiiii
	.p2align	8
	.type	_ZN4vllm3moe17topkGatingSoftmaxItLi8ELi8ELi8ELi16ELb0ELi4ELNS0_23SharedExpertScoringFuncE1EEEvPKT_PKbPfiPiS9_iiiiii,@function
_ZN4vllm3moe17topkGatingSoftmaxItLi8ELi8ELi8ELi16ELb0ELi4ELNS0_23SharedExpertScoringFuncE1EEEvPKT_PKbPfiPiS9_iiiiii: ; @_ZN4vllm3moe17topkGatingSoftmaxItLi8ELi8ELi8ELi16ELb0ELi4ELNS0_23SharedExpertScoringFuncE1EEEvPKT_PKbPfiPiS9_iiiiii
; %bb.0:
	s_load_dword s33, s[4:5], 0x18
	v_bfe_u32 v1, v0, 10, 10
	s_lshl_b32 s34, s6, 9
	v_lshlrev_b32_e32 v20, 6, v1
	v_and_b32_e32 v21, 0x3ff, v0
	v_add3_u32 v16, v20, v21, s34
	s_waitcnt lgkmcnt(0)
	v_cmp_gt_i32_e32 vcc, s33, v16
	s_and_saveexec_b64 s[0:1], vcc
	s_cbranch_execz .LBB245_19
; %bb.1:
	s_load_dwordx4 s[0:3], s[4:5], 0x0
	s_load_dwordx2 s[18:19], s[4:5], 0x10
	s_waitcnt lgkmcnt(0)
	s_cmp_eq_u64 s[2:3], 0
	s_cbranch_scc1 .LBB245_3
; %bb.2:
	v_ashrrev_i32_e32 v1, 31, v16
	v_mov_b32_e32 v2, s3
	v_add_co_u32_e32 v0, vcc, s2, v16
	v_addc_co_u32_e32 v1, vcc, v2, v1, vcc
	global_load_ubyte v0, v[0:1], off
	s_waitcnt vmcnt(0)
	v_and_b32_e32 v0, 1, v0
	v_cmp_eq_u32_e32 vcc, 1, v0
	s_xor_b64 s[2:3], vcc, -1
	s_orn2_b64 s[28:29], s[2:3], exec
	s_branch .LBB245_4
.LBB245_3:
	s_mov_b64 s[28:29], -1
.LBB245_4:
	s_load_dwordx2 s[14:15], s[4:5], 0x40
	s_load_dwordx4 s[20:23], s[4:5], 0x30
	v_mov_b32_e32 v2, s1
	s_mov_b32 s1, 0x42ce8ed0
	s_mov_b32 s2, 0xc2b17218
	s_waitcnt lgkmcnt(0)
	v_mul_lo_u32 v0, v16, s15
	v_ashrrev_i32_e32 v1, 31, v0
	v_lshlrev_b64 v[0:1], 1, v[0:1]
	v_add_co_u32_e32 v0, vcc, s0, v0
	v_addc_co_u32_e32 v1, vcc, v2, v1, vcc
	global_load_dwordx4 v[12:15], v[0:1], off
	global_load_dwordx2 v[6:7], v[0:1], off offset:16
	v_mul_lo_u32 v0, v16, s23
	v_add_u32_e32 v2, s20, v0
	v_ashrrev_i32_e32 v3, 31, v2
	v_lshlrev_b64 v[2:3], 2, v[2:3]
	v_mov_b32_e32 v1, s19
	v_add_co_u32_e32 v18, vcc, s18, v2
	v_addc_co_u32_e32 v19, vcc, v1, v3, vcc
	s_mov_b32 s0, 0xbfb8aa3b
	v_mov_b32_e32 v11, 0x7f800000
	s_cmp_gt_i32 s20, 0
	s_cselect_b64 s[30:31], -1, 0
	s_cmp_lt_i32 s20, 1
	s_waitcnt vmcnt(1)
	v_cvt_f32_u32_sdwa v9, v12 dst_sel:DWORD dst_unused:UNUSED_PAD src0_sel:WORD_1
	s_waitcnt vmcnt(0)
	v_cvt_f32_u32_sdwa v1, v6 dst_sel:DWORD dst_unused:UNUSED_PAD src0_sel:WORD_1
	v_cvt_f32_u32_sdwa v6, v6 dst_sel:DWORD dst_unused:UNUSED_PAD src0_sel:WORD_0
	v_cvt_f32_u32_sdwa v10, v7 dst_sel:DWORD dst_unused:UNUSED_PAD src0_sel:WORD_1
	v_cvt_f32_u32_sdwa v8, v12 dst_sel:DWORD dst_unused:UNUSED_PAD src0_sel:WORD_0
	v_cvt_f32_u32_sdwa v12, v7 dst_sel:DWORD dst_unused:UNUSED_PAD src0_sel:WORD_0
	v_mul_f32_e32 v7, 0xbfb8aa3b, v1
	v_cvt_f32_u32_sdwa v3, v13 dst_sel:DWORD dst_unused:UNUSED_PAD src0_sel:WORD_1
	v_cvt_f32_u32_sdwa v2, v13 dst_sel:DWORD dst_unused:UNUSED_PAD src0_sel:WORD_0
	v_mul_f32_e32 v13, 0xbfb8aa3b, v6
	v_fma_f32 v22, v1, s0, -v7
	v_rndne_f32_e32 v23, v7
	v_cvt_f32_u32_sdwa v5, v14 dst_sel:DWORD dst_unused:UNUSED_PAD src0_sel:WORD_1
	v_cvt_f32_u32_sdwa v4, v14 dst_sel:DWORD dst_unused:UNUSED_PAD src0_sel:WORD_0
	v_mul_f32_e32 v14, 0xbfb8aa3b, v10
	v_fma_f32 v24, v6, s0, -v13
	v_rndne_f32_e32 v25, v13
	v_fmac_f32_e32 v22, 0xb2a5705f, v1
	v_sub_f32_e32 v7, v7, v23
	v_mul_f32_e32 v17, 0xbfb8aa3b, v12
	v_fma_f32 v26, v10, s0, -v14
	v_rndne_f32_e32 v27, v14
	v_fmac_f32_e32 v24, 0xb2a5705f, v6
	v_sub_f32_e32 v13, v13, v25
	v_add_f32_e32 v7, v7, v22
	v_fma_f32 v28, v12, s0, -v17
	v_rndne_f32_e32 v29, v17
	v_cvt_i32_f32_e32 v23, v23
	v_fmac_f32_e32 v26, 0xb2a5705f, v10
	v_sub_f32_e32 v14, v14, v27
	v_add_f32_e32 v13, v13, v24
	v_exp_f32_e32 v7, v7
	v_cvt_i32_f32_e32 v25, v25
	v_fmac_f32_e32 v28, 0xb2a5705f, v12
	v_sub_f32_e32 v17, v17, v29
	v_add_f32_e32 v14, v14, v26
	v_exp_f32_e32 v13, v13
	v_cvt_i32_f32_e32 v27, v27
	v_add_f32_e32 v17, v17, v28
	v_exp_f32_e32 v14, v14
	v_cvt_i32_f32_e32 v29, v29
	v_exp_f32_e32 v17, v17
	v_ldexp_f32 v7, v7, v23
	v_cmp_nlt_f32_e32 vcc, s1, v1
	v_ldexp_f32 v13, v13, v25
	v_cndmask_b32_e32 v7, 0, v7, vcc
	v_cmp_nlt_f32_e32 vcc, s1, v6
	v_ldexp_f32 v14, v14, v27
	v_cndmask_b32_e32 v13, 0, v13, vcc
	;; [unrolled: 3-line block ×3, first 2 shown]
	v_cmp_nlt_f32_e32 vcc, s1, v12
	v_cndmask_b32_e32 v17, 0, v17, vcc
	v_cmp_ngt_f32_e32 vcc, s2, v1
	v_cndmask_b32_e32 v7, v11, v7, vcc
	v_cmp_ngt_f32_e32 vcc, s2, v6
	v_cndmask_b32_e32 v6, v11, v13, vcc
	v_pk_add_f32 v[6:7], v[6:7], 1.0 op_sel_hi:[1,0]
	v_cmp_ngt_f32_e32 vcc, s2, v10
	v_div_scale_f32 v1, s[0:1], v7, v7, 1.0
	v_cndmask_b32_e32 v13, v11, v14, vcc
	v_div_scale_f32 v14, s[0:1], v6, v6, 1.0
	v_rcp_f32_e32 v22, v1
	v_rcp_f32_e32 v24, v14
	v_cmp_ngt_f32_e32 vcc, s2, v12
	v_cndmask_b32_e32 v12, v11, v17, vcc
	v_fma_f32 v23, -v1, v22, 1.0
	v_div_scale_f32 v10, vcc, 1.0, v7, 1.0
	v_fma_f32 v27, -v14, v24, 1.0
	v_fmac_f32_e32 v22, v23, v22
	v_pk_add_f32 v[12:13], v[12:13], 1.0 op_sel_hi:[1,0]
	v_div_scale_f32 v17, s[0:1], 1.0, v6, 1.0
	v_fmac_f32_e32 v24, v27, v24
	v_mul_f32_e32 v23, v10, v22
	v_div_scale_f32 v25, s[2:3], v13, v13, 1.0
	v_mul_f32_e32 v27, v17, v24
	v_fma_f32 v28, -v1, v23, v10
	v_rcp_f32_e32 v26, v25
	v_fma_f32 v29, -v14, v27, v17
	v_fmac_f32_e32 v23, v28, v22
	v_fmac_f32_e32 v27, v29, v24
	v_fma_f32 v1, -v1, v23, v10
	v_fma_f32 v10, -v14, v27, v17
	v_div_fmas_f32 v1, v1, v22, v23
	s_mov_b64 vcc, s[0:1]
	v_div_fixup_f32 v23, v1, v7, 1.0
	v_div_fmas_f32 v1, v10, v24, v27
	v_div_fixup_f32 v22, v1, v6, 1.0
	v_fma_f32 v1, -v25, v26, 1.0
	v_fmac_f32_e32 v26, v1, v26
	v_div_scale_f32 v1, vcc, 1.0, v13, 1.0
	v_mul_f32_e32 v6, v1, v26
	v_fma_f32 v7, -v25, v6, v1
	v_fmac_f32_e32 v6, v7, v26
	v_div_scale_f32 v7, s[0:1], v12, v12, 1.0
	v_rcp_f32_e32 v10, v7
	v_fma_f32 v1, -v25, v6, v1
	v_div_fmas_f32 v1, v1, v26, v6
	v_div_fixup_f32 v25, v1, v13, 1.0
	v_fma_f32 v6, -v7, v10, 1.0
	v_fmac_f32_e32 v10, v6, v10
	v_div_scale_f32 v6, vcc, 1.0, v12, 1.0
	v_mul_f32_e32 v14, v6, v10
	v_fma_f32 v17, -v7, v14, v6
	v_fmac_f32_e32 v14, v17, v10
	v_fma_f32 v6, -v7, v14, v6
	v_div_fmas_f32 v6, v6, v10, v14
	v_cmp_lt_f32_e32 vcc, v8, v9
	v_cndmask_b32_e32 v10, v8, v9, vcc
	v_cmp_lt_f32_e64 s[0:1], v10, v2
	v_cndmask_b32_e64 v10, v10, v2, s[0:1]
	v_cmp_lt_f32_e64 s[2:3], v10, v3
	v_cndmask_b32_e64 v10, v10, v3, s[2:3]
	v_div_fixup_f32 v24, v6, v12, 1.0
	v_cvt_f32_u32_sdwa v6, v15 dst_sel:DWORD dst_unused:UNUSED_PAD src0_sel:WORD_0
	v_cmp_lt_f32_e64 s[6:7], v10, v4
	v_cndmask_b32_e64 v10, v10, v4, s[6:7]
	v_cvt_f32_u32_sdwa v7, v15 dst_sel:DWORD dst_unused:UNUSED_PAD src0_sel:WORD_1
	v_cmp_lt_f32_e64 s[8:9], v10, v5
	v_cndmask_b32_e64 v10, v10, v5, s[8:9]
	v_cmp_lt_f32_e64 s[10:11], v10, v6
	v_cndmask_b32_e64 v10, v10, v6, s[10:11]
	v_cmp_lt_f32_e64 s[12:13], v10, v7
	v_mov_b32_e32 v1, 0
	v_cndmask_b32_e64 v10, v10, v7, s[12:13]
	global_store_dwordx4 v[18:19], v[22:25], off
	s_cbranch_scc1 .LBB245_8
; %bb.5:
	s_load_dwordx4 s[24:27], s[4:5], 0x20
	v_mul_lo_u32 v12, v16, s14
	v_ashrrev_i32_e32 v13, 31, v12
	v_lshlrev_b64 v[14:15], 2, v[12:13]
	v_sub_f32_e32 v24, v10, v10
	s_waitcnt lgkmcnt(0)
	v_mov_b32_e32 v1, s25
	v_add_co_u32_e64 v12, s[4:5], s24, v14
	v_addc_co_u32_e64 v13, s[4:5], v1, v15, s[4:5]
	v_cndmask_b32_e64 v1, 0, 1, vcc
	v_cndmask_b32_e64 v1, v1, 2, s[0:1]
	v_cndmask_b32_e64 v1, v1, 3, s[2:3]
	;; [unrolled: 1-line block ×6, first 2 shown]
	v_cmp_le_i32_e32 vcc, s21, v23
	v_cmp_gt_i32_e64 s[0:1], s22, v23
	s_and_b64 s[0:1], vcc, s[0:1]
	v_subrev_u32_e32 v1, s21, v23
	s_and_b64 vcc, s[28:29], s[0:1]
	v_cndmask_b32_e32 v1, 8, v1, vcc
	global_store_dword v[12:13], v1, off
	v_mul_lo_u32 v12, v16, s20
	v_ashrrev_i32_e32 v13, 31, v12
	v_lshlrev_b64 v[12:13], 2, v[12:13]
	v_mov_b32_e32 v1, s27
	v_add_co_u32_e32 v18, vcc, s26, v12
	v_addc_co_u32_e32 v19, vcc, v1, v13, vcc
	v_mul_f32_e32 v1, 0x3fb8aa3b, v24
	global_store_dword v[18:19], v16, off
	s_mov_b32 s23, 0x3fb8aa3b
	v_rndne_f32_e32 v16, v1
	v_sub_f32_e32 v17, v1, v16
	v_fma_f32 v1, v24, s23, -v1
	v_fmac_f32_e32 v1, 0x32a5705f, v24
	v_add_f32_e32 v1, v17, v1
	v_exp_f32_e32 v1, v1
	v_cvt_i32_f32_e32 v16, v16
	v_mov_b32_e32 v19, s19
	s_mov_b32 s35, 0xc2ce8ed0
	v_cmp_ngt_f32_e64 s[16:17], s35, v24
	v_ldexp_f32 v25, v1, v16
	v_ashrrev_i32_e32 v1, 31, v0
	v_lshlrev_b64 v[16:17], 2, v[0:1]
	v_add_co_u32_e32 v18, vcc, s18, v16
	v_addc_co_u32_e64 v19, s[0:1], v19, v17, vcc
	s_mov_b32 s36, 0x42b17218
	v_mov_b32_e32 v22, 0xff800000
	v_cmp_ne_u32_e64 s[0:1], 7, v23
	v_cmp_ne_u32_e64 s[2:3], 6, v23
	;; [unrolled: 1-line block ×8, first 2 shown]
	v_cndmask_b32_e64 v1, 0, v25, s[16:17]
	v_cmp_nlt_f32_e64 s[16:17], s36, v24
	v_cndmask_b32_e64 v1, v11, v1, s[16:17]
	v_cndmask_b32_e64 v7, v22, v7, s[0:1]
	;; [unrolled: 1-line block ×8, first 2 shown]
	s_cmp_eq_u32 s20, 1
	v_cndmask_b32_e64 v8, v22, v8, s[14:15]
	global_store_dword v[18:19], v1, off
	s_cbranch_scc1 .LBB245_8
; %bb.6:
	v_mov_b32_e32 v16, s27
	v_add_co_u32_e64 v12, s[0:1], s26, v12
	v_addc_co_u32_e64 v13, s[0:1], v13, v16, s[0:1]
	v_add_co_u32_e64 v12, s[0:1], 4, v12
	v_addc_co_u32_e64 v13, s[0:1], 0, v13, s[0:1]
	v_mov_b32_e32 v16, s25
	v_add_co_u32_e64 v14, s[0:1], s24, v14
	v_addc_co_u32_e64 v15, s[0:1], v15, v16, s[0:1]
	v_mov_b32_e32 v16, s19
	v_addc_co_u32_e32 v17, vcc, v17, v16, vcc
	v_add_co_u32_e64 v14, s[0:1], 4, v14
	v_add_co_u32_e32 v16, vcc, 4, v18
	s_add_i32 s34, s34, s33
	v_addc_co_u32_e64 v15, s[0:1], 0, v15, s[0:1]
	v_addc_co_u32_e32 v17, vcc, 0, v17, vcc
	s_add_i32 s24, s20, -1
	v_add3_u32 v18, s34, v21, v20
	v_mov_b32_e32 v19, 0x7f800000
.LBB245_7:                              ; =>This Inner Loop Header: Depth=1
	v_cmp_gt_f32_e32 vcc, v9, v8
	v_cndmask_b32_e32 v20, v8, v9, vcc
	v_cmp_gt_f32_e64 s[0:1], v2, v20
	v_cndmask_b32_e64 v20, v20, v2, s[0:1]
	v_cmp_gt_f32_e64 s[2:3], v3, v20
	v_cndmask_b32_e64 v20, v20, v3, s[2:3]
	v_cmp_gt_f32_e64 s[4:5], v4, v20
	v_cndmask_b32_e64 v20, v20, v4, s[4:5]
	v_cmp_gt_f32_e64 s[6:7], v5, v20
	v_cndmask_b32_e64 v20, v20, v5, s[6:7]
	v_cmp_gt_f32_e64 s[8:9], v6, v20
	v_cndmask_b32_e64 v20, v20, v6, s[8:9]
	v_cmp_gt_f32_e64 s[10:11], v7, v20
	v_cndmask_b32_e64 v20, v20, v7, s[10:11]
	v_sub_f32_e32 v20, v20, v10
	v_mul_f32_e32 v21, 0x3fb8aa3b, v20
	v_fma_f32 v23, v20, s23, -v21
	v_rndne_f32_e32 v24, v21
	v_fmac_f32_e32 v23, 0x32a5705f, v20
	v_sub_f32_e32 v21, v21, v24
	v_add_f32_e32 v21, v21, v23
	v_cndmask_b32_e64 v23, 0, 1, vcc
	v_cndmask_b32_e64 v23, v23, 2, s[0:1]
	v_cndmask_b32_e64 v23, v23, 3, s[2:3]
	v_cndmask_b32_e64 v23, v23, 4, s[4:5]
	v_cndmask_b32_e64 v23, v23, 5, s[6:7]
	v_cndmask_b32_e64 v23, v23, 6, s[8:9]
	v_cndmask_b32_e64 v23, v23, 7, s[10:11]
	v_cmp_le_i32_e32 vcc, s21, v23
	v_cmp_gt_i32_e64 s[0:1], s22, v23
	s_and_b64 s[0:1], vcc, s[0:1]
	v_cmp_ne_u32_e64 s[2:3], 7, v23
	v_cmp_ne_u32_e64 s[4:5], 6, v23
	;; [unrolled: 1-line block ×8, first 2 shown]
	v_subrev_u32_e32 v23, s21, v23
	s_and_b64 vcc, s[28:29], s[0:1]
	v_cndmask_b32_e32 v23, 8, v23, vcc
	global_store_dword v[14:15], v23, off
	v_cvt_i32_f32_e32 v23, v24
	v_exp_f32_e32 v21, v21
	v_cmp_ngt_f32_e32 vcc, s35, v20
	global_store_dword v[12:13], v18, off
	s_add_i32 s24, s24, -1
	v_ldexp_f32 v21, v21, v23
	v_cndmask_b32_e32 v21, 0, v21, vcc
	v_cmp_nlt_f32_e32 vcc, s36, v20
	v_cndmask_b32_e32 v20, v19, v21, vcc
	v_add_co_u32_e32 v12, vcc, 4, v12
	v_addc_co_u32_e32 v13, vcc, 0, v13, vcc
	v_add_co_u32_e32 v14, vcc, 4, v14
	v_addc_co_u32_e32 v15, vcc, 0, v15, vcc
	global_store_dword v[16:17], v20, off
	v_add_co_u32_e32 v16, vcc, 4, v16
	v_add_f32_e32 v1, v1, v20
	v_cndmask_b32_e64 v7, v22, v7, s[2:3]
	v_cndmask_b32_e64 v6, v22, v6, s[4:5]
	;; [unrolled: 1-line block ×8, first 2 shown]
	v_add_u32_e32 v18, s33, v18
	s_cmp_eq_u32 s24, 0
	v_addc_co_u32_e32 v17, vcc, 0, v17, vcc
	s_cbranch_scc0 .LBB245_7
.LBB245_8:
	v_pk_add_f32 v[8:9], v[8:9], v[10:11] op_sel_hi:[1,0] neg_lo:[0,1] neg_hi:[0,1]
	s_mov_b32 s0, 0x3fb8aa3b
	v_mul_f32_e32 v12, 0x3fb8aa3b, v9
	v_fma_f32 v13, v9, s0, -v12
	v_rndne_f32_e32 v14, v12
	v_fmac_f32_e32 v13, 0x32a5705f, v9
	v_sub_f32_e32 v12, v12, v14
	v_add_f32_e32 v12, v12, v13
	v_exp_f32_e32 v12, v12
	v_cvt_i32_f32_e32 v13, v14
	s_mov_b32 s1, 0xc2ce8ed0
	v_cmp_ngt_f32_e32 vcc, s1, v9
	s_mov_b32 s2, 0x42b17218
	v_ldexp_f32 v12, v12, v13
	v_mul_f32_e32 v13, 0x3fb8aa3b, v8
	v_fma_f32 v14, v8, s0, -v13
	v_rndne_f32_e32 v15, v13
	v_fmac_f32_e32 v14, 0x32a5705f, v8
	v_sub_f32_e32 v13, v13, v15
	v_add_f32_e32 v13, v13, v14
	v_exp_f32_e32 v13, v13
	v_cvt_i32_f32_e32 v14, v15
	v_cndmask_b32_e32 v12, 0, v12, vcc
	v_cmp_nlt_f32_e32 vcc, s2, v9
	v_sub_f32_e32 v2, v2, v10
	v_cndmask_b32_e32 v9, v11, v12, vcc
	v_ldexp_f32 v12, v13, v14
	v_mul_f32_e32 v13, 0x3fb8aa3b, v2
	v_fma_f32 v14, v2, s0, -v13
	v_rndne_f32_e32 v15, v13
	v_fmac_f32_e32 v14, 0x32a5705f, v2
	v_sub_f32_e32 v13, v13, v15
	v_add_f32_e32 v13, v13, v14
	v_exp_f32_e32 v13, v13
	v_cvt_i32_f32_e32 v14, v15
	v_cmp_ngt_f32_e32 vcc, s1, v8
	v_cndmask_b32_e32 v12, 0, v12, vcc
	v_cmp_nlt_f32_e32 vcc, s2, v8
	v_sub_f32_e32 v3, v3, v10
	v_cndmask_b32_e32 v8, v11, v12, vcc
	v_mul_f32_e32 v12, 0x3fb8aa3b, v3
	v_add_f32_e32 v8, v8, v9
	v_ldexp_f32 v9, v13, v14
	v_fma_f32 v13, v3, s0, -v12
	v_rndne_f32_e32 v14, v12
	v_fmac_f32_e32 v13, 0x32a5705f, v3
	v_sub_f32_e32 v12, v12, v14
	v_add_f32_e32 v12, v12, v13
	v_exp_f32_e32 v12, v12
	v_cvt_i32_f32_e32 v13, v14
	v_cmp_ngt_f32_e32 vcc, s1, v2
	v_cndmask_b32_e32 v9, 0, v9, vcc
	v_cmp_nlt_f32_e32 vcc, s2, v2
	v_sub_f32_e32 v4, v4, v10
	v_cndmask_b32_e32 v2, v11, v9, vcc
	v_mul_f32_e32 v9, 0x3fb8aa3b, v4
	v_add_f32_e32 v2, v8, v2
	v_ldexp_f32 v8, v12, v13
	;; [unrolled: 15-line block ×4, first 2 shown]
	v_fma_f32 v8, v4, s0, -v6
	v_rndne_f32_e32 v9, v6
	v_fmac_f32_e32 v8, 0x32a5705f, v4
	v_sub_f32_e32 v6, v6, v9
	v_add_f32_e32 v6, v6, v8
	v_exp_f32_e32 v6, v6
	v_cvt_i32_f32_e32 v8, v9
	v_cmp_ngt_f32_e32 vcc, s1, v5
	v_cndmask_b32_e32 v3, 0, v3, vcc
	v_cmp_nlt_f32_e32 vcc, s2, v5
	v_cndmask_b32_e32 v3, v11, v3, vcc
	v_sub_f32_e32 v5, v7, v10
	v_add_f32_e32 v2, v2, v3
	v_ldexp_f32 v3, v6, v8
	v_mul_f32_e32 v6, 0x3fb8aa3b, v5
	v_fma_f32 v7, v5, s0, -v6
	v_rndne_f32_e32 v8, v6
	v_fmac_f32_e32 v7, 0x32a5705f, v5
	v_sub_f32_e32 v6, v6, v8
	v_add_f32_e32 v6, v6, v7
	v_exp_f32_e32 v6, v6
	v_cvt_i32_f32_e32 v7, v8
	v_cmp_ngt_f32_e32 vcc, s1, v4
	v_cndmask_b32_e32 v3, 0, v3, vcc
	v_cmp_nlt_f32_e32 vcc, s2, v4
	v_cndmask_b32_e32 v3, v11, v3, vcc
	v_add_f32_e32 v2, v2, v3
	v_ldexp_f32 v3, v6, v7
	v_cmp_ngt_f32_e32 vcc, s1, v5
	v_cndmask_b32_e32 v3, 0, v3, vcc
	v_cmp_nlt_f32_e32 vcc, s2, v5
	v_cndmask_b32_e32 v3, v11, v3, vcc
	v_add_f32_e32 v2, v2, v3
	v_add_f32_e32 v1, v1, v2
	v_cmp_neq_f32_e32 vcc, 0, v1
	s_and_b64 exec, exec, vcc
	s_cbranch_execz .LBB245_19
; %bb.9:
	s_andn2_b64 vcc, exec, s[30:31]
	s_cbranch_vccnz .LBB245_19
; %bb.10:
	v_div_scale_f32 v2, s[0:1], v1, v1, 1.0
	v_rcp_f32_e32 v3, v2
	v_div_scale_f32 v4, vcc, 1.0, v1, 1.0
	s_cmp_gt_u32 s20, 3
	v_fma_f32 v5, -v2, v3, 1.0
	v_fmac_f32_e32 v3, v5, v3
	v_mul_f32_e32 v5, v4, v3
	v_fma_f32 v6, -v2, v5, v4
	v_fmac_f32_e32 v5, v6, v3
	v_fma_f32 v2, -v2, v5, v4
	v_div_fmas_f32 v2, v2, v3, v5
	v_div_fixup_f32 v2, v2, v1, 1.0
	v_ashrrev_i32_e32 v1, 31, v0
	s_cbranch_scc0 .LBB245_14
; %bb.11:
	v_lshlrev_b64 v[4:5], 2, v[0:1]
	v_mov_b32_e32 v6, s19
	v_add_co_u32_e32 v4, vcc, s18, v4
	v_addc_co_u32_e32 v5, vcc, v5, v6, vcc
	s_and_b32 s4, s20, 0x7ffffffc
	v_add_co_u32_e32 v4, vcc, 8, v4
	v_mov_b32_e32 v3, v2
	v_addc_co_u32_e32 v5, vcc, 0, v5, vcc
	s_mov_b32 s0, s4
.LBB245_12:                             ; =>This Inner Loop Header: Depth=1
	global_load_dwordx4 v[6:9], v[4:5], off offset:-8
	s_add_i32 s0, s0, -4
	s_cmp_lg_u32 s0, 0
	s_waitcnt vmcnt(0)
	v_pk_mul_f32 v[6:7], v[2:3], v[6:7]
	v_pk_mul_f32 v[8:9], v[2:3], v[8:9]
	global_store_dwordx4 v[4:5], v[6:9], off offset:-8
	v_add_co_u32_e32 v4, vcc, 16, v4
	v_addc_co_u32_e32 v5, vcc, 0, v5, vcc
	s_cbranch_scc1 .LBB245_12
; %bb.13:
	s_cmp_lg_u32 s4, s20
	s_cselect_b64 s[0:1], -1, 0
	s_branch .LBB245_16
.LBB245_14:
	s_mov_b64 s[0:1], 0
                                        ; implicit-def: $sgpr4
	s_cbranch_execz .LBB245_16
; %bb.15:
	s_mov_b64 s[0:1], -1
	s_mov_b32 s4, 0
.LBB245_16:
	s_andn2_b64 vcc, exec, s[0:1]
	s_cbranch_vccnz .LBB245_19
; %bb.17:
	v_add_co_u32_e32 v0, vcc, s4, v0
	v_addc_co_u32_e32 v1, vcc, 0, v1, vcc
	v_lshlrev_b64 v[0:1], 2, v[0:1]
	v_mov_b32_e32 v3, s19
	v_add_co_u32_e32 v0, vcc, s18, v0
	s_sub_i32 s0, s20, s4
	v_addc_co_u32_e32 v1, vcc, v3, v1, vcc
.LBB245_18:                             ; =>This Inner Loop Header: Depth=1
	global_load_dword v3, v[0:1], off
	s_add_i32 s0, s0, -1
	s_cmp_lg_u32 s0, 0
	s_waitcnt vmcnt(0)
	v_mul_f32_e32 v3, v2, v3
	global_store_dword v[0:1], v3, off
	v_add_co_u32_e32 v0, vcc, 4, v0
	v_addc_co_u32_e32 v1, vcc, 0, v1, vcc
	s_cbranch_scc1 .LBB245_18
.LBB245_19:
	s_endpgm
	.section	.rodata,"a",@progbits
	.p2align	6, 0x0
	.amdhsa_kernel _ZN4vllm3moe17topkGatingSoftmaxItLi8ELi8ELi8ELi16ELb0ELi4ELNS0_23SharedExpertScoringFuncE1EEEvPKT_PKbPfiPiS9_iiiiii
		.amdhsa_group_segment_fixed_size 0
		.amdhsa_private_segment_fixed_size 0
		.amdhsa_kernarg_size 72
		.amdhsa_user_sgpr_count 6
		.amdhsa_user_sgpr_private_segment_buffer 1
		.amdhsa_user_sgpr_dispatch_ptr 0
		.amdhsa_user_sgpr_queue_ptr 0
		.amdhsa_user_sgpr_kernarg_segment_ptr 1
		.amdhsa_user_sgpr_dispatch_id 0
		.amdhsa_user_sgpr_flat_scratch_init 0
		.amdhsa_user_sgpr_kernarg_preload_length 0
		.amdhsa_user_sgpr_kernarg_preload_offset 0
		.amdhsa_user_sgpr_private_segment_size 0
		.amdhsa_uses_dynamic_stack 0
		.amdhsa_system_sgpr_private_segment_wavefront_offset 0
		.amdhsa_system_sgpr_workgroup_id_x 1
		.amdhsa_system_sgpr_workgroup_id_y 0
		.amdhsa_system_sgpr_workgroup_id_z 0
		.amdhsa_system_sgpr_workgroup_info 0
		.amdhsa_system_vgpr_workitem_id 1
		.amdhsa_next_free_vgpr 30
		.amdhsa_next_free_sgpr 37
		.amdhsa_accum_offset 32
		.amdhsa_reserve_vcc 1
		.amdhsa_reserve_flat_scratch 0
		.amdhsa_float_round_mode_32 0
		.amdhsa_float_round_mode_16_64 0
		.amdhsa_float_denorm_mode_32 3
		.amdhsa_float_denorm_mode_16_64 3
		.amdhsa_dx10_clamp 1
		.amdhsa_ieee_mode 1
		.amdhsa_fp16_overflow 0
		.amdhsa_tg_split 0
		.amdhsa_exception_fp_ieee_invalid_op 0
		.amdhsa_exception_fp_denorm_src 0
		.amdhsa_exception_fp_ieee_div_zero 0
		.amdhsa_exception_fp_ieee_overflow 0
		.amdhsa_exception_fp_ieee_underflow 0
		.amdhsa_exception_fp_ieee_inexact 0
		.amdhsa_exception_int_div_zero 0
	.end_amdhsa_kernel
	.section	.text._ZN4vllm3moe17topkGatingSoftmaxItLi8ELi8ELi8ELi16ELb0ELi4ELNS0_23SharedExpertScoringFuncE1EEEvPKT_PKbPfiPiS9_iiiiii,"axG",@progbits,_ZN4vllm3moe17topkGatingSoftmaxItLi8ELi8ELi8ELi16ELb0ELi4ELNS0_23SharedExpertScoringFuncE1EEEvPKT_PKbPfiPiS9_iiiiii,comdat
.Lfunc_end245:
	.size	_ZN4vllm3moe17topkGatingSoftmaxItLi8ELi8ELi8ELi16ELb0ELi4ELNS0_23SharedExpertScoringFuncE1EEEvPKT_PKbPfiPiS9_iiiiii, .Lfunc_end245-_ZN4vllm3moe17topkGatingSoftmaxItLi8ELi8ELi8ELi16ELb0ELi4ELNS0_23SharedExpertScoringFuncE1EEEvPKT_PKbPfiPiS9_iiiiii
                                        ; -- End function
	.section	.AMDGPU.csdata,"",@progbits
; Kernel info:
; codeLenInByte = 3084
; NumSgprs: 41
; NumVgprs: 30
; NumAgprs: 0
; TotalNumVgprs: 30
; ScratchSize: 0
; MemoryBound: 0
; FloatMode: 240
; IeeeMode: 1
; LDSByteSize: 0 bytes/workgroup (compile time only)
; SGPRBlocks: 5
; VGPRBlocks: 3
; NumSGPRsForWavesPerEU: 41
; NumVGPRsForWavesPerEU: 30
; AccumOffset: 32
; Occupancy: 8
; WaveLimiterHint : 0
; COMPUTE_PGM_RSRC2:SCRATCH_EN: 0
; COMPUTE_PGM_RSRC2:USER_SGPR: 6
; COMPUTE_PGM_RSRC2:TRAP_HANDLER: 0
; COMPUTE_PGM_RSRC2:TGID_X_EN: 1
; COMPUTE_PGM_RSRC2:TGID_Y_EN: 0
; COMPUTE_PGM_RSRC2:TGID_Z_EN: 0
; COMPUTE_PGM_RSRC2:TIDIG_COMP_CNT: 1
; COMPUTE_PGM_RSRC3_GFX90A:ACCUM_OFFSET: 7
; COMPUTE_PGM_RSRC3_GFX90A:TG_SPLIT: 0
	.section	.text._ZN4vllm3moe17topkGatingSoftmaxItLi8ELi8ELi8ELi16ELb1ELi8ELNS0_23SharedExpertScoringFuncE1EEEvPKT_PKbPfiPiS9_iiiiii,"axG",@progbits,_ZN4vllm3moe17topkGatingSoftmaxItLi8ELi8ELi8ELi16ELb1ELi8ELNS0_23SharedExpertScoringFuncE1EEEvPKT_PKbPfiPiS9_iiiiii,comdat
	.protected	_ZN4vllm3moe17topkGatingSoftmaxItLi8ELi8ELi8ELi16ELb1ELi8ELNS0_23SharedExpertScoringFuncE1EEEvPKT_PKbPfiPiS9_iiiiii ; -- Begin function _ZN4vllm3moe17topkGatingSoftmaxItLi8ELi8ELi8ELi16ELb1ELi8ELNS0_23SharedExpertScoringFuncE1EEEvPKT_PKbPfiPiS9_iiiiii
	.globl	_ZN4vllm3moe17topkGatingSoftmaxItLi8ELi8ELi8ELi16ELb1ELi8ELNS0_23SharedExpertScoringFuncE1EEEvPKT_PKbPfiPiS9_iiiiii
	.p2align	8
	.type	_ZN4vllm3moe17topkGatingSoftmaxItLi8ELi8ELi8ELi16ELb1ELi8ELNS0_23SharedExpertScoringFuncE1EEEvPKT_PKbPfiPiS9_iiiiii,@function
_ZN4vllm3moe17topkGatingSoftmaxItLi8ELi8ELi8ELi16ELb1ELi8ELNS0_23SharedExpertScoringFuncE1EEEvPKT_PKbPfiPiS9_iiiiii: ; @_ZN4vllm3moe17topkGatingSoftmaxItLi8ELi8ELi8ELi16ELb1ELi8ELNS0_23SharedExpertScoringFuncE1EEEvPKT_PKbPfiPiS9_iiiiii
; %bb.0:
	s_load_dword s28, s[4:5], 0x18
	v_bfe_u32 v1, v0, 10, 10
	s_lshl_b32 s10, s6, 9
	v_lshlrev_b32_e32 v17, 6, v1
	v_and_b32_e32 v18, 0x3ff, v0
	v_add3_u32 v14, v17, v18, s10
	s_waitcnt lgkmcnt(0)
	v_cmp_gt_i32_e32 vcc, s28, v14
	s_and_saveexec_b64 s[0:1], vcc
	s_cbranch_execz .LBB246_19
; %bb.1:
	s_load_dwordx4 s[0:3], s[4:5], 0x0
	s_load_dwordx2 s[18:19], s[4:5], 0x10
	s_waitcnt lgkmcnt(0)
	s_cmp_eq_u64 s[2:3], 0
	s_cbranch_scc1 .LBB246_3
; %bb.2:
	v_ashrrev_i32_e32 v1, 31, v14
	v_mov_b32_e32 v2, s3
	v_add_co_u32_e32 v0, vcc, s2, v14
	v_addc_co_u32_e32 v1, vcc, v2, v1, vcc
	global_load_ubyte v0, v[0:1], off
	s_waitcnt vmcnt(0)
	v_and_b32_e32 v0, 1, v0
	v_cmp_eq_u32_e32 vcc, 1, v0
	s_xor_b64 s[2:3], vcc, -1
	s_orn2_b64 s[24:25], s[2:3], exec
	s_branch .LBB246_4
.LBB246_3:
	s_mov_b64 s[24:25], -1
.LBB246_4:
	s_load_dwordx2 s[8:9], s[4:5], 0x40
	s_load_dwordx4 s[20:23], s[4:5], 0x30
	v_mov_b32_e32 v2, s1
	v_mov_b32_e32 v12, s19
	s_mov_b32 s7, 0xbfb8aa3b
	s_waitcnt lgkmcnt(0)
	v_mul_lo_u32 v0, v14, s9
	v_ashrrev_i32_e32 v1, 31, v0
	v_lshlrev_b64 v[0:1], 1, v[0:1]
	v_add_co_u32_e32 v0, vcc, s0, v0
	v_addc_co_u32_e32 v1, vcc, v2, v1, vcc
	global_load_dwordx4 v[4:7], v[0:1], off offset:16
	v_mul_lo_u32 v8, v14, s23
	v_add_u32_e32 v10, s20, v8
	v_ashrrev_i32_e32 v11, 31, v10
	v_lshlrev_b64 v[10:11], 2, v[10:11]
	v_add_co_u32_e32 v10, vcc, s18, v10
	v_addc_co_u32_e32 v11, vcc, v12, v11, vcc
	s_mov_b32 s6, 0x42ce8ed0
	s_mov_b32 s9, 0xc2b17218
	v_mov_b32_e32 v9, 0x7f800000
	global_load_dwordx4 v[0:3], v[0:1], off
	s_cmp_gt_i32 s20, 0
	v_mov_b32_e32 v16, 0
	s_cselect_b64 s[26:27], -1, 0
	s_cmp_lt_i32 s20, 1
	s_waitcnt vmcnt(1)
	v_cvt_f32_u32_sdwa v12, v4 dst_sel:DWORD dst_unused:UNUSED_PAD src0_sel:WORD_1
	v_cvt_f32_u32_sdwa v4, v4 dst_sel:DWORD dst_unused:UNUSED_PAD src0_sel:WORD_0
	v_cvt_f32_u32_sdwa v13, v5 dst_sel:DWORD dst_unused:UNUSED_PAD src0_sel:WORD_1
	v_cvt_f32_u32_sdwa v15, v5 dst_sel:DWORD dst_unused:UNUSED_PAD src0_sel:WORD_0
	v_mul_f32_e32 v5, 0xbfb8aa3b, v12
	v_mul_f32_e32 v19, 0xbfb8aa3b, v4
	v_fma_f32 v22, v12, s7, -v5
	v_rndne_f32_e32 v23, v5
	v_mul_f32_e32 v20, 0xbfb8aa3b, v13
	v_fma_f32 v24, v4, s7, -v19
	v_rndne_f32_e32 v25, v19
	v_fmac_f32_e32 v22, 0xb2a5705f, v12
	v_sub_f32_e32 v5, v5, v23
	v_mul_f32_e32 v21, 0xbfb8aa3b, v15
	v_fma_f32 v26, v13, s7, -v20
	v_rndne_f32_e32 v27, v20
	v_fmac_f32_e32 v24, 0xb2a5705f, v4
	v_sub_f32_e32 v19, v19, v25
	v_add_f32_e32 v5, v5, v22
	v_fma_f32 v28, v15, s7, -v21
	v_rndne_f32_e32 v29, v21
	v_cvt_i32_f32_e32 v23, v23
	v_fmac_f32_e32 v26, 0xb2a5705f, v13
	v_sub_f32_e32 v20, v20, v27
	v_add_f32_e32 v19, v19, v24
	v_exp_f32_e32 v5, v5
	v_cvt_i32_f32_e32 v25, v25
	v_fmac_f32_e32 v28, 0xb2a5705f, v15
	v_sub_f32_e32 v21, v21, v29
	v_add_f32_e32 v20, v20, v26
	v_exp_f32_e32 v19, v19
	v_cvt_i32_f32_e32 v27, v27
	v_add_f32_e32 v21, v21, v28
	v_exp_f32_e32 v20, v20
	v_cvt_i32_f32_e32 v29, v29
	v_exp_f32_e32 v21, v21
	v_ldexp_f32 v5, v5, v23
	v_cmp_nlt_f32_e32 vcc, s6, v12
	v_ldexp_f32 v19, v19, v25
	v_cndmask_b32_e32 v5, 0, v5, vcc
	v_cmp_nlt_f32_e32 vcc, s6, v4
	v_ldexp_f32 v20, v20, v27
	v_cndmask_b32_e32 v19, 0, v19, vcc
	;; [unrolled: 3-line block ×3, first 2 shown]
	v_cmp_nlt_f32_e32 vcc, s6, v15
	v_cndmask_b32_e32 v21, 0, v21, vcc
	v_cmp_ngt_f32_e32 vcc, s9, v12
	v_cndmask_b32_e32 v5, v9, v5, vcc
	v_cmp_ngt_f32_e32 vcc, s9, v4
	;; [unrolled: 2-line block ×4, first 2 shown]
	v_pk_add_f32 v[4:5], v[4:5], 1.0 op_sel_hi:[1,0]
	v_cndmask_b32_e32 v12, v9, v21, vcc
	v_div_scale_f32 v15, s[0:1], v5, v5, 1.0
	v_pk_add_f32 v[12:13], v[12:13], 1.0 op_sel_hi:[1,0]
	v_div_scale_f32 v20, s[0:1], v4, v4, 1.0
	v_rcp_f32_e32 v23, v15
	v_div_scale_f32 v22, s[2:3], v13, v13, 1.0
	v_rcp_f32_e32 v24, v20
	v_rcp_f32_e32 v25, v22
	v_fma_f32 v27, -v15, v23, 1.0
	v_div_scale_f32 v19, vcc, 1.0, v5, 1.0
	v_fma_f32 v28, -v20, v24, 1.0
	v_fmac_f32_e32 v23, v27, v23
	v_div_scale_f32 v21, s[0:1], 1.0, v4, 1.0
	v_fma_f32 v29, -v22, v25, 1.0
	v_fmac_f32_e32 v24, v28, v24
	v_mul_f32_e32 v27, v19, v23
	v_fmac_f32_e32 v25, v29, v25
	v_mul_f32_e32 v28, v21, v24
	v_fma_f32 v29, -v15, v27, v19
	v_fma_f32 v30, -v20, v28, v21
	v_fmac_f32_e32 v27, v29, v23
	v_fmac_f32_e32 v28, v30, v24
	v_fma_f32 v15, -v15, v27, v19
	v_fma_f32 v19, -v20, v28, v21
	v_div_fmas_f32 v15, v15, v23, v27
	s_mov_b64 vcc, s[0:1]
	v_div_scale_f32 v26, s[2:3], 1.0, v13, 1.0
	v_div_fixup_f32 v21, v15, v5, 1.0
	v_div_fmas_f32 v5, v19, v24, v28
	v_div_fixup_f32 v20, v5, v4, 1.0
	v_mul_f32_e32 v4, v26, v25
	v_div_scale_f32 v15, s[0:1], v12, v12, 1.0
	v_fma_f32 v5, -v22, v4, v26
	v_rcp_f32_e32 v19, v15
	v_fmac_f32_e32 v4, v5, v25
	v_fma_f32 v5, -v22, v4, v26
	s_mov_b64 vcc, s[2:3]
	v_div_fmas_f32 v4, v5, v25, v4
	v_div_fixup_f32 v23, v4, v13, 1.0
	v_fma_f32 v4, -v15, v19, 1.0
	v_fmac_f32_e32 v19, v4, v19
	v_cvt_f32_u32_sdwa v4, v6 dst_sel:DWORD dst_unused:UNUSED_PAD src0_sel:WORD_1
	v_cvt_f32_u32_sdwa v6, v6 dst_sel:DWORD dst_unused:UNUSED_PAD src0_sel:WORD_0
	v_div_scale_f32 v5, vcc, 1.0, v12, 1.0
	v_mul_f32_e32 v24, 0xbfb8aa3b, v4
	v_fma_f32 v25, v4, s7, -v24
	v_rndne_f32_e32 v26, v24
	v_fmac_f32_e32 v25, 0xb2a5705f, v4
	v_sub_f32_e32 v24, v24, v26
	v_add_f32_e32 v24, v24, v25
	v_exp_f32_e32 v24, v24
	v_cvt_i32_f32_e32 v25, v26
	v_mul_f32_e32 v13, v5, v19
	v_fma_f32 v22, -v15, v13, v5
	v_fmac_f32_e32 v13, v22, v19
	v_mul_f32_e32 v22, 0xbfb8aa3b, v6
	v_fma_f32 v15, -v15, v13, v5
	v_ldexp_f32 v5, v24, v25
	v_fma_f32 v24, v6, s7, -v22
	v_rndne_f32_e32 v25, v22
	v_fmac_f32_e32 v24, 0xb2a5705f, v6
	v_sub_f32_e32 v22, v22, v25
	v_add_f32_e32 v22, v22, v24
	v_exp_f32_e32 v22, v22
	v_cvt_i32_f32_e32 v24, v25
	v_cmp_nlt_f32_e64 s[0:1], s6, v4
	v_cndmask_b32_e64 v5, 0, v5, s[0:1]
	v_cmp_ngt_f32_e64 s[0:1], s9, v4
	v_cndmask_b32_e64 v5, v9, v5, s[0:1]
	v_ldexp_f32 v4, v22, v24
	v_cmp_nlt_f32_e64 s[0:1], s6, v6
	v_cndmask_b32_e64 v4, 0, v4, s[0:1]
	v_cmp_ngt_f32_e64 s[0:1], s9, v6
	v_cndmask_b32_e64 v4, v9, v4, s[0:1]
	v_pk_add_f32 v[4:5], v[4:5], 1.0 op_sel_hi:[1,0]
	v_div_scale_f32 v6, s[0:1], v5, v5, 1.0
	v_rcp_f32_e32 v24, v6
	v_div_fmas_f32 v13, v15, v19, v13
	v_div_fixup_f32 v22, v13, v12, 1.0
	global_store_dwordx4 v[10:11], v[20:23], off
	v_fma_f32 v12, -v6, v24, 1.0
	v_fmac_f32_e32 v24, v12, v24
	v_div_scale_f32 v12, vcc, 1.0, v5, 1.0
	v_mul_f32_e32 v13, v12, v24
	v_fma_f32 v15, -v6, v13, v12
	v_fmac_f32_e32 v13, v15, v24
	v_fma_f32 v6, -v6, v13, v12
	v_div_scale_f32 v12, s[0:1], v4, v4, 1.0
	v_rcp_f32_e32 v15, v12
	v_div_fmas_f32 v6, v6, v24, v13
	v_div_fixup_f32 v5, v6, v5, 1.0
	v_div_scale_f32 v13, vcc, 1.0, v4, 1.0
	v_fma_f32 v6, -v12, v15, 1.0
	v_fmac_f32_e32 v15, v6, v15
	v_cvt_f32_u32_sdwa v6, v7 dst_sel:DWORD dst_unused:UNUSED_PAD src0_sel:WORD_1
	v_mul_f32_e32 v19, v13, v15
	v_fma_f32 v20, -v12, v19, v13
	v_fmac_f32_e32 v19, v20, v15
	v_mul_f32_e32 v21, 0xbfb8aa3b, v6
	v_fma_f32 v22, v6, s7, -v21
	v_rndne_f32_e32 v23, v21
	v_fmac_f32_e32 v22, 0xb2a5705f, v6
	v_sub_f32_e32 v21, v21, v23
	v_add_f32_e32 v21, v21, v22
	v_cvt_i32_f32_e32 v22, v23
	v_cvt_f32_u32_sdwa v23, v7 dst_sel:DWORD dst_unused:UNUSED_PAD src0_sel:WORD_0
	v_exp_f32_e32 v21, v21
	v_fma_f32 v12, -v12, v19, v13
	v_cmp_nlt_f32_e64 s[0:1], s6, v6
	v_mul_f32_e32 v13, 0xbfb8aa3b, v23
	v_ldexp_f32 v7, v21, v22
	v_fma_f32 v20, v23, s7, -v13
	v_rndne_f32_e32 v21, v13
	v_fmac_f32_e32 v20, 0xb2a5705f, v23
	v_sub_f32_e32 v13, v13, v21
	v_add_f32_e32 v13, v13, v20
	v_exp_f32_e32 v13, v13
	v_cvt_i32_f32_e32 v20, v21
	v_cndmask_b32_e64 v7, 0, v7, s[0:1]
	v_cmp_ngt_f32_e64 s[0:1], s9, v6
	v_cndmask_b32_e64 v7, v9, v7, s[0:1]
	v_ldexp_f32 v6, v13, v20
	v_cmp_nlt_f32_e64 s[0:1], s6, v23
	v_cndmask_b32_e64 v6, 0, v6, s[0:1]
	v_cmp_ngt_f32_e64 s[0:1], s9, v23
	v_cndmask_b32_e64 v6, v9, v6, s[0:1]
	v_pk_add_f32 v[6:7], v[6:7], 1.0 op_sel_hi:[1,0]
	v_div_scale_f32 v13, s[0:1], v7, v7, 1.0
	v_rcp_f32_e32 v20, v13
	v_div_fmas_f32 v12, v12, v15, v19
	v_div_fixup_f32 v4, v12, v4, 1.0
	v_fma_f32 v12, -v13, v20, 1.0
	v_fmac_f32_e32 v20, v12, v20
	v_div_scale_f32 v12, vcc, 1.0, v7, 1.0
	v_mul_f32_e32 v15, v12, v20
	v_fma_f32 v19, -v13, v15, v12
	v_fmac_f32_e32 v15, v19, v20
	v_fma_f32 v12, -v13, v15, v12
	v_div_scale_f32 v13, s[0:1], v6, v6, 1.0
	v_rcp_f32_e32 v19, v13
	v_div_fmas_f32 v12, v12, v20, v15
	v_div_fixup_f32 v7, v12, v7, 1.0
	v_fma_f32 v12, -v13, v19, 1.0
	v_fmac_f32_e32 v19, v12, v19
	v_div_scale_f32 v12, vcc, 1.0, v6, 1.0
	v_mul_f32_e32 v15, v12, v19
	v_fma_f32 v20, -v13, v15, v12
	v_fmac_f32_e32 v15, v20, v19
	v_fma_f32 v12, -v13, v15, v12
	v_div_fmas_f32 v12, v12, v19, v15
	v_div_fixup_f32 v6, v12, v6, 1.0
	global_store_dwordx4 v[10:11], v[4:7], off offset:16
	s_cbranch_scc1 .LBB246_8
; %bb.5:
	s_waitcnt vmcnt(2)
	v_cvt_f32_u32_sdwa v20, v0 dst_sel:DWORD dst_unused:UNUSED_PAD src0_sel:WORD_1
	v_cvt_f32_u32_sdwa v21, v0 dst_sel:DWORD dst_unused:UNUSED_PAD src0_sel:WORD_0
	v_cvt_f32_u32_sdwa v22, v1 dst_sel:DWORD dst_unused:UNUSED_PAD src0_sel:WORD_0
	v_cvt_f32_u32_sdwa v15, v1 dst_sel:DWORD dst_unused:UNUSED_PAD src0_sel:WORD_1
	v_cvt_f32_u32_sdwa v4, v2 dst_sel:DWORD dst_unused:UNUSED_PAD src0_sel:WORD_0
	v_cmp_lt_f32_e32 vcc, v21, v20
	v_cndmask_b32_e32 v1, v21, v20, vcc
	v_cndmask_b32_e64 v0, 0, 1, vcc
	v_cmp_lt_f32_e32 vcc, v1, v22
	v_cndmask_b32_e32 v1, v1, v22, vcc
	v_cvt_f32_u32_sdwa v5, v2 dst_sel:DWORD dst_unused:UNUSED_PAD src0_sel:WORD_1
	v_cndmask_b32_e64 v0, v0, 2, vcc
	v_cmp_lt_f32_e32 vcc, v1, v15
	v_cndmask_b32_e32 v1, v1, v15, vcc
	v_cvt_f32_u32_sdwa v6, v3 dst_sel:DWORD dst_unused:UNUSED_PAD src0_sel:WORD_0
	v_cndmask_b32_e64 v0, v0, 3, vcc
	v_cmp_lt_f32_e32 vcc, v1, v4
	v_cndmask_b32_e32 v1, v1, v4, vcc
	v_cvt_f32_u32_sdwa v7, v3 dst_sel:DWORD dst_unused:UNUSED_PAD src0_sel:WORD_1
	v_cndmask_b32_e64 v0, v0, 4, vcc
	v_cmp_lt_f32_e32 vcc, v1, v5
	v_cndmask_b32_e32 v1, v1, v5, vcc
	v_cndmask_b32_e64 v0, v0, 5, vcc
	v_cmp_lt_f32_e32 vcc, v1, v6
	v_cndmask_b32_e32 v1, v1, v6, vcc
	;; [unrolled: 3-line block ×3, first 2 shown]
	v_cndmask_b32_e64 v23, v0, 7, vcc
	v_sub_f32_e32 v0, v19, v19
	s_mov_b32 s23, 0x3fb8aa3b
	v_mul_f32_e32 v1, 0x3fb8aa3b, v0
	v_fma_f32 v2, v0, s23, -v1
	v_rndne_f32_e32 v3, v1
	v_fmac_f32_e32 v2, 0x32a5705f, v0
	v_sub_f32_e32 v1, v1, v3
	v_add_f32_e32 v1, v1, v2
	v_exp_f32_e32 v1, v1
	v_cvt_i32_f32_e32 v2, v3
	v_cmp_le_i32_e32 vcc, s21, v23
	v_cmp_gt_i32_e64 s[0:1], s22, v23
	s_mov_b32 s29, 0xc2ce8ed0
	s_and_b64 s[2:3], vcc, s[0:1]
	v_ldexp_f32 v1, v1, v2
	v_cmp_ngt_f32_e32 vcc, s29, v0
	s_mov_b32 s30, 0x42b17218
	v_cndmask_b32_e32 v1, 0, v1, vcc
	v_cmp_nlt_f32_e32 vcc, s30, v0
	s_load_dwordx4 s[4:7], s[4:5], 0x20
	v_cndmask_b32_e32 v16, v9, v1, vcc
	v_ashrrev_i32_e32 v9, 31, v8
	v_lshlrev_b64 v[0:1], 2, v[8:9]
	v_mul_lo_u32 v10, v14, s8
	v_mov_b32_e32 v3, s19
	v_add_co_u32_e32 v2, vcc, s18, v0
	v_addc_co_u32_e64 v3, s[0:1], v3, v1, vcc
	v_ashrrev_i32_e32 v11, 31, v10
	v_subrev_u32_e32 v0, s21, v23
	s_and_b64 s[0:1], s[24:25], s[2:3]
	v_lshlrev_b64 v[12:13], 2, v[10:11]
	v_mul_lo_u32 v24, v14, s20
	global_store_dword v[2:3], v16, off
	v_cndmask_b32_e64 v0, 8, v0, s[0:1]
	s_waitcnt lgkmcnt(0)
	v_mov_b32_e32 v3, s5
	v_add_co_u32_e64 v10, s[0:1], s4, v12
	v_addc_co_u32_e64 v11, s[0:1], v3, v13, s[0:1]
	v_ashrrev_i32_e32 v25, 31, v24
	global_store_dword v[10:11], v0, off
	v_lshlrev_b64 v[10:11], 2, v[24:25]
	v_mov_b32_e32 v0, s7
	v_add_co_u32_e64 v24, s[0:1], s6, v10
	v_addc_co_u32_e64 v25, s[0:1], v0, v11, s[0:1]
	s_cmp_eq_u32 s20, 1
	global_store_dword v[24:25], v14, off
	s_cbranch_scc1 .LBB246_8
; %bb.6:
	v_mov_b32_e32 v9, 0xff800000
	v_cmp_ne_u32_e64 s[0:1], 7, v23
	v_cndmask_b32_e64 v7, v9, v7, s[0:1]
	v_cmp_ne_u32_e64 s[0:1], 6, v23
	v_cndmask_b32_e64 v6, v9, v6, s[0:1]
	v_cmp_ne_u32_e64 s[0:1], 5, v23
	v_cndmask_b32_e64 v5, v9, v5, s[0:1]
	v_cmp_ne_u32_e64 s[0:1], 4, v23
	v_cndmask_b32_e64 v4, v9, v4, s[0:1]
	v_cmp_ne_u32_e64 s[0:1], 3, v23
	v_cndmask_b32_e64 v3, v9, v15, s[0:1]
	v_mov_b32_e32 v0, s7
	v_add_co_u32_e64 v10, s[0:1], s6, v10
	v_addc_co_u32_e64 v0, s[0:1], v11, v0, s[0:1]
	v_add_co_u32_e64 v10, s[0:1], 4, v10
	v_addc_co_u32_e64 v11, s[0:1], 0, v0, s[0:1]
	v_mov_b32_e32 v0, s5
	v_add_co_u32_e64 v12, s[0:1], s4, v12
	v_addc_co_u32_e64 v0, s[0:1], v13, v0, s[0:1]
	v_add_co_u32_e64 v12, s[0:1], 4, v12
	v_addc_co_u32_e64 v13, s[0:1], 0, v0, s[0:1]
	v_mov_b32_e32 v0, s19
	v_addc_co_u32_e32 v0, vcc, v1, v0, vcc
	v_add_co_u32_e32 v14, vcc, 4, v2
	v_addc_co_u32_e32 v15, vcc, 0, v0, vcc
	v_cmp_ne_u32_e32 vcc, 2, v23
	v_cndmask_b32_e32 v2, v9, v22, vcc
	v_cmp_ne_u32_e32 vcc, 0, v23
	s_add_i32 s10, s10, s28
	v_cmp_ne_u32_e64 s[0:1], 1, v23
	s_add_i32 s31, s20, -1
	v_add3_u32 v17, s10, v18, v17
	v_mov_b32_e32 v18, 0x7f800000
	v_cndmask_b32_e64 v1, v9, v20, s[0:1]
	v_cndmask_b32_e32 v0, v9, v21, vcc
.LBB246_7:                              ; =>This Inner Loop Header: Depth=1
	v_cmp_gt_f32_e32 vcc, v1, v0
	v_cndmask_b32_e32 v20, v0, v1, vcc
	v_cmp_gt_f32_e64 s[0:1], v2, v20
	v_cndmask_b32_e64 v20, v20, v2, s[0:1]
	v_cmp_gt_f32_e64 s[2:3], v3, v20
	v_cndmask_b32_e64 v20, v20, v3, s[2:3]
	;; [unrolled: 2-line block ×6, first 2 shown]
	v_sub_f32_e32 v20, v20, v19
	v_mul_f32_e32 v21, 0x3fb8aa3b, v20
	v_fma_f32 v22, v20, s23, -v21
	v_rndne_f32_e32 v23, v21
	v_fmac_f32_e32 v22, 0x32a5705f, v20
	v_sub_f32_e32 v21, v21, v23
	v_add_f32_e32 v21, v21, v22
	v_cndmask_b32_e64 v22, 0, 1, vcc
	v_cndmask_b32_e64 v22, v22, 2, s[0:1]
	v_cndmask_b32_e64 v22, v22, 3, s[2:3]
	;; [unrolled: 1-line block ×6, first 2 shown]
	v_cmp_le_i32_e32 vcc, s21, v22
	v_cmp_gt_i32_e64 s[0:1], s22, v22
	s_and_b64 s[0:1], vcc, s[0:1]
	v_cmp_ne_u32_e64 s[2:3], 7, v22
	v_cmp_ne_u32_e64 s[4:5], 6, v22
	;; [unrolled: 1-line block ×8, first 2 shown]
	v_subrev_u32_e32 v22, s21, v22
	s_and_b64 vcc, s[24:25], s[0:1]
	v_cndmask_b32_e32 v22, 8, v22, vcc
	global_store_dword v[12:13], v22, off
	v_cvt_i32_f32_e32 v22, v23
	v_exp_f32_e32 v21, v21
	v_cmp_ngt_f32_e32 vcc, s29, v20
	global_store_dword v[10:11], v17, off
	s_add_i32 s31, s31, -1
	v_ldexp_f32 v21, v21, v22
	v_cndmask_b32_e32 v21, 0, v21, vcc
	v_cmp_nlt_f32_e32 vcc, s30, v20
	v_cndmask_b32_e32 v20, v18, v21, vcc
	v_add_co_u32_e32 v10, vcc, 4, v10
	v_addc_co_u32_e32 v11, vcc, 0, v11, vcc
	v_add_co_u32_e32 v12, vcc, 4, v12
	v_addc_co_u32_e32 v13, vcc, 0, v13, vcc
	global_store_dword v[14:15], v20, off
	v_add_co_u32_e32 v14, vcc, 4, v14
	v_add_f32_e32 v16, v16, v20
	v_cndmask_b32_e64 v7, v9, v7, s[2:3]
	v_cndmask_b32_e64 v6, v9, v6, s[4:5]
	;; [unrolled: 1-line block ×8, first 2 shown]
	v_add_u32_e32 v17, s28, v17
	s_cmp_eq_u32 s31, 0
	v_addc_co_u32_e32 v15, vcc, 0, v15, vcc
	s_cbranch_scc0 .LBB246_7
.LBB246_8:
	v_cmp_neq_f32_e32 vcc, 0, v16
	s_and_b64 exec, exec, vcc
	s_cbranch_execz .LBB246_19
; %bb.9:
	s_andn2_b64 vcc, exec, s[26:27]
	s_cbranch_vccnz .LBB246_19
; %bb.10:
	s_waitcnt vmcnt(2)
	v_div_scale_f32 v0, s[0:1], v16, v16, 1.0
	v_rcp_f32_e32 v1, v0
	v_div_scale_f32 v2, vcc, 1.0, v16, 1.0
	s_cmp_gt_u32 s20, 3
	v_fma_f32 v3, -v0, v1, 1.0
	v_fmac_f32_e32 v1, v3, v1
	v_mul_f32_e32 v3, v2, v1
	v_fma_f32 v4, -v0, v3, v2
	v_fmac_f32_e32 v3, v4, v1
	v_fma_f32 v0, -v0, v3, v2
	v_div_fmas_f32 v0, v0, v1, v3
	v_div_fixup_f32 v0, v0, v16, 1.0
	v_ashrrev_i32_e32 v9, 31, v8
	s_cbranch_scc0 .LBB246_14
; %bb.11:
	v_lshlrev_b64 v[2:3], 2, v[8:9]
	v_mov_b32_e32 v4, s19
	v_add_co_u32_e32 v2, vcc, s18, v2
	v_addc_co_u32_e32 v3, vcc, v3, v4, vcc
	s_and_b32 s4, s20, 0x7ffffffc
	v_add_co_u32_e32 v2, vcc, 8, v2
	v_mov_b32_e32 v1, v0
	v_addc_co_u32_e32 v3, vcc, 0, v3, vcc
	s_mov_b32 s0, s4
.LBB246_12:                             ; =>This Inner Loop Header: Depth=1
	global_load_dwordx4 v[4:7], v[2:3], off offset:-8
	s_add_i32 s0, s0, -4
	s_cmp_lg_u32 s0, 0
	s_waitcnt vmcnt(0)
	v_pk_mul_f32 v[4:5], v[0:1], v[4:5]
	v_pk_mul_f32 v[6:7], v[0:1], v[6:7]
	global_store_dwordx4 v[2:3], v[4:7], off offset:-8
	v_add_co_u32_e32 v2, vcc, 16, v2
	v_addc_co_u32_e32 v3, vcc, 0, v3, vcc
	s_cbranch_scc1 .LBB246_12
; %bb.13:
	s_cmp_lg_u32 s4, s20
	s_cselect_b64 s[0:1], -1, 0
	s_branch .LBB246_16
.LBB246_14:
	s_mov_b64 s[0:1], 0
                                        ; implicit-def: $sgpr4
	s_cbranch_execz .LBB246_16
; %bb.15:
	s_mov_b64 s[0:1], -1
	s_mov_b32 s4, 0
.LBB246_16:
	s_andn2_b64 vcc, exec, s[0:1]
	s_cbranch_vccnz .LBB246_19
; %bb.17:
	v_add_co_u32_e32 v2, vcc, s4, v8
	v_addc_co_u32_e32 v3, vcc, 0, v9, vcc
	v_lshlrev_b64 v[2:3], 2, v[2:3]
	v_mov_b32_e32 v1, s19
	v_add_co_u32_e32 v2, vcc, s18, v2
	s_sub_i32 s0, s20, s4
	v_addc_co_u32_e32 v3, vcc, v1, v3, vcc
.LBB246_18:                             ; =>This Inner Loop Header: Depth=1
	global_load_dword v1, v[2:3], off
	s_add_i32 s0, s0, -1
	s_cmp_lg_u32 s0, 0
	s_waitcnt vmcnt(0)
	v_mul_f32_e32 v1, v0, v1
	global_store_dword v[2:3], v1, off
	v_add_co_u32_e32 v2, vcc, 4, v2
	v_addc_co_u32_e32 v3, vcc, 0, v3, vcc
	s_cbranch_scc1 .LBB246_18
.LBB246_19:
	s_endpgm
	.section	.rodata,"a",@progbits
	.p2align	6, 0x0
	.amdhsa_kernel _ZN4vllm3moe17topkGatingSoftmaxItLi8ELi8ELi8ELi16ELb1ELi8ELNS0_23SharedExpertScoringFuncE1EEEvPKT_PKbPfiPiS9_iiiiii
		.amdhsa_group_segment_fixed_size 0
		.amdhsa_private_segment_fixed_size 0
		.amdhsa_kernarg_size 72
		.amdhsa_user_sgpr_count 6
		.amdhsa_user_sgpr_private_segment_buffer 1
		.amdhsa_user_sgpr_dispatch_ptr 0
		.amdhsa_user_sgpr_queue_ptr 0
		.amdhsa_user_sgpr_kernarg_segment_ptr 1
		.amdhsa_user_sgpr_dispatch_id 0
		.amdhsa_user_sgpr_flat_scratch_init 0
		.amdhsa_user_sgpr_kernarg_preload_length 0
		.amdhsa_user_sgpr_kernarg_preload_offset 0
		.amdhsa_user_sgpr_private_segment_size 0
		.amdhsa_uses_dynamic_stack 0
		.amdhsa_system_sgpr_private_segment_wavefront_offset 0
		.amdhsa_system_sgpr_workgroup_id_x 1
		.amdhsa_system_sgpr_workgroup_id_y 0
		.amdhsa_system_sgpr_workgroup_id_z 0
		.amdhsa_system_sgpr_workgroup_info 0
		.amdhsa_system_vgpr_workitem_id 1
		.amdhsa_next_free_vgpr 31
		.amdhsa_next_free_sgpr 32
		.amdhsa_accum_offset 32
		.amdhsa_reserve_vcc 1
		.amdhsa_reserve_flat_scratch 0
		.amdhsa_float_round_mode_32 0
		.amdhsa_float_round_mode_16_64 0
		.amdhsa_float_denorm_mode_32 3
		.amdhsa_float_denorm_mode_16_64 3
		.amdhsa_dx10_clamp 1
		.amdhsa_ieee_mode 1
		.amdhsa_fp16_overflow 0
		.amdhsa_tg_split 0
		.amdhsa_exception_fp_ieee_invalid_op 0
		.amdhsa_exception_fp_denorm_src 0
		.amdhsa_exception_fp_ieee_div_zero 0
		.amdhsa_exception_fp_ieee_overflow 0
		.amdhsa_exception_fp_ieee_underflow 0
		.amdhsa_exception_fp_ieee_inexact 0
		.amdhsa_exception_int_div_zero 0
	.end_amdhsa_kernel
	.section	.text._ZN4vllm3moe17topkGatingSoftmaxItLi8ELi8ELi8ELi16ELb1ELi8ELNS0_23SharedExpertScoringFuncE1EEEvPKT_PKbPfiPiS9_iiiiii,"axG",@progbits,_ZN4vllm3moe17topkGatingSoftmaxItLi8ELi8ELi8ELi16ELb1ELi8ELNS0_23SharedExpertScoringFuncE1EEEvPKT_PKbPfiPiS9_iiiiii,comdat
.Lfunc_end246:
	.size	_ZN4vllm3moe17topkGatingSoftmaxItLi8ELi8ELi8ELi16ELb1ELi8ELNS0_23SharedExpertScoringFuncE1EEEvPKT_PKbPfiPiS9_iiiiii, .Lfunc_end246-_ZN4vllm3moe17topkGatingSoftmaxItLi8ELi8ELi8ELi16ELb1ELi8ELNS0_23SharedExpertScoringFuncE1EEEvPKT_PKbPfiPiS9_iiiiii
                                        ; -- End function
	.section	.AMDGPU.csdata,"",@progbits
; Kernel info:
; codeLenInByte = 3072
; NumSgprs: 36
; NumVgprs: 31
; NumAgprs: 0
; TotalNumVgprs: 31
; ScratchSize: 0
; MemoryBound: 0
; FloatMode: 240
; IeeeMode: 1
; LDSByteSize: 0 bytes/workgroup (compile time only)
; SGPRBlocks: 4
; VGPRBlocks: 3
; NumSGPRsForWavesPerEU: 36
; NumVGPRsForWavesPerEU: 31
; AccumOffset: 32
; Occupancy: 8
; WaveLimiterHint : 0
; COMPUTE_PGM_RSRC2:SCRATCH_EN: 0
; COMPUTE_PGM_RSRC2:USER_SGPR: 6
; COMPUTE_PGM_RSRC2:TRAP_HANDLER: 0
; COMPUTE_PGM_RSRC2:TGID_X_EN: 1
; COMPUTE_PGM_RSRC2:TGID_Y_EN: 0
; COMPUTE_PGM_RSRC2:TGID_Z_EN: 0
; COMPUTE_PGM_RSRC2:TIDIG_COMP_CNT: 1
; COMPUTE_PGM_RSRC3_GFX90A:ACCUM_OFFSET: 7
; COMPUTE_PGM_RSRC3_GFX90A:TG_SPLIT: 0
	.section	.text._ZN4vllm3moe17topkGatingSoftmaxItLi8ELi8ELi8ELi16ELb0ELi8ELNS0_23SharedExpertScoringFuncE1EEEvPKT_PKbPfiPiS9_iiiiii,"axG",@progbits,_ZN4vllm3moe17topkGatingSoftmaxItLi8ELi8ELi8ELi16ELb0ELi8ELNS0_23SharedExpertScoringFuncE1EEEvPKT_PKbPfiPiS9_iiiiii,comdat
	.protected	_ZN4vllm3moe17topkGatingSoftmaxItLi8ELi8ELi8ELi16ELb0ELi8ELNS0_23SharedExpertScoringFuncE1EEEvPKT_PKbPfiPiS9_iiiiii ; -- Begin function _ZN4vllm3moe17topkGatingSoftmaxItLi8ELi8ELi8ELi16ELb0ELi8ELNS0_23SharedExpertScoringFuncE1EEEvPKT_PKbPfiPiS9_iiiiii
	.globl	_ZN4vllm3moe17topkGatingSoftmaxItLi8ELi8ELi8ELi16ELb0ELi8ELNS0_23SharedExpertScoringFuncE1EEEvPKT_PKbPfiPiS9_iiiiii
	.p2align	8
	.type	_ZN4vllm3moe17topkGatingSoftmaxItLi8ELi8ELi8ELi16ELb0ELi8ELNS0_23SharedExpertScoringFuncE1EEEvPKT_PKbPfiPiS9_iiiiii,@function
_ZN4vllm3moe17topkGatingSoftmaxItLi8ELi8ELi8ELi16ELb0ELi8ELNS0_23SharedExpertScoringFuncE1EEEvPKT_PKbPfiPiS9_iiiiii: ; @_ZN4vllm3moe17topkGatingSoftmaxItLi8ELi8ELi8ELi16ELb0ELi8ELNS0_23SharedExpertScoringFuncE1EEEvPKT_PKbPfiPiS9_iiiiii
; %bb.0:
	s_load_dword s33, s[4:5], 0x18
	v_bfe_u32 v1, v0, 10, 10
	s_lshl_b32 s34, s6, 9
	v_lshlrev_b32_e32 v21, 6, v1
	v_and_b32_e32 v22, 0x3ff, v0
	v_add3_u32 v1, v21, v22, s34
	s_waitcnt lgkmcnt(0)
	v_cmp_gt_i32_e32 vcc, s33, v1
	s_and_saveexec_b64 s[0:1], vcc
	s_cbranch_execz .LBB247_19
; %bb.1:
	s_load_dwordx4 s[0:3], s[4:5], 0x0
	s_load_dwordx2 s[18:19], s[4:5], 0x10
	s_waitcnt lgkmcnt(0)
	s_cmp_eq_u64 s[2:3], 0
	s_cbranch_scc1 .LBB247_3
; %bb.2:
	v_ashrrev_i32_e32 v0, 31, v1
	v_mov_b32_e32 v3, s3
	v_add_co_u32_e32 v2, vcc, s2, v1
	v_addc_co_u32_e32 v3, vcc, v3, v0, vcc
	global_load_ubyte v0, v[2:3], off
	s_waitcnt vmcnt(0)
	v_and_b32_e32 v0, 1, v0
	v_cmp_eq_u32_e32 vcc, 1, v0
	s_xor_b64 s[2:3], vcc, -1
	s_orn2_b64 s[28:29], s[2:3], exec
	s_branch .LBB247_4
.LBB247_3:
	s_mov_b64 s[28:29], -1
.LBB247_4:
	s_load_dwordx2 s[14:15], s[4:5], 0x40
	s_load_dwordx4 s[20:23], s[4:5], 0x30
	v_mov_b32_e32 v0, s1
	v_mov_b32_e32 v4, s19
	s_mov_b32 s3, 0xbfb8aa3b
	s_waitcnt lgkmcnt(0)
	v_mul_lo_u32 v2, v1, s15
	v_ashrrev_i32_e32 v3, 31, v2
	v_lshlrev_b64 v[2:3], 1, v[2:3]
	v_add_co_u32_e32 v2, vcc, s0, v2
	v_addc_co_u32_e32 v3, vcc, v0, v3, vcc
	global_load_dwordx4 v[6:9], v[2:3], off
	global_load_dwordx4 v[10:13], v[2:3], off offset:16
	v_mul_lo_u32 v0, v1, s23
	v_add_u32_e32 v2, s20, v0
	v_ashrrev_i32_e32 v3, 31, v2
	v_lshlrev_b64 v[2:3], 2, v[2:3]
	v_add_co_u32_e32 v16, vcc, s18, v2
	v_addc_co_u32_e32 v17, vcc, v4, v3, vcc
	s_mov_b32 s2, 0x42ce8ed0
	s_mov_b32 s6, 0xc2b17218
	v_mov_b32_e32 v20, 0x7f800000
	s_cmp_gt_i32 s20, 0
	s_cselect_b64 s[30:31], -1, 0
	s_cmp_lt_i32 s20, 1
	s_waitcnt vmcnt(1)
	v_cvt_f32_u32_sdwa v15, v6 dst_sel:DWORD dst_unused:UNUSED_PAD src0_sel:WORD_1
	s_waitcnt vmcnt(0)
	v_cvt_f32_u32_sdwa v4, v10 dst_sel:DWORD dst_unused:UNUSED_PAD src0_sel:WORD_1
	v_cvt_f32_u32_sdwa v14, v6 dst_sel:DWORD dst_unused:UNUSED_PAD src0_sel:WORD_0
	v_cvt_f32_u32_sdwa v6, v10 dst_sel:DWORD dst_unused:UNUSED_PAD src0_sel:WORD_0
	v_cvt_f32_u32_sdwa v10, v11 dst_sel:DWORD dst_unused:UNUSED_PAD src0_sel:WORD_1
	v_cvt_f32_u32_sdwa v18, v11 dst_sel:DWORD dst_unused:UNUSED_PAD src0_sel:WORD_0
	v_cvt_f32_u32_sdwa v3, v7 dst_sel:DWORD dst_unused:UNUSED_PAD src0_sel:WORD_1
	v_cvt_f32_u32_sdwa v2, v7 dst_sel:DWORD dst_unused:UNUSED_PAD src0_sel:WORD_0
	v_mul_f32_e32 v7, 0xbfb8aa3b, v4
	v_mul_f32_e32 v11, 0xbfb8aa3b, v6
	v_fma_f32 v24, v4, s3, -v7
	v_rndne_f32_e32 v25, v7
	v_mul_f32_e32 v19, 0xbfb8aa3b, v10
	v_fma_f32 v26, v6, s3, -v11
	v_rndne_f32_e32 v27, v11
	v_fmac_f32_e32 v24, 0xb2a5705f, v4
	v_sub_f32_e32 v7, v7, v25
	v_mul_f32_e32 v23, 0xbfb8aa3b, v18
	v_fma_f32 v28, v10, s3, -v19
	v_rndne_f32_e32 v29, v19
	v_fmac_f32_e32 v26, 0xb2a5705f, v6
	v_sub_f32_e32 v11, v11, v27
	v_add_f32_e32 v7, v7, v24
	v_fma_f32 v30, v18, s3, -v23
	v_rndne_f32_e32 v31, v23
	v_cvt_i32_f32_e32 v25, v25
	v_fmac_f32_e32 v28, 0xb2a5705f, v10
	v_sub_f32_e32 v19, v19, v29
	v_add_f32_e32 v11, v11, v26
	v_exp_f32_e32 v7, v7
	v_cvt_i32_f32_e32 v27, v27
	v_fmac_f32_e32 v30, 0xb2a5705f, v18
	v_sub_f32_e32 v23, v23, v31
	v_add_f32_e32 v19, v19, v28
	v_exp_f32_e32 v11, v11
	v_cvt_i32_f32_e32 v29, v29
	v_add_f32_e32 v23, v23, v30
	v_exp_f32_e32 v19, v19
	v_cvt_i32_f32_e32 v31, v31
	v_exp_f32_e32 v23, v23
	v_ldexp_f32 v7, v7, v25
	v_cmp_nlt_f32_e32 vcc, s2, v4
	v_ldexp_f32 v11, v11, v27
	v_cndmask_b32_e32 v7, 0, v7, vcc
	v_cmp_nlt_f32_e32 vcc, s2, v6
	v_ldexp_f32 v19, v19, v29
	v_cndmask_b32_e32 v11, 0, v11, vcc
	;; [unrolled: 3-line block ×3, first 2 shown]
	v_cmp_nlt_f32_e32 vcc, s2, v18
	v_cndmask_b32_e32 v23, 0, v23, vcc
	v_cmp_ngt_f32_e32 vcc, s6, v4
	v_cndmask_b32_e32 v7, v20, v7, vcc
	v_cmp_ngt_f32_e32 vcc, s6, v6
	v_cndmask_b32_e32 v6, v20, v11, vcc
	v_pk_add_f32 v[6:7], v[6:7], 1.0 op_sel_hi:[1,0]
	v_cmp_ngt_f32_e32 vcc, s6, v10
	v_div_scale_f32 v4, s[0:1], v7, v7, 1.0
	v_cndmask_b32_e32 v11, v20, v19, vcc
	v_div_scale_f32 v19, s[0:1], v6, v6, 1.0
	v_rcp_f32_e32 v24, v4
	v_rcp_f32_e32 v26, v19
	v_cmp_ngt_f32_e32 vcc, s6, v18
	v_cndmask_b32_e32 v10, v20, v23, vcc
	v_fma_f32 v25, -v4, v24, 1.0
	v_div_scale_f32 v18, vcc, 1.0, v7, 1.0
	v_fma_f32 v29, -v19, v26, 1.0
	v_fmac_f32_e32 v24, v25, v24
	v_pk_add_f32 v[10:11], v[10:11], 1.0 op_sel_hi:[1,0]
	v_div_scale_f32 v23, s[0:1], 1.0, v6, 1.0
	v_fmac_f32_e32 v26, v29, v26
	v_mul_f32_e32 v25, v18, v24
	v_div_scale_f32 v27, s[8:9], v11, v11, 1.0
	v_mul_f32_e32 v29, v23, v26
	v_fma_f32 v30, -v4, v25, v18
	v_rcp_f32_e32 v28, v27
	v_fma_f32 v31, -v19, v29, v23
	v_fmac_f32_e32 v25, v30, v24
	v_fmac_f32_e32 v29, v31, v26
	v_fma_f32 v4, -v4, v25, v18
	v_fma_f32 v18, -v19, v29, v23
	v_div_fmas_f32 v4, v4, v24, v25
	s_mov_b64 vcc, s[0:1]
	v_div_fixup_f32 v25, v4, v7, 1.0
	v_div_fmas_f32 v4, v18, v26, v29
	v_div_fixup_f32 v24, v4, v6, 1.0
	v_fma_f32 v4, -v27, v28, 1.0
	v_fmac_f32_e32 v28, v4, v28
	v_div_scale_f32 v4, vcc, 1.0, v11, 1.0
	v_mul_f32_e32 v6, v4, v28
	v_fma_f32 v7, -v27, v6, v4
	v_fmac_f32_e32 v6, v7, v28
	v_div_scale_f32 v7, s[0:1], v10, v10, 1.0
	v_rcp_f32_e32 v18, v7
	v_fma_f32 v4, -v27, v6, v4
	v_div_fmas_f32 v19, v4, v28, v6
	v_cvt_f32_u32_sdwa v26, v12 dst_sel:DWORD dst_unused:UNUSED_PAD src0_sel:WORD_1
	v_fma_f32 v4, -v7, v18, 1.0
	v_fmac_f32_e32 v18, v4, v18
	v_div_scale_f32 v4, vcc, 1.0, v10, 1.0
	v_mul_f32_e32 v6, v4, v18
	v_fma_f32 v23, -v7, v6, v4
	v_fmac_f32_e32 v6, v23, v18
	v_cvt_f32_u32_sdwa v12, v12 dst_sel:DWORD dst_unused:UNUSED_PAD src0_sel:WORD_0
	v_fma_f32 v4, -v7, v6, v4
	v_mul_f32_e32 v7, 0xbfb8aa3b, v26
	v_fma_f32 v23, v26, s3, -v7
	v_rndne_f32_e32 v27, v7
	v_fmac_f32_e32 v23, 0xb2a5705f, v26
	v_sub_f32_e32 v7, v7, v27
	v_add_f32_e32 v7, v7, v23
	v_cvt_i32_f32_e32 v23, v27
	v_mul_f32_e32 v27, 0xbfb8aa3b, v12
	v_fma_f32 v28, v12, s3, -v27
	v_rndne_f32_e32 v29, v27
	v_exp_f32_e32 v7, v7
	v_fmac_f32_e32 v28, 0xb2a5705f, v12
	v_sub_f32_e32 v27, v27, v29
	v_add_f32_e32 v27, v27, v28
	v_exp_f32_e32 v27, v27
	v_cvt_i32_f32_e32 v28, v29
	v_div_fmas_f32 v18, v4, v18, v6
	v_ldexp_f32 v6, v7, v23
	v_cmp_nlt_f32_e32 vcc, s2, v26
	v_cndmask_b32_e32 v6, 0, v6, vcc
	v_cmp_ngt_f32_e32 vcc, s6, v26
	v_ldexp_f32 v23, v27, v28
	v_cndmask_b32_e32 v7, v20, v6, vcc
	v_cmp_nlt_f32_e32 vcc, s2, v12
	v_cndmask_b32_e32 v6, 0, v23, vcc
	v_cmp_ngt_f32_e32 vcc, s6, v12
	v_cndmask_b32_e32 v6, v20, v6, vcc
	v_pk_add_f32 v[6:7], v[6:7], 1.0 op_sel_hi:[1,0]
	v_cvt_f32_u32_sdwa v5, v8 dst_sel:DWORD dst_unused:UNUSED_PAD src0_sel:WORD_1
	v_cvt_f32_u32_sdwa v4, v8 dst_sel:DWORD dst_unused:UNUSED_PAD src0_sel:WORD_0
	v_div_scale_f32 v8, s[0:1], v7, v7, 1.0
	v_rcp_f32_e32 v12, v8
	v_div_fixup_f32 v26, v18, v10, 1.0
	v_div_fixup_f32 v27, v19, v11, 1.0
	global_store_dwordx4 v[16:17], v[24:27], off
	v_fma_f32 v10, -v8, v12, 1.0
	v_fmac_f32_e32 v12, v10, v12
	v_div_scale_f32 v10, vcc, 1.0, v7, 1.0
	v_mul_f32_e32 v11, v10, v12
	v_fma_f32 v18, -v8, v11, v10
	v_fmac_f32_e32 v11, v18, v12
	v_fma_f32 v8, -v8, v11, v10
	v_div_scale_f32 v10, s[0:1], v6, v6, 1.0
	v_rcp_f32_e32 v18, v10
	v_div_fmas_f32 v8, v8, v12, v11
	v_div_fixup_f32 v11, v8, v7, 1.0
	v_cvt_f32_u32_sdwa v12, v13 dst_sel:DWORD dst_unused:UNUSED_PAD src0_sel:WORD_0
	v_fma_f32 v7, -v10, v18, 1.0
	v_fmac_f32_e32 v18, v7, v18
	v_cvt_f32_u32_sdwa v7, v13 dst_sel:DWORD dst_unused:UNUSED_PAD src0_sel:WORD_1
	v_div_scale_f32 v8, vcc, 1.0, v6, 1.0
	v_mul_f32_e32 v19, v8, v18
	v_mul_f32_e32 v13, 0xbfb8aa3b, v7
	v_fma_f32 v23, v7, s3, -v13
	v_rndne_f32_e32 v24, v13
	v_fmac_f32_e32 v23, 0xb2a5705f, v7
	v_sub_f32_e32 v13, v13, v24
	v_add_f32_e32 v13, v13, v23
	v_exp_f32_e32 v13, v13
	v_cvt_i32_f32_e32 v23, v24
	v_fma_f32 v24, -v10, v19, v8
	v_fmac_f32_e32 v19, v24, v18
	v_fma_f32 v8, -v10, v19, v8
	v_ldexp_f32 v10, v13, v23
	v_mul_f32_e32 v13, 0xbfb8aa3b, v12
	v_fma_f32 v23, v12, s3, -v13
	v_rndne_f32_e32 v24, v13
	v_fmac_f32_e32 v23, 0xb2a5705f, v12
	v_sub_f32_e32 v13, v13, v24
	v_add_f32_e32 v13, v13, v23
	v_exp_f32_e32 v23, v13
	v_cvt_i32_f32_e32 v24, v24
	v_cmp_nlt_f32_e64 s[0:1], s2, v7
	v_cndmask_b32_e64 v10, 0, v10, s[0:1]
	v_cmp_ngt_f32_e64 s[0:1], s6, v7
	v_cndmask_b32_e64 v13, v20, v10, s[0:1]
	v_ldexp_f32 v7, v23, v24
	v_cmp_nlt_f32_e64 s[0:1], s2, v12
	v_cndmask_b32_e64 v7, 0, v7, s[0:1]
	v_cmp_ngt_f32_e64 s[0:1], s6, v12
	v_cndmask_b32_e64 v12, v20, v7, s[0:1]
	v_pk_add_f32 v[12:13], v[12:13], 1.0 op_sel_hi:[1,0]
	v_div_scale_f32 v7, s[0:1], v13, v13, 1.0
	v_rcp_f32_e32 v23, v7
	v_div_fmas_f32 v8, v8, v18, v19
	v_div_fixup_f32 v10, v8, v6, 1.0
	v_fma_f32 v6, -v7, v23, 1.0
	v_fmac_f32_e32 v23, v6, v23
	v_div_scale_f32 v6, vcc, 1.0, v13, 1.0
	v_mul_f32_e32 v8, v6, v23
	v_fma_f32 v18, -v7, v8, v6
	v_fmac_f32_e32 v8, v18, v23
	v_div_scale_f32 v18, s[0:1], v12, v12, 1.0
	v_rcp_f32_e32 v19, v18
	v_fma_f32 v6, -v7, v8, v6
	v_div_fmas_f32 v6, v6, v23, v8
	v_div_fixup_f32 v13, v6, v13, 1.0
	v_fma_f32 v7, -v18, v19, 1.0
	v_fmac_f32_e32 v19, v7, v19
	v_div_scale_f32 v7, vcc, 1.0, v12, 1.0
	v_mul_f32_e32 v8, v7, v19
	v_fma_f32 v23, -v18, v8, v7
	v_fmac_f32_e32 v8, v23, v19
	v_fma_f32 v7, -v18, v8, v7
	v_div_fmas_f32 v8, v7, v19, v8
	v_cmp_lt_f32_e32 vcc, v14, v15
	v_div_fixup_f32 v12, v8, v12, 1.0
	v_cndmask_b32_e32 v8, v14, v15, vcc
	v_cmp_lt_f32_e64 s[0:1], v8, v2
	v_cndmask_b32_e64 v8, v8, v2, s[0:1]
	v_cmp_lt_f32_e64 s[2:3], v8, v3
	v_cndmask_b32_e64 v8, v8, v3, s[2:3]
	v_cvt_f32_u32_sdwa v6, v9 dst_sel:DWORD dst_unused:UNUSED_PAD src0_sel:WORD_0
	v_cmp_lt_f32_e64 s[6:7], v8, v4
	v_cndmask_b32_e64 v8, v8, v4, s[6:7]
	v_cvt_f32_u32_sdwa v7, v9 dst_sel:DWORD dst_unused:UNUSED_PAD src0_sel:WORD_1
	v_cmp_lt_f32_e64 s[8:9], v8, v5
	v_cndmask_b32_e64 v8, v8, v5, s[8:9]
	v_cmp_lt_f32_e64 s[10:11], v8, v6
	v_cndmask_b32_e64 v8, v8, v6, s[10:11]
	v_cmp_lt_f32_e64 s[12:13], v8, v7
	v_mov_b32_e32 v9, 0
	v_cndmask_b32_e64 v8, v8, v7, s[12:13]
	global_store_dwordx4 v[16:17], v[10:13], off offset:16
	s_cbranch_scc1 .LBB247_8
; %bb.5:
	s_load_dwordx4 s[24:27], s[4:5], 0x20
	v_mul_lo_u32 v10, v1, s14
	v_ashrrev_i32_e32 v11, 31, v10
	v_lshlrev_b64 v[12:13], 2, v[10:11]
	v_sub_f32_e32 v23, v8, v8
	s_waitcnt lgkmcnt(0)
	v_mov_b32_e32 v9, s25
	v_add_co_u32_e64 v10, s[4:5], s24, v12
	v_addc_co_u32_e64 v11, s[4:5], v9, v13, s[4:5]
	v_cndmask_b32_e64 v9, 0, 1, vcc
	v_cndmask_b32_e64 v9, v9, 2, s[0:1]
	v_cndmask_b32_e64 v9, v9, 3, s[2:3]
	v_cndmask_b32_e64 v9, v9, 4, s[6:7]
	v_cndmask_b32_e64 v9, v9, 5, s[8:9]
	v_cndmask_b32_e64 v9, v9, 6, s[10:11]
	v_cndmask_b32_e64 v9, v9, 7, s[12:13]
	v_cmp_le_i32_e32 vcc, s21, v9
	v_cmp_gt_i32_e64 s[0:1], s22, v9
	s_and_b64 s[0:1], vcc, s[0:1]
	v_subrev_u32_e32 v16, s21, v9
	s_and_b64 vcc, s[28:29], s[0:1]
	v_cndmask_b32_e32 v16, 8, v16, vcc
	global_store_dword v[10:11], v16, off
	v_mul_lo_u32 v10, v1, s20
	v_ashrrev_i32_e32 v11, 31, v10
	v_lshlrev_b64 v[10:11], 2, v[10:11]
	v_mov_b32_e32 v17, s27
	v_add_co_u32_e32 v16, vcc, s26, v10
	v_addc_co_u32_e32 v17, vcc, v17, v11, vcc
	global_store_dword v[16:17], v1, off
	v_mul_f32_e32 v1, 0x3fb8aa3b, v23
	s_mov_b32 s23, 0x3fb8aa3b
	v_rndne_f32_e32 v16, v1
	v_sub_f32_e32 v17, v1, v16
	v_fma_f32 v1, v23, s23, -v1
	v_fmac_f32_e32 v1, 0x32a5705f, v23
	v_add_f32_e32 v1, v17, v1
	v_exp_f32_e32 v1, v1
	v_cvt_i32_f32_e32 v16, v16
	v_mov_b32_e32 v19, s19
	s_mov_b32 s35, 0xc2ce8ed0
	v_cmp_ngt_f32_e64 s[16:17], s35, v23
	v_ldexp_f32 v24, v1, v16
	v_ashrrev_i32_e32 v1, 31, v0
	v_lshlrev_b64 v[16:17], 2, v[0:1]
	v_add_co_u32_e32 v18, vcc, s18, v16
	v_addc_co_u32_e64 v19, s[0:1], v19, v17, vcc
	s_mov_b32 s36, 0x42b17218
	v_mov_b32_e32 v1, 0xff800000
	v_cmp_ne_u32_e64 s[0:1], 7, v9
	v_cmp_ne_u32_e64 s[2:3], 6, v9
	;; [unrolled: 1-line block ×8, first 2 shown]
	v_cndmask_b32_e64 v9, 0, v24, s[16:17]
	v_cmp_nlt_f32_e64 s[16:17], s36, v23
	v_cndmask_b32_e64 v9, v20, v9, s[16:17]
	v_cndmask_b32_e64 v7, v1, v7, s[0:1]
	;; [unrolled: 1-line block ×8, first 2 shown]
	s_cmp_eq_u32 s20, 1
	v_cndmask_b32_e64 v14, v1, v14, s[14:15]
	global_store_dword v[18:19], v9, off
	s_cbranch_scc1 .LBB247_8
; %bb.6:
	v_mov_b32_e32 v16, s27
	v_add_co_u32_e64 v10, s[0:1], s26, v10
	v_addc_co_u32_e64 v11, s[0:1], v11, v16, s[0:1]
	v_add_co_u32_e64 v10, s[0:1], 4, v10
	v_addc_co_u32_e64 v11, s[0:1], 0, v11, s[0:1]
	v_mov_b32_e32 v16, s25
	v_add_co_u32_e64 v12, s[0:1], s24, v12
	v_addc_co_u32_e64 v13, s[0:1], v13, v16, s[0:1]
	v_mov_b32_e32 v16, s19
	v_addc_co_u32_e32 v17, vcc, v17, v16, vcc
	v_add_co_u32_e64 v12, s[0:1], 4, v12
	v_add_co_u32_e32 v16, vcc, 4, v18
	s_add_i32 s34, s34, s33
	v_addc_co_u32_e64 v13, s[0:1], 0, v13, s[0:1]
	v_addc_co_u32_e32 v17, vcc, 0, v17, vcc
	s_add_i32 s24, s20, -1
	v_add3_u32 v18, s34, v22, v21
	v_mov_b32_e32 v19, 0x7f800000
.LBB247_7:                              ; =>This Inner Loop Header: Depth=1
	v_cmp_gt_f32_e32 vcc, v15, v14
	v_cndmask_b32_e32 v21, v14, v15, vcc
	v_cmp_gt_f32_e64 s[0:1], v2, v21
	v_cndmask_b32_e64 v21, v21, v2, s[0:1]
	v_cmp_gt_f32_e64 s[2:3], v3, v21
	v_cndmask_b32_e64 v21, v21, v3, s[2:3]
	v_cmp_gt_f32_e64 s[4:5], v4, v21
	v_cndmask_b32_e64 v21, v21, v4, s[4:5]
	v_cmp_gt_f32_e64 s[6:7], v5, v21
	v_cndmask_b32_e64 v21, v21, v5, s[6:7]
	v_cmp_gt_f32_e64 s[8:9], v6, v21
	v_cndmask_b32_e64 v21, v21, v6, s[8:9]
	v_cmp_gt_f32_e64 s[10:11], v7, v21
	v_cndmask_b32_e64 v21, v21, v7, s[10:11]
	v_sub_f32_e32 v21, v21, v8
	v_mul_f32_e32 v22, 0x3fb8aa3b, v21
	v_fma_f32 v23, v21, s23, -v22
	v_rndne_f32_e32 v24, v22
	v_fmac_f32_e32 v23, 0x32a5705f, v21
	v_sub_f32_e32 v22, v22, v24
	v_add_f32_e32 v22, v22, v23
	v_cndmask_b32_e64 v23, 0, 1, vcc
	v_cndmask_b32_e64 v23, v23, 2, s[0:1]
	v_cndmask_b32_e64 v23, v23, 3, s[2:3]
	;; [unrolled: 1-line block ×6, first 2 shown]
	v_cmp_le_i32_e32 vcc, s21, v23
	v_cmp_gt_i32_e64 s[0:1], s22, v23
	s_and_b64 s[0:1], vcc, s[0:1]
	v_cmp_ne_u32_e64 s[2:3], 7, v23
	v_cmp_ne_u32_e64 s[4:5], 6, v23
	;; [unrolled: 1-line block ×8, first 2 shown]
	v_subrev_u32_e32 v23, s21, v23
	s_and_b64 vcc, s[28:29], s[0:1]
	v_cndmask_b32_e32 v23, 8, v23, vcc
	global_store_dword v[12:13], v23, off
	v_cvt_i32_f32_e32 v23, v24
	v_exp_f32_e32 v22, v22
	v_cmp_ngt_f32_e32 vcc, s35, v21
	global_store_dword v[10:11], v18, off
	s_add_i32 s24, s24, -1
	v_ldexp_f32 v22, v22, v23
	v_cndmask_b32_e32 v22, 0, v22, vcc
	v_cmp_nlt_f32_e32 vcc, s36, v21
	v_cndmask_b32_e32 v21, v19, v22, vcc
	v_add_co_u32_e32 v10, vcc, 4, v10
	v_addc_co_u32_e32 v11, vcc, 0, v11, vcc
	v_add_co_u32_e32 v12, vcc, 4, v12
	v_addc_co_u32_e32 v13, vcc, 0, v13, vcc
	global_store_dword v[16:17], v21, off
	v_add_co_u32_e32 v16, vcc, 4, v16
	v_add_f32_e32 v9, v9, v21
	v_cndmask_b32_e64 v7, v1, v7, s[2:3]
	v_cndmask_b32_e64 v6, v1, v6, s[4:5]
	;; [unrolled: 1-line block ×8, first 2 shown]
	v_add_u32_e32 v18, s33, v18
	s_cmp_eq_u32 s24, 0
	v_addc_co_u32_e32 v17, vcc, 0, v17, vcc
	s_cbranch_scc0 .LBB247_7
.LBB247_8:
	v_pk_add_f32 v[10:11], v[14:15], v[8:9] op_sel_hi:[1,0] neg_lo:[0,1] neg_hi:[0,1]
	s_mov_b32 s0, 0x3fb8aa3b
	v_mul_f32_e32 v1, 0x3fb8aa3b, v11
	v_fma_f32 v12, v11, s0, -v1
	v_rndne_f32_e32 v13, v1
	v_fmac_f32_e32 v12, 0x32a5705f, v11
	v_sub_f32_e32 v1, v1, v13
	v_add_f32_e32 v1, v1, v12
	v_exp_f32_e32 v1, v1
	v_cvt_i32_f32_e32 v12, v13
	s_mov_b32 s1, 0xc2ce8ed0
	v_cmp_ngt_f32_e32 vcc, s1, v11
	s_mov_b32 s2, 0x42b17218
	v_ldexp_f32 v1, v1, v12
	v_mul_f32_e32 v12, 0x3fb8aa3b, v10
	v_fma_f32 v13, v10, s0, -v12
	v_rndne_f32_e32 v14, v12
	v_fmac_f32_e32 v13, 0x32a5705f, v10
	v_sub_f32_e32 v12, v12, v14
	v_add_f32_e32 v12, v12, v13
	v_exp_f32_e32 v12, v12
	v_cvt_i32_f32_e32 v13, v14
	v_sub_f32_e32 v2, v2, v8
	v_cndmask_b32_e32 v1, 0, v1, vcc
	v_cmp_nlt_f32_e32 vcc, s2, v11
	v_ldexp_f32 v11, v12, v13
	v_mul_f32_e32 v12, 0x3fb8aa3b, v2
	v_fma_f32 v13, v2, s0, -v12
	v_rndne_f32_e32 v14, v12
	v_fmac_f32_e32 v13, 0x32a5705f, v2
	v_sub_f32_e32 v12, v12, v14
	v_add_f32_e32 v12, v12, v13
	v_exp_f32_e32 v12, v12
	v_cvt_i32_f32_e32 v13, v14
	v_cndmask_b32_e32 v1, v20, v1, vcc
	v_cmp_ngt_f32_e32 vcc, s1, v10
	v_cndmask_b32_e32 v11, 0, v11, vcc
	v_cmp_nlt_f32_e32 vcc, s2, v10
	v_sub_f32_e32 v3, v3, v8
	v_cndmask_b32_e32 v10, v20, v11, vcc
	v_mul_f32_e32 v11, 0x3fb8aa3b, v3
	v_add_f32_e32 v1, v10, v1
	v_ldexp_f32 v10, v12, v13
	v_fma_f32 v12, v3, s0, -v11
	v_rndne_f32_e32 v13, v11
	v_fmac_f32_e32 v12, 0x32a5705f, v3
	v_sub_f32_e32 v11, v11, v13
	v_add_f32_e32 v11, v11, v12
	v_exp_f32_e32 v11, v11
	v_cvt_i32_f32_e32 v12, v13
	v_cmp_ngt_f32_e32 vcc, s1, v2
	v_cndmask_b32_e32 v10, 0, v10, vcc
	v_cmp_nlt_f32_e32 vcc, s2, v2
	v_sub_f32_e32 v4, v4, v8
	v_cndmask_b32_e32 v2, v20, v10, vcc
	v_mul_f32_e32 v10, 0x3fb8aa3b, v4
	v_add_f32_e32 v1, v1, v2
	v_ldexp_f32 v2, v11, v12
	v_fma_f32 v11, v4, s0, -v10
	v_rndne_f32_e32 v12, v10
	v_fmac_f32_e32 v11, 0x32a5705f, v4
	v_sub_f32_e32 v10, v10, v12
	v_add_f32_e32 v10, v10, v11
	v_exp_f32_e32 v10, v10
	v_cvt_i32_f32_e32 v11, v12
	;; [unrolled: 15-line block ×3, first 2 shown]
	v_cmp_ngt_f32_e32 vcc, s1, v4
	v_cndmask_b32_e32 v2, 0, v2, vcc
	v_cmp_nlt_f32_e32 vcc, s2, v4
	v_cndmask_b32_e32 v2, v20, v2, vcc
	v_sub_f32_e32 v4, v6, v8
	v_add_f32_e32 v1, v1, v2
	v_ldexp_f32 v2, v5, v10
	v_mul_f32_e32 v5, 0x3fb8aa3b, v4
	v_fma_f32 v6, v4, s0, -v5
	v_rndne_f32_e32 v10, v5
	v_fmac_f32_e32 v6, 0x32a5705f, v4
	v_sub_f32_e32 v5, v5, v10
	v_add_f32_e32 v5, v5, v6
	v_exp_f32_e32 v5, v5
	v_cvt_i32_f32_e32 v6, v10
	v_cmp_ngt_f32_e32 vcc, s1, v3
	v_cndmask_b32_e32 v2, 0, v2, vcc
	v_cmp_nlt_f32_e32 vcc, s2, v3
	v_cndmask_b32_e32 v2, v20, v2, vcc
	v_sub_f32_e32 v3, v7, v8
	v_add_f32_e32 v1, v1, v2
	v_ldexp_f32 v2, v5, v6
	v_mul_f32_e32 v5, 0x3fb8aa3b, v3
	v_fma_f32 v6, v3, s0, -v5
	v_rndne_f32_e32 v7, v5
	v_fmac_f32_e32 v6, 0x32a5705f, v3
	v_sub_f32_e32 v5, v5, v7
	v_add_f32_e32 v5, v5, v6
	v_exp_f32_e32 v5, v5
	v_cvt_i32_f32_e32 v6, v7
	v_cmp_ngt_f32_e32 vcc, s1, v4
	v_cndmask_b32_e32 v2, 0, v2, vcc
	v_cmp_nlt_f32_e32 vcc, s2, v4
	v_cndmask_b32_e32 v2, v20, v2, vcc
	v_add_f32_e32 v1, v1, v2
	v_ldexp_f32 v2, v5, v6
	v_cmp_ngt_f32_e32 vcc, s1, v3
	v_cndmask_b32_e32 v2, 0, v2, vcc
	v_cmp_nlt_f32_e32 vcc, s2, v3
	v_cndmask_b32_e32 v2, v20, v2, vcc
	v_add_f32_e32 v1, v1, v2
	v_add_f32_e32 v1, v9, v1
	v_cmp_neq_f32_e32 vcc, 0, v1
	s_and_b64 exec, exec, vcc
	s_cbranch_execz .LBB247_19
; %bb.9:
	s_andn2_b64 vcc, exec, s[30:31]
	s_cbranch_vccnz .LBB247_19
; %bb.10:
	v_div_scale_f32 v2, s[0:1], v1, v1, 1.0
	v_rcp_f32_e32 v3, v2
	v_div_scale_f32 v4, vcc, 1.0, v1, 1.0
	s_cmp_gt_u32 s20, 3
	v_fma_f32 v5, -v2, v3, 1.0
	v_fmac_f32_e32 v3, v5, v3
	v_mul_f32_e32 v5, v4, v3
	v_fma_f32 v6, -v2, v5, v4
	v_fmac_f32_e32 v5, v6, v3
	v_fma_f32 v2, -v2, v5, v4
	v_div_fmas_f32 v2, v2, v3, v5
	v_div_fixup_f32 v2, v2, v1, 1.0
	v_ashrrev_i32_e32 v1, 31, v0
	s_cbranch_scc0 .LBB247_14
; %bb.11:
	v_lshlrev_b64 v[4:5], 2, v[0:1]
	v_mov_b32_e32 v6, s19
	v_add_co_u32_e32 v4, vcc, s18, v4
	v_addc_co_u32_e32 v5, vcc, v5, v6, vcc
	s_and_b32 s4, s20, 0x7ffffffc
	v_add_co_u32_e32 v4, vcc, 8, v4
	v_mov_b32_e32 v3, v2
	v_addc_co_u32_e32 v5, vcc, 0, v5, vcc
	s_mov_b32 s0, s4
.LBB247_12:                             ; =>This Inner Loop Header: Depth=1
	global_load_dwordx4 v[6:9], v[4:5], off offset:-8
	s_add_i32 s0, s0, -4
	s_cmp_lg_u32 s0, 0
	s_waitcnt vmcnt(0)
	v_pk_mul_f32 v[6:7], v[2:3], v[6:7]
	v_pk_mul_f32 v[8:9], v[2:3], v[8:9]
	global_store_dwordx4 v[4:5], v[6:9], off offset:-8
	v_add_co_u32_e32 v4, vcc, 16, v4
	v_addc_co_u32_e32 v5, vcc, 0, v5, vcc
	s_cbranch_scc1 .LBB247_12
; %bb.13:
	s_cmp_lg_u32 s4, s20
	s_cselect_b64 s[0:1], -1, 0
	s_branch .LBB247_16
.LBB247_14:
	s_mov_b64 s[0:1], 0
                                        ; implicit-def: $sgpr4
	s_cbranch_execz .LBB247_16
; %bb.15:
	s_mov_b64 s[0:1], -1
	s_mov_b32 s4, 0
.LBB247_16:
	s_andn2_b64 vcc, exec, s[0:1]
	s_cbranch_vccnz .LBB247_19
; %bb.17:
	v_add_co_u32_e32 v0, vcc, s4, v0
	v_addc_co_u32_e32 v1, vcc, 0, v1, vcc
	v_lshlrev_b64 v[0:1], 2, v[0:1]
	v_mov_b32_e32 v3, s19
	v_add_co_u32_e32 v0, vcc, s18, v0
	s_sub_i32 s0, s20, s4
	v_addc_co_u32_e32 v1, vcc, v3, v1, vcc
.LBB247_18:                             ; =>This Inner Loop Header: Depth=1
	global_load_dword v3, v[0:1], off
	s_add_i32 s0, s0, -1
	s_cmp_lg_u32 s0, 0
	s_waitcnt vmcnt(0)
	v_mul_f32_e32 v3, v2, v3
	global_store_dword v[0:1], v3, off
	v_add_co_u32_e32 v0, vcc, 4, v0
	v_addc_co_u32_e32 v1, vcc, 0, v1, vcc
	s_cbranch_scc1 .LBB247_18
.LBB247_19:
	s_endpgm
	.section	.rodata,"a",@progbits
	.p2align	6, 0x0
	.amdhsa_kernel _ZN4vllm3moe17topkGatingSoftmaxItLi8ELi8ELi8ELi16ELb0ELi8ELNS0_23SharedExpertScoringFuncE1EEEvPKT_PKbPfiPiS9_iiiiii
		.amdhsa_group_segment_fixed_size 0
		.amdhsa_private_segment_fixed_size 0
		.amdhsa_kernarg_size 72
		.amdhsa_user_sgpr_count 6
		.amdhsa_user_sgpr_private_segment_buffer 1
		.amdhsa_user_sgpr_dispatch_ptr 0
		.amdhsa_user_sgpr_queue_ptr 0
		.amdhsa_user_sgpr_kernarg_segment_ptr 1
		.amdhsa_user_sgpr_dispatch_id 0
		.amdhsa_user_sgpr_flat_scratch_init 0
		.amdhsa_user_sgpr_kernarg_preload_length 0
		.amdhsa_user_sgpr_kernarg_preload_offset 0
		.amdhsa_user_sgpr_private_segment_size 0
		.amdhsa_uses_dynamic_stack 0
		.amdhsa_system_sgpr_private_segment_wavefront_offset 0
		.amdhsa_system_sgpr_workgroup_id_x 1
		.amdhsa_system_sgpr_workgroup_id_y 0
		.amdhsa_system_sgpr_workgroup_id_z 0
		.amdhsa_system_sgpr_workgroup_info 0
		.amdhsa_system_vgpr_workitem_id 1
		.amdhsa_next_free_vgpr 32
		.amdhsa_next_free_sgpr 37
		.amdhsa_accum_offset 32
		.amdhsa_reserve_vcc 1
		.amdhsa_reserve_flat_scratch 0
		.amdhsa_float_round_mode_32 0
		.amdhsa_float_round_mode_16_64 0
		.amdhsa_float_denorm_mode_32 3
		.amdhsa_float_denorm_mode_16_64 3
		.amdhsa_dx10_clamp 1
		.amdhsa_ieee_mode 1
		.amdhsa_fp16_overflow 0
		.amdhsa_tg_split 0
		.amdhsa_exception_fp_ieee_invalid_op 0
		.amdhsa_exception_fp_denorm_src 0
		.amdhsa_exception_fp_ieee_div_zero 0
		.amdhsa_exception_fp_ieee_overflow 0
		.amdhsa_exception_fp_ieee_underflow 0
		.amdhsa_exception_fp_ieee_inexact 0
		.amdhsa_exception_int_div_zero 0
	.end_amdhsa_kernel
	.section	.text._ZN4vllm3moe17topkGatingSoftmaxItLi8ELi8ELi8ELi16ELb0ELi8ELNS0_23SharedExpertScoringFuncE1EEEvPKT_PKbPfiPiS9_iiiiii,"axG",@progbits,_ZN4vllm3moe17topkGatingSoftmaxItLi8ELi8ELi8ELi16ELb0ELi8ELNS0_23SharedExpertScoringFuncE1EEEvPKT_PKbPfiPiS9_iiiiii,comdat
.Lfunc_end247:
	.size	_ZN4vllm3moe17topkGatingSoftmaxItLi8ELi8ELi8ELi16ELb0ELi8ELNS0_23SharedExpertScoringFuncE1EEEvPKT_PKbPfiPiS9_iiiiii, .Lfunc_end247-_ZN4vllm3moe17topkGatingSoftmaxItLi8ELi8ELi8ELi16ELb0ELi8ELNS0_23SharedExpertScoringFuncE1EEEvPKT_PKbPfiPiS9_iiiiii
                                        ; -- End function
	.section	.AMDGPU.csdata,"",@progbits
; Kernel info:
; codeLenInByte = 3732
; NumSgprs: 41
; NumVgprs: 32
; NumAgprs: 0
; TotalNumVgprs: 32
; ScratchSize: 0
; MemoryBound: 0
; FloatMode: 240
; IeeeMode: 1
; LDSByteSize: 0 bytes/workgroup (compile time only)
; SGPRBlocks: 5
; VGPRBlocks: 3
; NumSGPRsForWavesPerEU: 41
; NumVGPRsForWavesPerEU: 32
; AccumOffset: 32
; Occupancy: 8
; WaveLimiterHint : 0
; COMPUTE_PGM_RSRC2:SCRATCH_EN: 0
; COMPUTE_PGM_RSRC2:USER_SGPR: 6
; COMPUTE_PGM_RSRC2:TRAP_HANDLER: 0
; COMPUTE_PGM_RSRC2:TGID_X_EN: 1
; COMPUTE_PGM_RSRC2:TGID_Y_EN: 0
; COMPUTE_PGM_RSRC2:TGID_Z_EN: 0
; COMPUTE_PGM_RSRC2:TIDIG_COMP_CNT: 1
; COMPUTE_PGM_RSRC3_GFX90A:ACCUM_OFFSET: 7
; COMPUTE_PGM_RSRC3_GFX90A:TG_SPLIT: 0
	.section	.text._ZN4vllm3moe17topkGatingSoftmaxItLi16ELi16ELi8ELi32ELb1ELi0ELNS0_23SharedExpertScoringFuncE0EEEvPKT_PKbPfiPiS9_iiiiii,"axG",@progbits,_ZN4vllm3moe17topkGatingSoftmaxItLi16ELi16ELi8ELi32ELb1ELi0ELNS0_23SharedExpertScoringFuncE0EEEvPKT_PKbPfiPiS9_iiiiii,comdat
	.protected	_ZN4vllm3moe17topkGatingSoftmaxItLi16ELi16ELi8ELi32ELb1ELi0ELNS0_23SharedExpertScoringFuncE0EEEvPKT_PKbPfiPiS9_iiiiii ; -- Begin function _ZN4vllm3moe17topkGatingSoftmaxItLi16ELi16ELi8ELi32ELb1ELi0ELNS0_23SharedExpertScoringFuncE0EEEvPKT_PKbPfiPiS9_iiiiii
	.globl	_ZN4vllm3moe17topkGatingSoftmaxItLi16ELi16ELi8ELi32ELb1ELi0ELNS0_23SharedExpertScoringFuncE0EEEvPKT_PKbPfiPiS9_iiiiii
	.p2align	8
	.type	_ZN4vllm3moe17topkGatingSoftmaxItLi16ELi16ELi8ELi32ELb1ELi0ELNS0_23SharedExpertScoringFuncE0EEEvPKT_PKbPfiPiS9_iiiiii,@function
_ZN4vllm3moe17topkGatingSoftmaxItLi16ELi16ELi8ELi32ELb1ELi0ELNS0_23SharedExpertScoringFuncE0EEEvPKT_PKbPfiPiS9_iiiiii: ; @_ZN4vllm3moe17topkGatingSoftmaxItLi16ELi16ELi8ELi32ELb1ELi0ELNS0_23SharedExpertScoringFuncE0EEEvPKT_PKbPfiPiS9_iiiiii
; %bb.0:
	s_load_dword s33, s[4:5], 0x18
	v_bfe_u32 v1, v0, 10, 10
	s_lshl_b32 s34, s6, 9
	v_lshlrev_b32_e32 v8, 6, v1
	v_and_b32_e32 v9, 0x3ff, v0
	v_add3_u32 v22, v8, v9, s34
	s_waitcnt lgkmcnt(0)
	v_cmp_gt_i32_e32 vcc, s33, v22
	s_and_saveexec_b64 s[0:1], vcc
	s_cbranch_execz .LBB248_20
; %bb.1:
	s_load_dwordx4 s[0:3], s[4:5], 0x0
	s_load_dwordx2 s[40:41], s[4:5], 0x10
	s_waitcnt lgkmcnt(0)
	s_cmp_eq_u64 s[2:3], 0
	s_cbranch_scc1 .LBB248_3
; %bb.2:
	v_ashrrev_i32_e32 v1, 31, v22
	v_mov_b32_e32 v2, s3
	v_add_co_u32_e32 v0, vcc, s2, v22
	v_addc_co_u32_e32 v1, vcc, v2, v1, vcc
	global_load_ubyte v0, v[0:1], off
	s_waitcnt vmcnt(0)
	v_and_b32_e32 v0, 1, v0
	v_cmp_eq_u32_e32 vcc, 1, v0
	s_xor_b64 s[2:3], vcc, -1
	s_orn2_b64 s[44:45], s[2:3], exec
	s_branch .LBB248_4
.LBB248_3:
	s_mov_b64 s[44:45], -1
.LBB248_4:
	s_load_dwordx4 s[36:39], s[4:5], 0x30
	s_waitcnt lgkmcnt(0)
	s_cmp_gt_i32 s36, 0
	s_cselect_b64 s[42:43], -1, 0
	s_cmp_lt_i32 s36, 1
	s_cbranch_scc1 .LBB248_9
; %bb.5:
	s_load_dwordx2 s[2:3], s[4:5], 0x40
	s_load_dwordx4 s[28:31], s[4:5], 0x20
	v_mov_b32_e32 v2, s1
	v_mov_b32_e32 v6, s41
	s_mov_b32 s46, 0x3fb8aa3b
	s_waitcnt lgkmcnt(0)
	v_mul_lo_u32 v0, v22, s3
	v_ashrrev_i32_e32 v1, 31, v0
	v_lshlrev_b64 v[0:1], 1, v[0:1]
	v_add_co_u32_e32 v0, vcc, s0, v0
	v_addc_co_u32_e32 v1, vcc, v2, v1, vcc
	global_load_dwordx4 v[10:13], v[0:1], off
	global_load_dwordx4 v[14:17], v[0:1], off offset:16
	v_mul_lo_u32 v0, v22, s39
	v_mul_lo_u32 v2, v22, s36
	v_ashrrev_i32_e32 v1, 31, v0
	v_ashrrev_i32_e32 v3, 31, v2
	v_lshlrev_b64 v[0:1], 2, v[0:1]
	v_lshlrev_b64 v[4:5], 2, v[2:3]
	v_add_co_u32_e32 v2, vcc, s40, v0
	v_addc_co_u32_e64 v3, s[0:1], v6, v1, vcc
	v_mul_lo_u32 v6, v22, s2
	v_mov_b32_e32 v19, s31
	v_ashrrev_i32_e32 v7, 31, v6
	v_add_co_u32_e64 v18, s[0:1], s30, v4
	v_addc_co_u32_e64 v19, s[0:1], v19, v5, s[0:1]
	v_lshlrev_b64 v[6:7], 2, v[6:7]
	v_mov_b32_e32 v0, s29
	v_add_co_u32_e64 v20, s[0:1], s28, v6
	v_addc_co_u32_e64 v21, s[0:1], v0, v7, s[0:1]
	s_mov_b32 s47, 0xc2ce8ed0
	s_mov_b32 s48, 0x42b17218
	v_mov_b32_e32 v23, 0x7f800000
	s_waitcnt vmcnt(1)
	v_cvt_f32_u32_sdwa v0, v10 dst_sel:DWORD dst_unused:UNUSED_PAD src0_sel:WORD_1
	v_cvt_f32_u32_sdwa v28, v10 dst_sel:DWORD dst_unused:UNUSED_PAD src0_sel:WORD_0
	v_cvt_f32_u32_sdwa v30, v11 dst_sel:DWORD dst_unused:UNUSED_PAD src0_sel:WORD_0
	v_cvt_f32_u32_sdwa v29, v11 dst_sel:DWORD dst_unused:UNUSED_PAD src0_sel:WORD_1
	v_cvt_f32_u32_sdwa v31, v12 dst_sel:DWORD dst_unused:UNUSED_PAD src0_sel:WORD_1
	v_cmp_lt_f32_e64 s[0:1], v28, v0
	v_cvt_f32_u32_sdwa v32, v12 dst_sel:DWORD dst_unused:UNUSED_PAD src0_sel:WORD_0
	s_waitcnt vmcnt(0)
	v_cvt_f32_u32_sdwa v11, v16 dst_sel:DWORD dst_unused:UNUSED_PAD src0_sel:WORD_1
	v_cvt_f32_u32_sdwa v12, v16 dst_sel:DWORD dst_unused:UNUSED_PAD src0_sel:WORD_0
	v_cndmask_b32_e64 v16, v28, v0, s[0:1]
	v_cvt_f32_u32_sdwa v33, v13 dst_sel:DWORD dst_unused:UNUSED_PAD src0_sel:WORD_1
	v_cvt_f32_u32_sdwa v34, v13 dst_sel:DWORD dst_unused:UNUSED_PAD src0_sel:WORD_0
	v_cndmask_b32_e64 v13, 0, 1, s[0:1]
	v_cmp_lt_f32_e64 s[0:1], v16, v30
	v_cndmask_b32_e64 v16, v16, v30, s[0:1]
	v_cndmask_b32_e64 v13, v13, 2, s[0:1]
	v_cmp_lt_f32_e64 s[0:1], v16, v29
	v_cndmask_b32_e64 v16, v16, v29, s[0:1]
	;; [unrolled: 3-line block ×4, first 2 shown]
	v_cvt_f32_u32_sdwa v36, v14 dst_sel:DWORD dst_unused:UNUSED_PAD src0_sel:WORD_0
	v_cndmask_b32_e64 v13, v13, 5, s[0:1]
	v_cmp_lt_f32_e64 s[0:1], v16, v34
	v_cndmask_b32_e64 v16, v16, v34, s[0:1]
	v_cvt_f32_u32_sdwa v35, v14 dst_sel:DWORD dst_unused:UNUSED_PAD src0_sel:WORD_1
	v_cndmask_b32_e64 v13, v13, 6, s[0:1]
	v_cmp_lt_f32_e64 s[0:1], v16, v33
	v_cndmask_b32_e64 v16, v16, v33, s[0:1]
	v_cvt_f32_u32_sdwa v37, v15 dst_sel:DWORD dst_unused:UNUSED_PAD src0_sel:WORD_0
	v_cndmask_b32_e64 v13, v13, 7, s[0:1]
	v_cmp_lt_f32_e64 s[0:1], v16, v36
	v_cndmask_b32_e64 v16, v16, v36, s[0:1]
	v_cvt_f32_u32_sdwa v10, v15 dst_sel:DWORD dst_unused:UNUSED_PAD src0_sel:WORD_1
	v_cndmask_b32_e64 v13, v13, 8, s[0:1]
	v_cmp_lt_f32_e64 s[0:1], v16, v35
	v_cndmask_b32_e64 v16, v16, v35, s[0:1]
	v_cndmask_b32_e64 v13, v13, 9, s[0:1]
	v_cmp_lt_f32_e64 s[0:1], v16, v37
	v_cndmask_b32_e64 v16, v16, v37, s[0:1]
	;; [unrolled: 3-line block ×3, first 2 shown]
	v_cvt_f32_u32_sdwa v14, v17 dst_sel:DWORD dst_unused:UNUSED_PAD src0_sel:WORD_0
	v_cndmask_b32_e64 v13, v13, 11, s[0:1]
	v_cmp_lt_f32_e64 s[0:1], v16, v12
	v_cndmask_b32_e64 v16, v16, v12, s[0:1]
	v_cvt_f32_u32_sdwa v15, v17 dst_sel:DWORD dst_unused:UNUSED_PAD src0_sel:WORD_1
	v_cndmask_b32_e64 v13, v13, 12, s[0:1]
	v_cmp_lt_f32_e64 s[0:1], v16, v11
	v_cndmask_b32_e64 v16, v16, v11, s[0:1]
	v_cndmask_b32_e64 v13, v13, 13, s[0:1]
	v_cmp_lt_f32_e64 s[0:1], v16, v14
	v_cndmask_b32_e64 v16, v16, v14, s[0:1]
	;; [unrolled: 3-line block ×3, first 2 shown]
	v_sub_f32_e32 v17, v25, v25
	v_mul_f32_e32 v24, 0x3fb8aa3b, v17
	v_fma_f32 v26, v17, s46, -v24
	v_rndne_f32_e32 v27, v24
	v_fmac_f32_e32 v26, 0x32a5705f, v17
	v_sub_f32_e32 v24, v24, v27
	v_cndmask_b32_e64 v13, v13, 15, s[0:1]
	v_add_f32_e32 v24, v24, v26
	v_cmp_le_i32_e64 s[0:1], s37, v13
	v_cmp_gt_i32_e64 s[2:3], s38, v13
	v_cvt_i32_f32_e32 v27, v27
	v_exp_f32_e32 v24, v24
	s_and_b64 s[0:1], s[0:1], s[2:3]
	v_subrev_u32_e32 v16, s37, v13
	s_and_b64 s[0:1], s[44:45], s[0:1]
	v_cndmask_b32_e64 v16, 16, v16, s[0:1]
	global_store_dword v[20:21], v16, off
	v_ldexp_f32 v16, v24, v27
	v_cmp_ngt_f32_e64 s[0:1], s47, v17
	v_cndmask_b32_e64 v16, 0, v16, s[0:1]
	v_cmp_nlt_f32_e64 s[0:1], s48, v17
	s_cmp_eq_u32 s36, 1
	v_cndmask_b32_e64 v24, v23, v16, s[0:1]
	global_store_dword v[2:3], v24, off
	global_store_dword v[18:19], v22, off
	s_cbranch_scc1 .LBB248_8
; %bb.6:
	v_mov_b32_e32 v3, s31
	v_add_co_u32_e64 v4, s[26:27], s30, v4
	v_addc_co_u32_e64 v3, s[26:27], v5, v3, s[26:27]
	v_add_co_u32_e64 v16, s[26:27], 4, v4
	v_addc_co_u32_e64 v17, s[26:27], 0, v3, s[26:27]
	v_mov_b32_e32 v3, s29
	v_add_co_u32_e64 v4, s[26:27], s28, v6
	v_addc_co_u32_e64 v3, s[26:27], v7, v3, s[26:27]
	v_add_co_u32_e64 v18, s[26:27], 4, v4
	v_addc_co_u32_e64 v19, s[26:27], 0, v3, s[26:27]
	v_mov_b32_e32 v3, s41
	v_addc_co_u32_e32 v1, vcc, v1, v3, vcc
	v_mov_b32_e32 v26, 0xff800000
	v_cmp_ne_u32_e64 s[0:1], 15, v13
	v_add_co_u32_e32 v20, vcc, 4, v2
	v_cndmask_b32_e64 v15, v26, v15, s[0:1]
	v_cmp_ne_u32_e64 s[0:1], 14, v13
	v_addc_co_u32_e32 v21, vcc, 0, v1, vcc
	v_cndmask_b32_e64 v14, v26, v14, s[0:1]
	v_cmp_ne_u32_e64 s[0:1], 12, v13
	v_cmp_ne_u32_e64 s[2:3], 11, v13
	;; [unrolled: 1-line block ×13, first 2 shown]
	s_add_i32 s34, s34, s33
	v_cmp_ne_u32_e32 vcc, 13, v13
	s_add_i32 s49, s36, -1
	v_add3_u32 v27, s34, v9, v8
	v_cndmask_b32_e32 v13, v26, v11, vcc
	v_cndmask_b32_e64 v12, v26, v12, s[0:1]
	v_cndmask_b32_e64 v11, v26, v10, s[2:3]
	;; [unrolled: 1-line block ×13, first 2 shown]
.LBB248_7:                              ; =>This Inner Loop Header: Depth=1
	v_cmp_gt_f32_e32 vcc, v1, v0
	v_cndmask_b32_e32 v28, v0, v1, vcc
	v_cmp_gt_f32_e64 s[0:1], v2, v28
	v_cndmask_b32_e64 v28, v28, v2, s[0:1]
	v_cmp_gt_f32_e64 s[2:3], v3, v28
	v_cndmask_b32_e64 v28, v28, v3, s[2:3]
	;; [unrolled: 2-line block ×14, first 2 shown]
	v_sub_f32_e32 v28, v28, v25
	v_mul_f32_e32 v29, 0x3fb8aa3b, v28
	v_fma_f32 v30, v28, s46, -v29
	v_rndne_f32_e32 v31, v29
	v_fmac_f32_e32 v30, 0x32a5705f, v28
	v_sub_f32_e32 v29, v29, v31
	v_add_f32_e32 v29, v29, v30
	v_cndmask_b32_e64 v30, 0, 1, vcc
	v_cndmask_b32_e64 v30, v30, 2, s[0:1]
	v_cndmask_b32_e64 v30, v30, 3, s[2:3]
	;; [unrolled: 1-line block ×14, first 2 shown]
	v_cmp_le_i32_e32 vcc, s37, v30
	v_cmp_gt_i32_e64 s[0:1], s38, v30
	s_and_b64 s[0:1], vcc, s[0:1]
	v_cmp_ne_u32_e64 s[2:3], 15, v30
	v_cmp_ne_u32_e64 s[4:5], 14, v30
	;; [unrolled: 1-line block ×16, first 2 shown]
	v_subrev_u32_e32 v30, s37, v30
	s_and_b64 vcc, s[44:45], s[0:1]
	v_cndmask_b32_e32 v30, 16, v30, vcc
	global_store_dword v[18:19], v30, off
	v_cvt_i32_f32_e32 v30, v31
	v_exp_f32_e32 v29, v29
	v_cmp_ngt_f32_e32 vcc, s47, v28
	global_store_dword v[16:17], v27, off
	s_add_i32 s49, s49, -1
	v_ldexp_f32 v29, v29, v30
	v_cndmask_b32_e32 v29, 0, v29, vcc
	v_cmp_nlt_f32_e32 vcc, s48, v28
	v_cndmask_b32_e32 v28, v23, v29, vcc
	v_add_co_u32_e32 v16, vcc, 4, v16
	v_addc_co_u32_e32 v17, vcc, 0, v17, vcc
	v_add_co_u32_e32 v18, vcc, 4, v18
	v_addc_co_u32_e32 v19, vcc, 0, v19, vcc
	global_store_dword v[20:21], v28, off
	v_add_co_u32_e32 v20, vcc, 4, v20
	v_add_f32_e32 v24, v24, v28
	v_cndmask_b32_e64 v15, v26, v15, s[2:3]
	v_cndmask_b32_e64 v14, v26, v14, s[4:5]
	;; [unrolled: 1-line block ×16, first 2 shown]
	v_add_u32_e32 v27, s33, v27
	s_cmp_eq_u32 s49, 0
	v_addc_co_u32_e32 v21, vcc, 0, v21, vcc
	s_cbranch_scc0 .LBB248_7
.LBB248_8:
	v_cmp_neq_f32_e32 vcc, 0, v24
	s_and_b64 exec, exec, vcc
	s_cbranch_execnz .LBB248_10
	s_branch .LBB248_20
.LBB248_9:
	v_mov_b32_e32 v24, 0
	v_cmp_neq_f32_e32 vcc, 0, v24
	s_and_b64 exec, exec, vcc
	s_cbranch_execz .LBB248_20
.LBB248_10:
	s_andn2_b64 vcc, exec, s[42:43]
	s_cbranch_vccnz .LBB248_20
; %bb.11:
	v_div_scale_f32 v0, s[0:1], v24, v24, 1.0
	v_rcp_f32_e32 v1, v0
	v_div_scale_f32 v2, vcc, 1.0, v24, 1.0
	s_cmp_gt_u32 s36, 3
	v_fma_f32 v3, -v0, v1, 1.0
	v_fmac_f32_e32 v1, v3, v1
	v_mul_f32_e32 v3, v2, v1
	v_fma_f32 v4, -v0, v3, v2
	v_fmac_f32_e32 v3, v4, v1
	v_fma_f32 v0, -v0, v3, v2
	v_div_fmas_f32 v0, v0, v1, v3
	v_mul_lo_u32 v2, v22, s39
	v_div_fixup_f32 v0, v0, v24, 1.0
	v_ashrrev_i32_e32 v3, 31, v2
	s_cbranch_scc0 .LBB248_15
; %bb.12:
	v_lshlrev_b64 v[4:5], 2, v[2:3]
	v_mov_b32_e32 v6, s41
	v_add_co_u32_e32 v4, vcc, s40, v4
	v_addc_co_u32_e32 v5, vcc, v5, v6, vcc
	s_and_b32 s4, s36, 0x7ffffffc
	v_add_co_u32_e32 v4, vcc, 8, v4
	v_mov_b32_e32 v1, v0
	v_addc_co_u32_e32 v5, vcc, 0, v5, vcc
	s_mov_b32 s0, s4
.LBB248_13:                             ; =>This Inner Loop Header: Depth=1
	global_load_dwordx4 v[6:9], v[4:5], off offset:-8
	s_add_i32 s0, s0, -4
	s_cmp_lg_u32 s0, 0
	s_waitcnt vmcnt(0)
	v_pk_mul_f32 v[6:7], v[0:1], v[6:7]
	v_pk_mul_f32 v[8:9], v[0:1], v[8:9]
	global_store_dwordx4 v[4:5], v[6:9], off offset:-8
	v_add_co_u32_e32 v4, vcc, 16, v4
	v_addc_co_u32_e32 v5, vcc, 0, v5, vcc
	s_cbranch_scc1 .LBB248_13
; %bb.14:
	s_cmp_lg_u32 s4, s36
	s_cselect_b64 s[0:1], -1, 0
	s_branch .LBB248_17
.LBB248_15:
	s_mov_b64 s[0:1], 0
                                        ; implicit-def: $sgpr4
	s_cbranch_execz .LBB248_17
; %bb.16:
	s_mov_b64 s[0:1], -1
	s_mov_b32 s4, 0
.LBB248_17:
	s_andn2_b64 vcc, exec, s[0:1]
	s_cbranch_vccnz .LBB248_20
; %bb.18:
	v_add_co_u32_e32 v2, vcc, s4, v2
	v_addc_co_u32_e32 v3, vcc, 0, v3, vcc
	v_lshlrev_b64 v[2:3], 2, v[2:3]
	v_mov_b32_e32 v1, s41
	v_add_co_u32_e32 v2, vcc, s40, v2
	s_sub_i32 s0, s36, s4
	v_addc_co_u32_e32 v3, vcc, v1, v3, vcc
.LBB248_19:                             ; =>This Inner Loop Header: Depth=1
	global_load_dword v1, v[2:3], off
	s_add_i32 s0, s0, -1
	s_cmp_lg_u32 s0, 0
	s_waitcnt vmcnt(0)
	v_mul_f32_e32 v1, v0, v1
	global_store_dword v[2:3], v1, off
	v_add_co_u32_e32 v2, vcc, 4, v2
	v_addc_co_u32_e32 v3, vcc, 0, v3, vcc
	s_cbranch_scc1 .LBB248_19
.LBB248_20:
	s_endpgm
	.section	.rodata,"a",@progbits
	.p2align	6, 0x0
	.amdhsa_kernel _ZN4vllm3moe17topkGatingSoftmaxItLi16ELi16ELi8ELi32ELb1ELi0ELNS0_23SharedExpertScoringFuncE0EEEvPKT_PKbPfiPiS9_iiiiii
		.amdhsa_group_segment_fixed_size 0
		.amdhsa_private_segment_fixed_size 0
		.amdhsa_kernarg_size 72
		.amdhsa_user_sgpr_count 6
		.amdhsa_user_sgpr_private_segment_buffer 1
		.amdhsa_user_sgpr_dispatch_ptr 0
		.amdhsa_user_sgpr_queue_ptr 0
		.amdhsa_user_sgpr_kernarg_segment_ptr 1
		.amdhsa_user_sgpr_dispatch_id 0
		.amdhsa_user_sgpr_flat_scratch_init 0
		.amdhsa_user_sgpr_kernarg_preload_length 0
		.amdhsa_user_sgpr_kernarg_preload_offset 0
		.amdhsa_user_sgpr_private_segment_size 0
		.amdhsa_uses_dynamic_stack 0
		.amdhsa_system_sgpr_private_segment_wavefront_offset 0
		.amdhsa_system_sgpr_workgroup_id_x 1
		.amdhsa_system_sgpr_workgroup_id_y 0
		.amdhsa_system_sgpr_workgroup_id_z 0
		.amdhsa_system_sgpr_workgroup_info 0
		.amdhsa_system_vgpr_workitem_id 1
		.amdhsa_next_free_vgpr 38
		.amdhsa_next_free_sgpr 50
		.amdhsa_accum_offset 40
		.amdhsa_reserve_vcc 1
		.amdhsa_reserve_flat_scratch 0
		.amdhsa_float_round_mode_32 0
		.amdhsa_float_round_mode_16_64 0
		.amdhsa_float_denorm_mode_32 3
		.amdhsa_float_denorm_mode_16_64 3
		.amdhsa_dx10_clamp 1
		.amdhsa_ieee_mode 1
		.amdhsa_fp16_overflow 0
		.amdhsa_tg_split 0
		.amdhsa_exception_fp_ieee_invalid_op 0
		.amdhsa_exception_fp_denorm_src 0
		.amdhsa_exception_fp_ieee_div_zero 0
		.amdhsa_exception_fp_ieee_overflow 0
		.amdhsa_exception_fp_ieee_underflow 0
		.amdhsa_exception_fp_ieee_inexact 0
		.amdhsa_exception_int_div_zero 0
	.end_amdhsa_kernel
	.section	.text._ZN4vllm3moe17topkGatingSoftmaxItLi16ELi16ELi8ELi32ELb1ELi0ELNS0_23SharedExpertScoringFuncE0EEEvPKT_PKbPfiPiS9_iiiiii,"axG",@progbits,_ZN4vllm3moe17topkGatingSoftmaxItLi16ELi16ELi8ELi32ELb1ELi0ELNS0_23SharedExpertScoringFuncE0EEEvPKT_PKbPfiPiS9_iiiiii,comdat
.Lfunc_end248:
	.size	_ZN4vllm3moe17topkGatingSoftmaxItLi16ELi16ELi8ELi32ELb1ELi0ELNS0_23SharedExpertScoringFuncE0EEEvPKT_PKbPfiPiS9_iiiiii, .Lfunc_end248-_ZN4vllm3moe17topkGatingSoftmaxItLi16ELi16ELi8ELi32ELb1ELi0ELNS0_23SharedExpertScoringFuncE0EEEvPKT_PKbPfiPiS9_iiiiii
                                        ; -- End function
	.section	.AMDGPU.csdata,"",@progbits
; Kernel info:
; codeLenInByte = 2516
; NumSgprs: 54
; NumVgprs: 38
; NumAgprs: 0
; TotalNumVgprs: 38
; ScratchSize: 0
; MemoryBound: 0
; FloatMode: 240
; IeeeMode: 1
; LDSByteSize: 0 bytes/workgroup (compile time only)
; SGPRBlocks: 6
; VGPRBlocks: 4
; NumSGPRsForWavesPerEU: 54
; NumVGPRsForWavesPerEU: 38
; AccumOffset: 40
; Occupancy: 8
; WaveLimiterHint : 0
; COMPUTE_PGM_RSRC2:SCRATCH_EN: 0
; COMPUTE_PGM_RSRC2:USER_SGPR: 6
; COMPUTE_PGM_RSRC2:TRAP_HANDLER: 0
; COMPUTE_PGM_RSRC2:TGID_X_EN: 1
; COMPUTE_PGM_RSRC2:TGID_Y_EN: 0
; COMPUTE_PGM_RSRC2:TGID_Z_EN: 0
; COMPUTE_PGM_RSRC2:TIDIG_COMP_CNT: 1
; COMPUTE_PGM_RSRC3_GFX90A:ACCUM_OFFSET: 9
; COMPUTE_PGM_RSRC3_GFX90A:TG_SPLIT: 0
	.section	.text._ZN4vllm3moe17topkGatingSoftmaxItLi16ELi16ELi8ELi32ELb0ELi0ELNS0_23SharedExpertScoringFuncE0EEEvPKT_PKbPfiPiS9_iiiiii,"axG",@progbits,_ZN4vllm3moe17topkGatingSoftmaxItLi16ELi16ELi8ELi32ELb0ELi0ELNS0_23SharedExpertScoringFuncE0EEEvPKT_PKbPfiPiS9_iiiiii,comdat
	.protected	_ZN4vllm3moe17topkGatingSoftmaxItLi16ELi16ELi8ELi32ELb0ELi0ELNS0_23SharedExpertScoringFuncE0EEEvPKT_PKbPfiPiS9_iiiiii ; -- Begin function _ZN4vllm3moe17topkGatingSoftmaxItLi16ELi16ELi8ELi32ELb0ELi0ELNS0_23SharedExpertScoringFuncE0EEEvPKT_PKbPfiPiS9_iiiiii
	.globl	_ZN4vllm3moe17topkGatingSoftmaxItLi16ELi16ELi8ELi32ELb0ELi0ELNS0_23SharedExpertScoringFuncE0EEEvPKT_PKbPfiPiS9_iiiiii
	.p2align	8
	.type	_ZN4vllm3moe17topkGatingSoftmaxItLi16ELi16ELi8ELi32ELb0ELi0ELNS0_23SharedExpertScoringFuncE0EEEvPKT_PKbPfiPiS9_iiiiii,@function
_ZN4vllm3moe17topkGatingSoftmaxItLi16ELi16ELi8ELi32ELb0ELi0ELNS0_23SharedExpertScoringFuncE0EEEvPKT_PKbPfiPiS9_iiiiii: ; @_ZN4vllm3moe17topkGatingSoftmaxItLi16ELi16ELi8ELi32ELb0ELi0ELNS0_23SharedExpertScoringFuncE0EEEvPKT_PKbPfiPiS9_iiiiii
; %bb.0:
	s_load_dword s33, s[4:5], 0x18
	v_bfe_u32 v1, v0, 10, 10
	s_lshl_b32 s50, s6, 9
	v_lshlrev_b32_e32 v27, 6, v1
	v_and_b32_e32 v28, 0x3ff, v0
	v_add3_u32 v24, v27, v28, s50
	s_waitcnt lgkmcnt(0)
	v_cmp_gt_i32_e32 vcc, s33, v24
	s_and_saveexec_b64 s[0:1], vcc
	s_cbranch_execz .LBB249_20
; %bb.1:
	s_load_dwordx4 s[0:3], s[4:5], 0x0
	s_load_dwordx2 s[44:45], s[4:5], 0x10
	s_waitcnt lgkmcnt(0)
	s_cmp_eq_u64 s[2:3], 0
	s_cbranch_scc1 .LBB249_3
; %bb.2:
	v_ashrrev_i32_e32 v1, 31, v24
	v_mov_b32_e32 v2, s3
	v_add_co_u32_e32 v0, vcc, s2, v24
	v_addc_co_u32_e32 v1, vcc, v2, v1, vcc
	global_load_ubyte v0, v[0:1], off
	s_waitcnt vmcnt(0)
	v_and_b32_e32 v0, 1, v0
	v_cmp_eq_u32_e32 vcc, 1, v0
	s_xor_b64 s[2:3], vcc, -1
	s_orn2_b64 s[48:49], s[2:3], exec
	s_branch .LBB249_4
.LBB249_3:
	s_mov_b64 s[48:49], -1
.LBB249_4:
	s_load_dwordx2 s[30:31], s[4:5], 0x40
	s_load_dwordx4 s[36:39], s[4:5], 0x30
	v_mov_b32_e32 v2, s1
	s_waitcnt lgkmcnt(0)
	v_mul_lo_u32 v0, v24, s31
	v_ashrrev_i32_e32 v1, 31, v0
	v_lshlrev_b64 v[0:1], 1, v[0:1]
	v_add_co_u32_e32 v8, vcc, s0, v0
	v_addc_co_u32_e32 v9, vcc, v2, v1, vcc
	global_load_dwordx4 v[4:7], v[8:9], off
	global_load_dwordx4 v[12:15], v[8:9], off offset:16
	s_cmp_gt_i32 s36, 0
	s_cselect_b64 s[46:47], -1, 0
	s_cmp_lt_i32 s36, 1
	s_waitcnt vmcnt(1)
	v_cvt_f32_u32_sdwa v1, v4 dst_sel:DWORD dst_unused:UNUSED_PAD src0_sel:WORD_1
	v_cvt_f32_u32_sdwa v0, v4 dst_sel:DWORD dst_unused:UNUSED_PAD src0_sel:WORD_0
	v_cvt_f32_u32_sdwa v2, v5 dst_sel:DWORD dst_unused:UNUSED_PAD src0_sel:WORD_0
	s_waitcnt vmcnt(0)
	v_cvt_f32_u32_sdwa v8, v12 dst_sel:DWORD dst_unused:UNUSED_PAD src0_sel:WORD_0
	v_cvt_f32_u32_sdwa v9, v12 dst_sel:DWORD dst_unused:UNUSED_PAD src0_sel:WORD_1
	v_cmp_lt_f32_e32 vcc, v0, v1
	v_cndmask_b32_e32 v3, v0, v1, vcc
	v_cmp_lt_f32_e64 s[0:1], v3, v2
	v_cndmask_b32_e64 v4, v3, v2, s[0:1]
	v_cvt_f32_u32_sdwa v3, v5 dst_sel:DWORD dst_unused:UNUSED_PAD src0_sel:WORD_1
	v_cmp_lt_f32_e64 s[2:3], v4, v3
	v_cndmask_b32_e64 v5, v4, v3, s[2:3]
	v_cvt_f32_u32_sdwa v4, v6 dst_sel:DWORD dst_unused:UNUSED_PAD src0_sel:WORD_0
	v_cmp_lt_f32_e64 s[6:7], v5, v4
	v_cndmask_b32_e64 v10, v5, v4, s[6:7]
	v_cvt_f32_u32_sdwa v5, v6 dst_sel:DWORD dst_unused:UNUSED_PAD src0_sel:WORD_1
	v_cvt_f32_u32_sdwa v6, v7 dst_sel:DWORD dst_unused:UNUSED_PAD src0_sel:WORD_0
	v_cvt_f32_u32_sdwa v7, v7 dst_sel:DWORD dst_unused:UNUSED_PAD src0_sel:WORD_1
	v_cmp_lt_f32_e64 s[8:9], v10, v5
	v_cndmask_b32_e64 v10, v10, v5, s[8:9]
	v_cmp_lt_f32_e64 s[10:11], v10, v6
	v_cndmask_b32_e64 v10, v10, v6, s[10:11]
	;; [unrolled: 2-line block ×5, first 2 shown]
	v_cvt_f32_u32_sdwa v10, v13 dst_sel:DWORD dst_unused:UNUSED_PAD src0_sel:WORD_0
	v_cmp_lt_f32_e64 s[18:19], v11, v10
	v_cndmask_b32_e64 v12, v11, v10, s[18:19]
	v_cvt_f32_u32_sdwa v11, v13 dst_sel:DWORD dst_unused:UNUSED_PAD src0_sel:WORD_1
	v_cmp_lt_f32_e64 s[20:21], v12, v11
	v_cndmask_b32_e64 v13, v12, v11, s[20:21]
	v_cvt_f32_u32_sdwa v12, v14 dst_sel:DWORD dst_unused:UNUSED_PAD src0_sel:WORD_0
	v_cmp_lt_f32_e64 s[22:23], v13, v12
	v_cndmask_b32_e64 v16, v13, v12, s[22:23]
	v_cvt_f32_u32_sdwa v13, v14 dst_sel:DWORD dst_unused:UNUSED_PAD src0_sel:WORD_1
	v_cvt_f32_u32_sdwa v14, v15 dst_sel:DWORD dst_unused:UNUSED_PAD src0_sel:WORD_0
	v_cvt_f32_u32_sdwa v15, v15 dst_sel:DWORD dst_unused:UNUSED_PAD src0_sel:WORD_1
	v_cmp_lt_f32_e64 s[24:25], v16, v13
	v_cndmask_b32_e64 v16, v16, v13, s[24:25]
	v_cmp_lt_f32_e64 s[26:27], v16, v14
	v_cndmask_b32_e64 v16, v16, v14, s[26:27]
	;; [unrolled: 2-line block ×3, first 2 shown]
	s_cbranch_scc1 .LBB249_8
; %bb.5:
	v_cndmask_b32_e64 v20, 0, 1, vcc
	v_cndmask_b32_e64 v20, v20, 2, s[0:1]
	v_cndmask_b32_e64 v20, v20, 3, s[2:3]
	;; [unrolled: 1-line block ×11, first 2 shown]
	s_load_dwordx4 s[40:43], s[4:5], 0x20
	v_cndmask_b32_e64 v20, v20, 13, s[24:25]
	v_cndmask_b32_e64 v20, v20, 14, s[26:27]
	v_mul_lo_u32 v16, v24, s30
	v_cndmask_b32_e64 v26, v20, 15, s[28:29]
	v_ashrrev_i32_e32 v17, 31, v16
	v_cmp_le_i32_e32 vcc, s37, v26
	v_cmp_gt_i32_e64 s[0:1], s38, v26
	v_lshlrev_b64 v[18:19], 2, v[16:17]
	s_and_b64 s[0:1], vcc, s[0:1]
	s_waitcnt lgkmcnt(0)
	v_mov_b32_e32 v17, s41
	v_add_co_u32_e64 v16, s[4:5], s40, v18
	v_subrev_u32_e32 v20, s37, v26
	s_and_b64 vcc, s[48:49], s[0:1]
	v_addc_co_u32_e64 v17, s[4:5], v17, v19, s[4:5]
	v_cndmask_b32_e32 v20, 16, v20, vcc
	global_store_dword v[16:17], v20, off
	v_mul_lo_u32 v16, v24, s36
	v_ashrrev_i32_e32 v17, 31, v16
	v_lshlrev_b64 v[16:17], 2, v[16:17]
	v_mov_b32_e32 v21, s43
	v_add_co_u32_e32 v20, vcc, s42, v16
	v_addc_co_u32_e32 v21, vcc, v21, v17, vcc
	v_sub_f32_e32 v31, v25, v25
	global_store_dword v[20:21], v24, off
	v_mul_f32_e32 v20, 0x3fb8aa3b, v31
	s_mov_b32 s51, 0x3fb8aa3b
	v_rndne_f32_e32 v21, v20
	v_sub_f32_e32 v22, v20, v21
	v_fma_f32 v20, v31, s51, -v20
	v_fmac_f32_e32 v20, 0x32a5705f, v31
	v_add_f32_e32 v20, v22, v20
	v_exp_f32_e32 v20, v20
	v_cvt_i32_f32_e32 v21, v21
	v_mov_b32_e32 v23, s45
	s_mov_b32 s52, 0xc2ce8ed0
	v_cmp_ngt_f32_e64 s[34:35], s52, v31
	v_ldexp_f32 v30, v20, v21
	v_mul_lo_u32 v20, v24, s39
	v_ashrrev_i32_e32 v21, 31, v20
	v_lshlrev_b64 v[20:21], 2, v[20:21]
	v_add_co_u32_e32 v22, vcc, s44, v20
	v_addc_co_u32_e64 v23, s[0:1], v23, v21, vcc
	s_mov_b32 s53, 0x42b17218
	v_mov_b32_e32 v29, 0xff800000
	v_cmp_ne_u32_e64 s[0:1], 15, v26
	v_cmp_ne_u32_e64 s[2:3], 14, v26
	;; [unrolled: 1-line block ×16, first 2 shown]
	v_cndmask_b32_e64 v20, 0, v30, s[34:35]
	v_mov_b32_e32 v30, 0x7f800000
	v_cmp_nlt_f32_e64 s[34:35], s53, v31
	v_cndmask_b32_e64 v26, v30, v20, s[34:35]
	v_cndmask_b32_e64 v15, v29, v15, s[0:1]
	v_cndmask_b32_e64 v14, v29, v14, s[2:3]
	v_cndmask_b32_e64 v13, v29, v13, s[4:5]
	v_cndmask_b32_e64 v12, v29, v12, s[6:7]
	v_cndmask_b32_e64 v11, v29, v11, s[8:9]
	v_cndmask_b32_e64 v10, v29, v10, s[10:11]
	v_cndmask_b32_e64 v9, v29, v9, s[12:13]
	v_cndmask_b32_e64 v8, v29, v8, s[14:15]
	v_cndmask_b32_e64 v7, v29, v7, s[16:17]
	v_cndmask_b32_e64 v6, v29, v6, s[18:19]
	v_cndmask_b32_e64 v5, v29, v5, s[20:21]
	v_cndmask_b32_e64 v4, v29, v4, s[22:23]
	v_cndmask_b32_e64 v3, v29, v3, s[24:25]
	v_cndmask_b32_e64 v2, v29, v2, s[26:27]
	v_cndmask_b32_e64 v1, v29, v1, s[28:29]
	s_cmp_eq_u32 s36, 1
	v_cndmask_b32_e64 v0, v29, v0, s[30:31]
	global_store_dword v[22:23], v26, off
	s_cbranch_scc1 .LBB249_9
; %bb.6:
	v_mov_b32_e32 v20, s43
	v_add_co_u32_e64 v16, s[0:1], s42, v16
	v_addc_co_u32_e64 v17, s[0:1], v17, v20, s[0:1]
	v_add_co_u32_e64 v16, s[0:1], 4, v16
	v_addc_co_u32_e64 v17, s[0:1], 0, v17, s[0:1]
	v_mov_b32_e32 v20, s41
	v_add_co_u32_e64 v18, s[0:1], s40, v18
	v_addc_co_u32_e64 v19, s[0:1], v19, v20, s[0:1]
	v_mov_b32_e32 v20, s45
	v_addc_co_u32_e32 v21, vcc, v21, v20, vcc
	v_add_co_u32_e64 v18, s[0:1], 4, v18
	v_add_co_u32_e32 v20, vcc, 4, v22
	s_add_i32 s50, s50, s33
	v_addc_co_u32_e64 v19, s[0:1], 0, v19, s[0:1]
	v_addc_co_u32_e32 v21, vcc, 0, v21, vcc
	s_add_i32 s40, s36, -1
	v_add3_u32 v22, s50, v28, v27
.LBB249_7:                              ; =>This Inner Loop Header: Depth=1
	v_cmp_gt_f32_e32 vcc, v1, v0
	v_cndmask_b32_e32 v23, v0, v1, vcc
	v_cmp_gt_f32_e64 s[0:1], v2, v23
	v_cndmask_b32_e64 v23, v23, v2, s[0:1]
	v_cmp_gt_f32_e64 s[2:3], v3, v23
	v_cndmask_b32_e64 v23, v23, v3, s[2:3]
	;; [unrolled: 2-line block ×14, first 2 shown]
	v_sub_f32_e32 v23, v23, v25
	v_mul_f32_e32 v27, 0x3fb8aa3b, v23
	v_fma_f32 v28, v23, s51, -v27
	v_rndne_f32_e32 v31, v27
	v_fmac_f32_e32 v28, 0x32a5705f, v23
	v_sub_f32_e32 v27, v27, v31
	v_add_f32_e32 v27, v27, v28
	v_cndmask_b32_e64 v28, 0, 1, vcc
	v_cndmask_b32_e64 v28, v28, 2, s[0:1]
	v_cndmask_b32_e64 v28, v28, 3, s[2:3]
	;; [unrolled: 1-line block ×14, first 2 shown]
	v_cmp_le_i32_e32 vcc, s37, v28
	v_cmp_gt_i32_e64 s[0:1], s38, v28
	s_and_b64 s[0:1], vcc, s[0:1]
	v_cmp_ne_u32_e64 s[2:3], 15, v28
	v_cmp_ne_u32_e64 s[4:5], 14, v28
	;; [unrolled: 1-line block ×16, first 2 shown]
	v_subrev_u32_e32 v28, s37, v28
	s_and_b64 vcc, s[48:49], s[0:1]
	v_cndmask_b32_e32 v28, 16, v28, vcc
	global_store_dword v[18:19], v28, off
	v_cvt_i32_f32_e32 v28, v31
	v_exp_f32_e32 v27, v27
	v_cmp_ngt_f32_e32 vcc, s52, v23
	global_store_dword v[16:17], v22, off
	s_add_i32 s40, s40, -1
	v_ldexp_f32 v27, v27, v28
	v_cndmask_b32_e32 v27, 0, v27, vcc
	v_cmp_nlt_f32_e32 vcc, s53, v23
	v_cndmask_b32_e32 v23, v30, v27, vcc
	v_add_co_u32_e32 v16, vcc, 4, v16
	v_addc_co_u32_e32 v17, vcc, 0, v17, vcc
	v_add_co_u32_e32 v18, vcc, 4, v18
	v_addc_co_u32_e32 v19, vcc, 0, v19, vcc
	global_store_dword v[20:21], v23, off
	v_add_co_u32_e32 v20, vcc, 4, v20
	v_add_f32_e32 v26, v26, v23
	v_cndmask_b32_e64 v15, v29, v15, s[2:3]
	v_cndmask_b32_e64 v14, v29, v14, s[4:5]
	;; [unrolled: 1-line block ×16, first 2 shown]
	v_add_u32_e32 v22, s33, v22
	s_cmp_eq_u32 s40, 0
	v_addc_co_u32_e32 v21, vcc, 0, v21, vcc
	s_cbranch_scc0 .LBB249_7
	s_branch .LBB249_9
.LBB249_8:
	v_mov_b32_e32 v26, 0
.LBB249_9:
	v_sub_f32_e32 v0, v0, v25
	s_mov_b32 s2, 0x3fb8aa3b
	v_mul_f32_e32 v16, 0x3fb8aa3b, v0
	v_fma_f32 v17, v0, s2, -v16
	v_rndne_f32_e32 v18, v16
	v_fmac_f32_e32 v17, 0x32a5705f, v0
	v_sub_f32_e32 v16, v16, v18
	v_add_f32_e32 v16, v16, v17
	v_exp_f32_e32 v16, v16
	v_cvt_i32_f32_e32 v17, v18
	v_sub_f32_e32 v1, v1, v25
	s_mov_b32 s4, 0xc2ce8ed0
	s_mov_b32 s3, 0x42b17218
	v_ldexp_f32 v16, v16, v17
	v_mul_f32_e32 v17, 0x3fb8aa3b, v1
	v_fma_f32 v18, v1, s2, -v17
	v_rndne_f32_e32 v19, v17
	v_fmac_f32_e32 v18, 0x32a5705f, v1
	v_sub_f32_e32 v17, v17, v19
	v_add_f32_e32 v17, v17, v18
	v_exp_f32_e32 v17, v17
	v_cvt_i32_f32_e32 v18, v19
	v_cmp_ngt_f32_e32 vcc, s4, v1
	v_cmp_ngt_f32_e64 s[0:1], s4, v0
	v_sub_f32_e32 v2, v2, v25
	v_ldexp_f32 v17, v17, v18
	v_cndmask_b32_e32 v17, 0, v17, vcc
	v_mov_b32_e32 v18, 0x7f800000
	v_cmp_nlt_f32_e32 vcc, s3, v1
	v_cndmask_b32_e64 v1, 0, v16, s[0:1]
	v_cmp_nlt_f32_e64 s[0:1], s3, v0
	v_cndmask_b32_e64 v0, v18, v1, s[0:1]
	v_cndmask_b32_e32 v1, v18, v17, vcc
	v_add_f32_e32 v0, v0, v1
	v_mul_f32_e32 v1, 0x3fb8aa3b, v2
	v_fma_f32 v16, v2, s2, -v1
	v_rndne_f32_e32 v17, v1
	v_fmac_f32_e32 v16, 0x32a5705f, v2
	v_sub_f32_e32 v1, v1, v17
	v_add_f32_e32 v1, v1, v16
	v_exp_f32_e32 v1, v1
	v_cvt_i32_f32_e32 v16, v17
	v_cmp_ngt_f32_e32 vcc, s4, v2
	v_sub_f32_e32 v3, v3, v25
	v_sub_f32_e32 v4, v4, v25
	v_ldexp_f32 v1, v1, v16
	v_cndmask_b32_e32 v1, 0, v1, vcc
	v_cmp_nlt_f32_e32 vcc, s3, v2
	v_cndmask_b32_e32 v1, v18, v1, vcc
	v_add_f32_e32 v0, v0, v1
	v_mul_f32_e32 v1, 0x3fb8aa3b, v3
	v_fma_f32 v2, v3, s2, -v1
	v_rndne_f32_e32 v16, v1
	v_fmac_f32_e32 v2, 0x32a5705f, v3
	v_sub_f32_e32 v1, v1, v16
	v_add_f32_e32 v1, v1, v2
	v_exp_f32_e32 v1, v1
	v_cvt_i32_f32_e32 v2, v16
	v_cmp_ngt_f32_e32 vcc, s4, v3
	v_sub_f32_e32 v5, v5, v25
	v_sub_f32_e32 v6, v6, v25
	v_ldexp_f32 v1, v1, v2
	v_cndmask_b32_e32 v1, 0, v1, vcc
	v_cmp_nlt_f32_e32 vcc, s3, v3
	;; [unrolled: 16-line block ×5, first 2 shown]
	v_cndmask_b32_e32 v1, v18, v1, vcc
	v_add_f32_e32 v0, v0, v1
	v_mul_f32_e32 v1, 0x3fb8aa3b, v7
	v_fma_f32 v2, v7, s2, -v1
	v_rndne_f32_e32 v3, v1
	v_fmac_f32_e32 v2, 0x32a5705f, v7
	v_sub_f32_e32 v1, v1, v3
	v_add_f32_e32 v1, v1, v2
	v_exp_f32_e32 v1, v1
	v_cvt_i32_f32_e32 v2, v3
	v_cmp_ngt_f32_e32 vcc, s4, v7
	v_ldexp_f32 v1, v1, v2
	v_mul_f32_e32 v2, 0x3fb8aa3b, v8
	v_fma_f32 v3, v8, s2, -v2
	v_rndne_f32_e32 v4, v2
	v_fmac_f32_e32 v3, 0x32a5705f, v8
	v_sub_f32_e32 v2, v2, v4
	v_add_f32_e32 v2, v2, v3
	v_exp_f32_e32 v2, v2
	v_cvt_i32_f32_e32 v3, v4
	v_cndmask_b32_e32 v1, 0, v1, vcc
	v_cmp_nlt_f32_e32 vcc, s3, v7
	v_cndmask_b32_e32 v1, v18, v1, vcc
	v_add_f32_e32 v0, v0, v1
	v_ldexp_f32 v1, v2, v3
	v_mul_f32_e32 v2, 0x3fb8aa3b, v9
	v_fma_f32 v3, v9, s2, -v2
	v_rndne_f32_e32 v4, v2
	v_fmac_f32_e32 v3, 0x32a5705f, v9
	v_sub_f32_e32 v2, v2, v4
	v_add_f32_e32 v2, v2, v3
	v_exp_f32_e32 v2, v2
	v_cvt_i32_f32_e32 v3, v4
	v_cmp_ngt_f32_e32 vcc, s4, v8
	v_cndmask_b32_e32 v1, 0, v1, vcc
	v_cmp_nlt_f32_e32 vcc, s3, v8
	v_cndmask_b32_e32 v1, v18, v1, vcc
	v_add_f32_e32 v0, v0, v1
	v_ldexp_f32 v1, v2, v3
	v_mul_f32_e32 v2, 0x3fb8aa3b, v10
	v_fma_f32 v3, v10, s2, -v2
	v_rndne_f32_e32 v4, v2
	v_fmac_f32_e32 v3, 0x32a5705f, v10
	v_sub_f32_e32 v2, v2, v4
	v_add_f32_e32 v2, v2, v3
	v_exp_f32_e32 v2, v2
	v_cvt_i32_f32_e32 v3, v4
	v_cmp_ngt_f32_e32 vcc, s4, v9
	;; [unrolled: 14-line block ×4, first 2 shown]
	v_cndmask_b32_e32 v1, 0, v1, vcc
	v_cmp_nlt_f32_e32 vcc, s3, v11
	v_cndmask_b32_e32 v1, v18, v1, vcc
	v_add_f32_e32 v0, v0, v1
	v_ldexp_f32 v1, v2, v3
	v_sub_f32_e32 v2, v13, v25
	v_mul_f32_e32 v3, 0x3fb8aa3b, v2
	v_fma_f32 v4, v2, s2, -v3
	v_rndne_f32_e32 v5, v3
	v_fmac_f32_e32 v4, 0x32a5705f, v2
	v_sub_f32_e32 v3, v3, v5
	v_add_f32_e32 v3, v3, v4
	v_exp_f32_e32 v3, v3
	v_cvt_i32_f32_e32 v4, v5
	v_cmp_ngt_f32_e32 vcc, s4, v12
	v_cndmask_b32_e32 v1, 0, v1, vcc
	v_cmp_nlt_f32_e32 vcc, s3, v12
	v_cndmask_b32_e32 v1, v18, v1, vcc
	v_add_f32_e32 v0, v0, v1
	v_ldexp_f32 v1, v3, v4
	v_sub_f32_e32 v3, v14, v25
	v_mul_f32_e32 v4, 0x3fb8aa3b, v3
	v_fma_f32 v5, v3, s2, -v4
	v_rndne_f32_e32 v6, v4
	v_fmac_f32_e32 v5, 0x32a5705f, v3
	v_sub_f32_e32 v4, v4, v6
	v_add_f32_e32 v4, v4, v5
	v_exp_f32_e32 v4, v4
	v_cvt_i32_f32_e32 v5, v6
	v_cmp_ngt_f32_e32 vcc, s4, v2
	v_cndmask_b32_e32 v1, 0, v1, vcc
	v_cmp_nlt_f32_e32 vcc, s3, v2
	v_cndmask_b32_e32 v1, v18, v1, vcc
	v_sub_f32_e32 v2, v15, v25
	v_add_f32_e32 v0, v0, v1
	v_ldexp_f32 v1, v4, v5
	v_mul_f32_e32 v4, 0x3fb8aa3b, v2
	v_fma_f32 v5, v2, s2, -v4
	v_rndne_f32_e32 v6, v4
	v_fmac_f32_e32 v5, 0x32a5705f, v2
	v_sub_f32_e32 v4, v4, v6
	v_add_f32_e32 v4, v4, v5
	v_exp_f32_e32 v4, v4
	v_cvt_i32_f32_e32 v5, v6
	v_cmp_ngt_f32_e32 vcc, s4, v3
	v_cndmask_b32_e32 v1, 0, v1, vcc
	v_cmp_nlt_f32_e32 vcc, s3, v3
	v_cndmask_b32_e32 v1, v18, v1, vcc
	v_add_f32_e32 v0, v0, v1
	v_ldexp_f32 v1, v4, v5
	v_cmp_ngt_f32_e32 vcc, s4, v2
	v_cndmask_b32_e32 v1, 0, v1, vcc
	v_cmp_nlt_f32_e32 vcc, s3, v2
	v_cndmask_b32_e32 v1, v18, v1, vcc
	v_add_f32_e32 v0, v0, v1
	v_add_f32_e32 v0, v26, v0
	v_cmp_neq_f32_e32 vcc, 0, v0
	s_and_b64 exec, exec, vcc
	s_cbranch_execz .LBB249_20
; %bb.10:
	s_andn2_b64 vcc, exec, s[46:47]
	s_cbranch_vccnz .LBB249_20
; %bb.11:
	v_div_scale_f32 v1, s[0:1], v0, v0, 1.0
	v_rcp_f32_e32 v2, v1
	v_div_scale_f32 v3, vcc, 1.0, v0, 1.0
	s_cmp_gt_u32 s36, 3
	v_fma_f32 v4, -v1, v2, 1.0
	v_fmac_f32_e32 v2, v4, v2
	v_mul_f32_e32 v4, v3, v2
	v_fma_f32 v5, -v1, v4, v3
	v_fmac_f32_e32 v4, v5, v2
	v_fma_f32 v1, -v1, v4, v3
	v_div_fmas_f32 v1, v1, v2, v4
	v_mul_lo_u32 v2, v24, s39
	v_div_fixup_f32 v0, v1, v0, 1.0
	v_ashrrev_i32_e32 v3, 31, v2
	s_cbranch_scc0 .LBB249_15
; %bb.12:
	v_lshlrev_b64 v[4:5], 2, v[2:3]
	v_mov_b32_e32 v6, s45
	v_add_co_u32_e32 v4, vcc, s44, v4
	v_addc_co_u32_e32 v5, vcc, v5, v6, vcc
	s_and_b32 s4, s36, 0x7ffffffc
	v_add_co_u32_e32 v4, vcc, 8, v4
	v_mov_b32_e32 v1, v0
	v_addc_co_u32_e32 v5, vcc, 0, v5, vcc
	s_mov_b32 s0, s4
.LBB249_13:                             ; =>This Inner Loop Header: Depth=1
	global_load_dwordx4 v[6:9], v[4:5], off offset:-8
	s_add_i32 s0, s0, -4
	s_cmp_lg_u32 s0, 0
	s_waitcnt vmcnt(0)
	v_pk_mul_f32 v[6:7], v[0:1], v[6:7]
	v_pk_mul_f32 v[8:9], v[0:1], v[8:9]
	global_store_dwordx4 v[4:5], v[6:9], off offset:-8
	v_add_co_u32_e32 v4, vcc, 16, v4
	v_addc_co_u32_e32 v5, vcc, 0, v5, vcc
	s_cbranch_scc1 .LBB249_13
; %bb.14:
	s_cmp_lg_u32 s4, s36
	s_cselect_b64 s[0:1], -1, 0
	s_branch .LBB249_17
.LBB249_15:
	s_mov_b64 s[0:1], 0
                                        ; implicit-def: $sgpr4
	s_cbranch_execz .LBB249_17
; %bb.16:
	s_mov_b64 s[0:1], -1
	s_mov_b32 s4, 0
.LBB249_17:
	s_andn2_b64 vcc, exec, s[0:1]
	s_cbranch_vccnz .LBB249_20
; %bb.18:
	v_add_co_u32_e32 v2, vcc, s4, v2
	v_addc_co_u32_e32 v3, vcc, 0, v3, vcc
	v_lshlrev_b64 v[2:3], 2, v[2:3]
	v_mov_b32_e32 v1, s45
	v_add_co_u32_e32 v2, vcc, s44, v2
	s_sub_i32 s0, s36, s4
	v_addc_co_u32_e32 v3, vcc, v1, v3, vcc
.LBB249_19:                             ; =>This Inner Loop Header: Depth=1
	global_load_dword v1, v[2:3], off
	s_add_i32 s0, s0, -1
	s_cmp_lg_u32 s0, 0
	s_waitcnt vmcnt(0)
	v_mul_f32_e32 v1, v0, v1
	global_store_dword v[2:3], v1, off
	v_add_co_u32_e32 v2, vcc, 4, v2
	v_addc_co_u32_e32 v3, vcc, 0, v3, vcc
	s_cbranch_scc1 .LBB249_19
.LBB249_20:
	s_endpgm
	.section	.rodata,"a",@progbits
	.p2align	6, 0x0
	.amdhsa_kernel _ZN4vllm3moe17topkGatingSoftmaxItLi16ELi16ELi8ELi32ELb0ELi0ELNS0_23SharedExpertScoringFuncE0EEEvPKT_PKbPfiPiS9_iiiiii
		.amdhsa_group_segment_fixed_size 0
		.amdhsa_private_segment_fixed_size 0
		.amdhsa_kernarg_size 72
		.amdhsa_user_sgpr_count 6
		.amdhsa_user_sgpr_private_segment_buffer 1
		.amdhsa_user_sgpr_dispatch_ptr 0
		.amdhsa_user_sgpr_queue_ptr 0
		.amdhsa_user_sgpr_kernarg_segment_ptr 1
		.amdhsa_user_sgpr_dispatch_id 0
		.amdhsa_user_sgpr_flat_scratch_init 0
		.amdhsa_user_sgpr_kernarg_preload_length 0
		.amdhsa_user_sgpr_kernarg_preload_offset 0
		.amdhsa_user_sgpr_private_segment_size 0
		.amdhsa_uses_dynamic_stack 0
		.amdhsa_system_sgpr_private_segment_wavefront_offset 0
		.amdhsa_system_sgpr_workgroup_id_x 1
		.amdhsa_system_sgpr_workgroup_id_y 0
		.amdhsa_system_sgpr_workgroup_id_z 0
		.amdhsa_system_sgpr_workgroup_info 0
		.amdhsa_system_vgpr_workitem_id 1
		.amdhsa_next_free_vgpr 32
		.amdhsa_next_free_sgpr 54
		.amdhsa_accum_offset 32
		.amdhsa_reserve_vcc 1
		.amdhsa_reserve_flat_scratch 0
		.amdhsa_float_round_mode_32 0
		.amdhsa_float_round_mode_16_64 0
		.amdhsa_float_denorm_mode_32 3
		.amdhsa_float_denorm_mode_16_64 3
		.amdhsa_dx10_clamp 1
		.amdhsa_ieee_mode 1
		.amdhsa_fp16_overflow 0
		.amdhsa_tg_split 0
		.amdhsa_exception_fp_ieee_invalid_op 0
		.amdhsa_exception_fp_denorm_src 0
		.amdhsa_exception_fp_ieee_div_zero 0
		.amdhsa_exception_fp_ieee_overflow 0
		.amdhsa_exception_fp_ieee_underflow 0
		.amdhsa_exception_fp_ieee_inexact 0
		.amdhsa_exception_int_div_zero 0
	.end_amdhsa_kernel
	.section	.text._ZN4vllm3moe17topkGatingSoftmaxItLi16ELi16ELi8ELi32ELb0ELi0ELNS0_23SharedExpertScoringFuncE0EEEvPKT_PKbPfiPiS9_iiiiii,"axG",@progbits,_ZN4vllm3moe17topkGatingSoftmaxItLi16ELi16ELi8ELi32ELb0ELi0ELNS0_23SharedExpertScoringFuncE0EEEvPKT_PKbPfiPiS9_iiiiii,comdat
.Lfunc_end249:
	.size	_ZN4vllm3moe17topkGatingSoftmaxItLi16ELi16ELi8ELi32ELb0ELi0ELNS0_23SharedExpertScoringFuncE0EEEvPKT_PKbPfiPiS9_iiiiii, .Lfunc_end249-_ZN4vllm3moe17topkGatingSoftmaxItLi16ELi16ELi8ELi32ELb0ELi0ELNS0_23SharedExpertScoringFuncE0EEEvPKT_PKbPfiPiS9_iiiiii
                                        ; -- End function
	.section	.AMDGPU.csdata,"",@progbits
; Kernel info:
; codeLenInByte = 3752
; NumSgprs: 58
; NumVgprs: 32
; NumAgprs: 0
; TotalNumVgprs: 32
; ScratchSize: 0
; MemoryBound: 0
; FloatMode: 240
; IeeeMode: 1
; LDSByteSize: 0 bytes/workgroup (compile time only)
; SGPRBlocks: 7
; VGPRBlocks: 3
; NumSGPRsForWavesPerEU: 58
; NumVGPRsForWavesPerEU: 32
; AccumOffset: 32
; Occupancy: 8
; WaveLimiterHint : 0
; COMPUTE_PGM_RSRC2:SCRATCH_EN: 0
; COMPUTE_PGM_RSRC2:USER_SGPR: 6
; COMPUTE_PGM_RSRC2:TRAP_HANDLER: 0
; COMPUTE_PGM_RSRC2:TGID_X_EN: 1
; COMPUTE_PGM_RSRC2:TGID_Y_EN: 0
; COMPUTE_PGM_RSRC2:TGID_Z_EN: 0
; COMPUTE_PGM_RSRC2:TIDIG_COMP_CNT: 1
; COMPUTE_PGM_RSRC3_GFX90A:ACCUM_OFFSET: 7
; COMPUTE_PGM_RSRC3_GFX90A:TG_SPLIT: 0
	.section	.text._ZN4vllm3moe17topkGatingSoftmaxItLi16ELi16ELi8ELi32ELb1ELi1ELNS0_23SharedExpertScoringFuncE1EEEvPKT_PKbPfiPiS9_iiiiii,"axG",@progbits,_ZN4vllm3moe17topkGatingSoftmaxItLi16ELi16ELi8ELi32ELb1ELi1ELNS0_23SharedExpertScoringFuncE1EEEvPKT_PKbPfiPiS9_iiiiii,comdat
	.protected	_ZN4vllm3moe17topkGatingSoftmaxItLi16ELi16ELi8ELi32ELb1ELi1ELNS0_23SharedExpertScoringFuncE1EEEvPKT_PKbPfiPiS9_iiiiii ; -- Begin function _ZN4vllm3moe17topkGatingSoftmaxItLi16ELi16ELi8ELi32ELb1ELi1ELNS0_23SharedExpertScoringFuncE1EEEvPKT_PKbPfiPiS9_iiiiii
	.globl	_ZN4vllm3moe17topkGatingSoftmaxItLi16ELi16ELi8ELi32ELb1ELi1ELNS0_23SharedExpertScoringFuncE1EEEvPKT_PKbPfiPiS9_iiiiii
	.p2align	8
	.type	_ZN4vllm3moe17topkGatingSoftmaxItLi16ELi16ELi8ELi32ELb1ELi1ELNS0_23SharedExpertScoringFuncE1EEEvPKT_PKbPfiPiS9_iiiiii,@function
_ZN4vllm3moe17topkGatingSoftmaxItLi16ELi16ELi8ELi32ELb1ELi1ELNS0_23SharedExpertScoringFuncE1EEEvPKT_PKbPfiPiS9_iiiiii: ; @_ZN4vllm3moe17topkGatingSoftmaxItLi16ELi16ELi8ELi32ELb1ELi1ELNS0_23SharedExpertScoringFuncE1EEEvPKT_PKbPfiPiS9_iiiiii
; %bb.0:
	s_load_dword s33, s[4:5], 0x18
	v_bfe_u32 v1, v0, 10, 10
	s_lshl_b32 s34, s6, 9
	v_lshlrev_b32_e32 v8, 6, v1
	v_and_b32_e32 v9, 0x3ff, v0
	v_add3_u32 v10, v8, v9, s34
	s_waitcnt lgkmcnt(0)
	v_cmp_gt_i32_e32 vcc, s33, v10
	s_and_saveexec_b64 s[0:1], vcc
	s_cbranch_execz .LBB250_19
; %bb.1:
	s_load_dwordx4 s[0:3], s[4:5], 0x0
	s_load_dwordx2 s[40:41], s[4:5], 0x10
	s_waitcnt lgkmcnt(0)
	s_cmp_eq_u64 s[2:3], 0
	s_cbranch_scc1 .LBB250_3
; %bb.2:
	v_ashrrev_i32_e32 v1, 31, v10
	v_mov_b32_e32 v2, s3
	v_add_co_u32_e32 v0, vcc, s2, v10
	v_addc_co_u32_e32 v1, vcc, v2, v1, vcc
	global_load_ubyte v0, v[0:1], off
	s_waitcnt vmcnt(0)
	v_and_b32_e32 v0, 1, v0
	v_cmp_eq_u32_e32 vcc, 1, v0
	s_xor_b64 s[2:3], vcc, -1
	s_orn2_b64 s[42:43], s[2:3], exec
	s_branch .LBB250_4
.LBB250_3:
	s_mov_b64 s[42:43], -1
.LBB250_4:
	s_load_dwordx2 s[2:3], s[4:5], 0x40
	s_load_dwordx4 s[36:39], s[4:5], 0x30
	v_mov_b32_e32 v2, s1
	s_mov_b32 s1, 0x42ce8ed0
	v_mov_b32_e32 v24, 0
	s_waitcnt lgkmcnt(0)
	v_mul_lo_u32 v0, v10, s3
	v_ashrrev_i32_e32 v1, 31, v0
	v_lshlrev_b64 v[0:1], 1, v[0:1]
	v_add_co_u32_e32 v12, vcc, s0, v0
	v_addc_co_u32_e32 v13, vcc, v2, v1, vcc
	global_load_ushort v11, v[12:13], off offset:32
	global_load_dwordx4 v[0:3], v[12:13], off offset:16
	global_load_dwordx4 v[4:7], v[12:13], off
	s_mov_b32 s0, 0xbfb8aa3b
	s_mov_b32 s3, 0xc2b17218
	v_mov_b32_e32 v13, 0x7f800000
	v_mul_lo_u32 v16, v10, s39
	v_add_u32_e32 v14, s36, v16
	v_mov_b32_e32 v12, s41
	s_cmp_gt_i32 s36, 0
	s_cselect_b64 s[44:45], -1, 0
	s_cmp_lt_i32 s36, 1
	s_waitcnt vmcnt(2)
	v_cvt_f32_u32_e32 v11, v11
	v_mul_f32_e32 v15, 0xbfb8aa3b, v11
	v_fma_f32 v17, v11, s0, -v15
	v_rndne_f32_e32 v18, v15
	v_fmac_f32_e32 v17, 0xb2a5705f, v11
	v_sub_f32_e32 v15, v15, v18
	v_add_f32_e32 v15, v15, v17
	v_cvt_i32_f32_e32 v18, v18
	v_exp_f32_e32 v17, v15
	v_cmp_nlt_f32_e32 vcc, s1, v11
	v_ashrrev_i32_e32 v15, 31, v14
	v_lshlrev_b64 v[14:15], 2, v[14:15]
	v_ldexp_f32 v17, v17, v18
	v_cndmask_b32_e32 v17, 0, v17, vcc
	v_cmp_ngt_f32_e32 vcc, s3, v11
	v_cndmask_b32_e32 v11, v13, v17, vcc
	v_add_f32_e32 v11, 1.0, v11
	v_div_scale_f32 v17, s[0:1], v11, v11, 1.0
	v_rcp_f32_e32 v18, v17
	v_add_co_u32_e32 v14, vcc, s40, v14
	v_addc_co_u32_e32 v15, vcc, v12, v15, vcc
	v_fma_f32 v19, -v17, v18, 1.0
	v_div_scale_f32 v12, vcc, 1.0, v11, 1.0
	v_fmac_f32_e32 v18, v19, v18
	v_mul_f32_e32 v19, v12, v18
	v_fma_f32 v20, -v17, v19, v12
	v_fmac_f32_e32 v19, v20, v18
	v_fma_f32 v12, -v17, v19, v12
	v_div_fmas_f32 v12, v12, v18, v19
	v_div_fixup_f32 v11, v12, v11, 1.0
	global_store_dword v[14:15], v11, off
	s_cbranch_scc1 .LBB250_8
; %bb.5:
	s_waitcnt vmcnt(1)
	v_cvt_f32_u32_sdwa v26, v4 dst_sel:DWORD dst_unused:UNUSED_PAD src0_sel:WORD_1
	v_cvt_f32_u32_sdwa v27, v4 dst_sel:DWORD dst_unused:UNUSED_PAD src0_sel:WORD_0
	v_cvt_f32_u32_sdwa v31, v5 dst_sel:DWORD dst_unused:UNUSED_PAD src0_sel:WORD_0
	v_cvt_f32_u32_sdwa v30, v5 dst_sel:DWORD dst_unused:UNUSED_PAD src0_sel:WORD_1
	v_cvt_f32_u32_sdwa v11, v1 dst_sel:DWORD dst_unused:UNUSED_PAD src0_sel:WORD_1
	v_cmp_lt_f32_e32 vcc, v27, v26
	v_cvt_f32_u32_sdwa v38, v1 dst_sel:DWORD dst_unused:UNUSED_PAD src0_sel:WORD_0
	v_cndmask_b32_e32 v1, v27, v26, vcc
	v_cvt_f32_u32_sdwa v33, v6 dst_sel:DWORD dst_unused:UNUSED_PAD src0_sel:WORD_0
	v_cvt_f32_u32_sdwa v36, v0 dst_sel:DWORD dst_unused:UNUSED_PAD src0_sel:WORD_1
	v_cvt_f32_u32_sdwa v37, v0 dst_sel:DWORD dst_unused:UNUSED_PAD src0_sel:WORD_0
	v_cndmask_b32_e64 v0, 0, 1, vcc
	v_cmp_lt_f32_e32 vcc, v1, v31
	v_cndmask_b32_e32 v1, v1, v31, vcc
	v_cvt_f32_u32_sdwa v32, v6 dst_sel:DWORD dst_unused:UNUSED_PAD src0_sel:WORD_1
	v_cndmask_b32_e64 v0, v0, 2, vcc
	v_cmp_lt_f32_e32 vcc, v1, v30
	v_cndmask_b32_e32 v1, v1, v30, vcc
	v_cvt_f32_u32_sdwa v35, v7 dst_sel:DWORD dst_unused:UNUSED_PAD src0_sel:WORD_0
	v_cndmask_b32_e64 v0, v0, 3, vcc
	v_cmp_lt_f32_e32 vcc, v1, v33
	v_cndmask_b32_e32 v1, v1, v33, vcc
	v_cvt_f32_u32_sdwa v34, v7 dst_sel:DWORD dst_unused:UNUSED_PAD src0_sel:WORD_1
	v_cndmask_b32_e64 v0, v0, 4, vcc
	v_cmp_lt_f32_e32 vcc, v1, v32
	v_cndmask_b32_e32 v1, v1, v32, vcc
	v_cndmask_b32_e64 v0, v0, 5, vcc
	v_cmp_lt_f32_e32 vcc, v1, v35
	v_cndmask_b32_e32 v1, v1, v35, vcc
	;; [unrolled: 3-line block ×5, first 2 shown]
	v_cvt_f32_u32_sdwa v39, v2 dst_sel:DWORD dst_unused:UNUSED_PAD src0_sel:WORD_0
	v_cndmask_b32_e64 v0, v0, 9, vcc
	v_cmp_lt_f32_e32 vcc, v1, v38
	v_cndmask_b32_e32 v1, v1, v38, vcc
	v_cvt_f32_u32_sdwa v12, v2 dst_sel:DWORD dst_unused:UNUSED_PAD src0_sel:WORD_1
	v_cndmask_b32_e64 v0, v0, 10, vcc
	v_cmp_lt_f32_e32 vcc, v1, v11
	v_cndmask_b32_e32 v1, v1, v11, vcc
	v_cvt_f32_u32_sdwa v14, v3 dst_sel:DWORD dst_unused:UNUSED_PAD src0_sel:WORD_0
	v_cndmask_b32_e64 v0, v0, 11, vcc
	v_cmp_lt_f32_e32 vcc, v1, v39
	v_cndmask_b32_e32 v1, v1, v39, vcc
	v_cvt_f32_u32_sdwa v15, v3 dst_sel:DWORD dst_unused:UNUSED_PAD src0_sel:WORD_1
	v_cndmask_b32_e64 v0, v0, 12, vcc
	v_cmp_lt_f32_e32 vcc, v1, v12
	v_cndmask_b32_e32 v1, v1, v12, vcc
	v_cndmask_b32_e64 v0, v0, 13, vcc
	v_cmp_lt_f32_e32 vcc, v1, v14
	v_cndmask_b32_e32 v1, v1, v14, vcc
	;; [unrolled: 3-line block ×3, first 2 shown]
	v_cndmask_b32_e64 v40, v0, 15, vcc
	v_sub_f32_e32 v0, v25, v25
	s_mov_b32 s39, 0x3fb8aa3b
	v_mul_f32_e32 v1, 0x3fb8aa3b, v0
	v_fma_f32 v2, v0, s39, -v1
	v_rndne_f32_e32 v3, v1
	v_fmac_f32_e32 v2, 0x32a5705f, v0
	v_sub_f32_e32 v1, v1, v3
	v_add_f32_e32 v1, v1, v2
	v_exp_f32_e32 v1, v1
	v_cvt_i32_f32_e32 v2, v3
	v_cmp_le_i32_e32 vcc, s37, v40
	v_cmp_gt_i32_e64 s[0:1], s38, v40
	s_mov_b32 s46, 0xc2ce8ed0
	v_mul_lo_u32 v4, v10, s2
	s_and_b64 s[2:3], vcc, s[0:1]
	v_ldexp_f32 v1, v1, v2
	v_cmp_ngt_f32_e32 vcc, s46, v0
	s_mov_b32 s47, 0x42b17218
	s_load_dwordx4 s[28:31], s[4:5], 0x20
	v_cndmask_b32_e32 v1, 0, v1, vcc
	v_cmp_nlt_f32_e32 vcc, s47, v0
	v_ashrrev_i32_e32 v17, 31, v16
	v_cndmask_b32_e32 v24, v13, v1, vcc
	v_lshlrev_b64 v[0:1], 2, v[16:17]
	v_mov_b32_e32 v3, s41
	v_add_co_u32_e32 v2, vcc, s40, v0
	v_addc_co_u32_e64 v3, s[0:1], v3, v1, vcc
	v_ashrrev_i32_e32 v5, 31, v4
	v_mul_lo_u32 v6, v10, s36
	v_subrev_u32_e32 v0, s37, v40
	s_and_b64 s[0:1], s[42:43], s[2:3]
	v_lshlrev_b64 v[4:5], 2, v[4:5]
	global_store_dword v[2:3], v24, off
	v_cndmask_b32_e64 v0, 16, v0, s[0:1]
	s_waitcnt lgkmcnt(0)
	v_mov_b32_e32 v3, s29
	v_add_co_u32_e64 v18, s[0:1], s28, v4
	v_ashrrev_i32_e32 v7, 31, v6
	v_addc_co_u32_e64 v19, s[0:1], v3, v5, s[0:1]
	v_lshlrev_b64 v[6:7], 2, v[6:7]
	global_store_dword v[18:19], v0, off
	v_mov_b32_e32 v0, s31
	v_add_co_u32_e64 v18, s[0:1], s30, v6
	v_addc_co_u32_e64 v19, s[0:1], v0, v7, s[0:1]
	s_cmp_eq_u32 s36, 1
	global_store_dword v[18:19], v10, off
	s_cbranch_scc1 .LBB250_8
; %bb.6:
	v_mov_b32_e32 v0, s31
	v_add_co_u32_e64 v3, s[26:27], s30, v6
	v_addc_co_u32_e64 v0, s[26:27], v7, v0, s[26:27]
	v_add_co_u32_e64 v18, s[26:27], 4, v3
	v_addc_co_u32_e64 v19, s[26:27], 0, v0, s[26:27]
	v_mov_b32_e32 v0, s29
	v_add_co_u32_e64 v3, s[26:27], s28, v4
	v_addc_co_u32_e64 v0, s[26:27], v5, v0, s[26:27]
	v_add_co_u32_e64 v20, s[26:27], 4, v3
	v_addc_co_u32_e64 v21, s[26:27], 0, v0, s[26:27]
	v_mov_b32_e32 v0, s41
	v_addc_co_u32_e32 v0, vcc, v1, v0, vcc
	v_mov_b32_e32 v17, 0xff800000
	v_cmp_ne_u32_e64 s[0:1], 15, v40
	v_add_co_u32_e32 v22, vcc, 4, v2
	v_cndmask_b32_e64 v15, v17, v15, s[0:1]
	v_cmp_ne_u32_e64 s[0:1], 14, v40
	v_addc_co_u32_e32 v23, vcc, 0, v0, vcc
	v_cndmask_b32_e64 v14, v17, v14, s[0:1]
	v_cmp_ne_u32_e64 s[0:1], 12, v40
	v_cmp_ne_u32_e64 s[2:3], 11, v40
	;; [unrolled: 1-line block ×13, first 2 shown]
	s_add_i32 s34, s34, s33
	v_cmp_ne_u32_e32 vcc, 13, v40
	s_add_i32 s48, s36, -1
	v_add3_u32 v28, s34, v9, v8
	v_mov_b32_e32 v29, 0x7f800000
	v_cndmask_b32_e32 v13, v17, v12, vcc
	v_cndmask_b32_e64 v12, v17, v39, s[0:1]
	v_cndmask_b32_e64 v11, v17, v11, s[2:3]
	;; [unrolled: 1-line block ×13, first 2 shown]
.LBB250_7:                              ; =>This Inner Loop Header: Depth=1
	v_cmp_gt_f32_e32 vcc, v1, v0
	v_cndmask_b32_e32 v26, v0, v1, vcc
	v_cmp_gt_f32_e64 s[0:1], v2, v26
	v_cndmask_b32_e64 v26, v26, v2, s[0:1]
	v_cmp_gt_f32_e64 s[2:3], v3, v26
	v_cndmask_b32_e64 v26, v26, v3, s[2:3]
	;; [unrolled: 2-line block ×14, first 2 shown]
	v_sub_f32_e32 v26, v26, v25
	v_mul_f32_e32 v27, 0x3fb8aa3b, v26
	v_fma_f32 v30, v26, s39, -v27
	v_rndne_f32_e32 v31, v27
	v_fmac_f32_e32 v30, 0x32a5705f, v26
	v_sub_f32_e32 v27, v27, v31
	v_add_f32_e32 v27, v27, v30
	v_cndmask_b32_e64 v30, 0, 1, vcc
	v_cndmask_b32_e64 v30, v30, 2, s[0:1]
	v_cndmask_b32_e64 v30, v30, 3, s[2:3]
	;; [unrolled: 1-line block ×14, first 2 shown]
	v_cmp_le_i32_e32 vcc, s37, v30
	v_cmp_gt_i32_e64 s[0:1], s38, v30
	s_and_b64 s[0:1], vcc, s[0:1]
	v_cmp_ne_u32_e64 s[2:3], 15, v30
	v_cmp_ne_u32_e64 s[4:5], 14, v30
	;; [unrolled: 1-line block ×16, first 2 shown]
	v_subrev_u32_e32 v30, s37, v30
	s_and_b64 vcc, s[42:43], s[0:1]
	v_cndmask_b32_e32 v30, 16, v30, vcc
	global_store_dword v[20:21], v30, off
	v_cvt_i32_f32_e32 v30, v31
	v_exp_f32_e32 v27, v27
	v_cmp_ngt_f32_e32 vcc, s46, v26
	global_store_dword v[18:19], v28, off
	s_add_i32 s48, s48, -1
	v_ldexp_f32 v27, v27, v30
	v_cndmask_b32_e32 v27, 0, v27, vcc
	v_cmp_nlt_f32_e32 vcc, s47, v26
	v_cndmask_b32_e32 v26, v29, v27, vcc
	v_add_co_u32_e32 v18, vcc, 4, v18
	v_addc_co_u32_e32 v19, vcc, 0, v19, vcc
	v_add_co_u32_e32 v20, vcc, 4, v20
	v_addc_co_u32_e32 v21, vcc, 0, v21, vcc
	global_store_dword v[22:23], v26, off
	v_add_co_u32_e32 v22, vcc, 4, v22
	v_add_f32_e32 v24, v24, v26
	v_cndmask_b32_e64 v15, v17, v15, s[2:3]
	v_cndmask_b32_e64 v14, v17, v14, s[4:5]
	;; [unrolled: 1-line block ×16, first 2 shown]
	v_add_u32_e32 v28, s33, v28
	s_cmp_eq_u32 s48, 0
	v_addc_co_u32_e32 v23, vcc, 0, v23, vcc
	s_cbranch_scc0 .LBB250_7
.LBB250_8:
	v_cmp_neq_f32_e32 vcc, 0, v24
	s_and_b64 exec, exec, vcc
	s_cbranch_execz .LBB250_19
; %bb.9:
	s_andn2_b64 vcc, exec, s[44:45]
	s_cbranch_vccnz .LBB250_19
; %bb.10:
	s_waitcnt vmcnt(2)
	v_div_scale_f32 v0, s[0:1], v24, v24, 1.0
	v_rcp_f32_e32 v1, v0
	v_div_scale_f32 v2, vcc, 1.0, v24, 1.0
	s_cmp_gt_u32 s36, 3
	v_fma_f32 v3, -v0, v1, 1.0
	v_fmac_f32_e32 v1, v3, v1
	v_mul_f32_e32 v3, v2, v1
	s_waitcnt vmcnt(1)
	v_fma_f32 v4, -v0, v3, v2
	v_fmac_f32_e32 v3, v4, v1
	v_fma_f32 v0, -v0, v3, v2
	v_div_fmas_f32 v0, v0, v1, v3
	v_div_fixup_f32 v0, v0, v24, 1.0
	v_ashrrev_i32_e32 v17, 31, v16
	s_cbranch_scc0 .LBB250_14
; %bb.11:
	v_lshlrev_b64 v[2:3], 2, v[16:17]
	v_mov_b32_e32 v4, s41
	v_add_co_u32_e32 v2, vcc, s40, v2
	v_addc_co_u32_e32 v3, vcc, v3, v4, vcc
	s_and_b32 s4, s36, 0x7ffffffc
	v_add_co_u32_e32 v2, vcc, 8, v2
	v_mov_b32_e32 v1, v0
	v_addc_co_u32_e32 v3, vcc, 0, v3, vcc
	s_mov_b32 s0, s4
.LBB250_12:                             ; =>This Inner Loop Header: Depth=1
	global_load_dwordx4 v[4:7], v[2:3], off offset:-8
	s_add_i32 s0, s0, -4
	s_cmp_lg_u32 s0, 0
	s_waitcnt vmcnt(0)
	v_pk_mul_f32 v[4:5], v[0:1], v[4:5]
	v_pk_mul_f32 v[6:7], v[0:1], v[6:7]
	global_store_dwordx4 v[2:3], v[4:7], off offset:-8
	v_add_co_u32_e32 v2, vcc, 16, v2
	v_addc_co_u32_e32 v3, vcc, 0, v3, vcc
	s_cbranch_scc1 .LBB250_12
; %bb.13:
	s_cmp_lg_u32 s4, s36
	s_cselect_b64 s[0:1], -1, 0
	s_branch .LBB250_16
.LBB250_14:
	s_mov_b64 s[0:1], 0
                                        ; implicit-def: $sgpr4
	s_cbranch_execz .LBB250_16
; %bb.15:
	s_mov_b64 s[0:1], -1
	s_mov_b32 s4, 0
.LBB250_16:
	s_andn2_b64 vcc, exec, s[0:1]
	s_cbranch_vccnz .LBB250_19
; %bb.17:
	v_add_co_u32_e32 v2, vcc, s4, v16
	v_addc_co_u32_e32 v3, vcc, 0, v17, vcc
	v_lshlrev_b64 v[2:3], 2, v[2:3]
	v_mov_b32_e32 v1, s41
	v_add_co_u32_e32 v2, vcc, s40, v2
	s_sub_i32 s0, s36, s4
	v_addc_co_u32_e32 v3, vcc, v1, v3, vcc
.LBB250_18:                             ; =>This Inner Loop Header: Depth=1
	global_load_dword v1, v[2:3], off
	s_add_i32 s0, s0, -1
	s_cmp_lg_u32 s0, 0
	s_waitcnt vmcnt(0)
	v_mul_f32_e32 v1, v0, v1
	global_store_dword v[2:3], v1, off
	v_add_co_u32_e32 v2, vcc, 4, v2
	v_addc_co_u32_e32 v3, vcc, 0, v3, vcc
	s_cbranch_scc1 .LBB250_18
.LBB250_19:
	s_endpgm
	.section	.rodata,"a",@progbits
	.p2align	6, 0x0
	.amdhsa_kernel _ZN4vllm3moe17topkGatingSoftmaxItLi16ELi16ELi8ELi32ELb1ELi1ELNS0_23SharedExpertScoringFuncE1EEEvPKT_PKbPfiPiS9_iiiiii
		.amdhsa_group_segment_fixed_size 0
		.amdhsa_private_segment_fixed_size 0
		.amdhsa_kernarg_size 72
		.amdhsa_user_sgpr_count 6
		.amdhsa_user_sgpr_private_segment_buffer 1
		.amdhsa_user_sgpr_dispatch_ptr 0
		.amdhsa_user_sgpr_queue_ptr 0
		.amdhsa_user_sgpr_kernarg_segment_ptr 1
		.amdhsa_user_sgpr_dispatch_id 0
		.amdhsa_user_sgpr_flat_scratch_init 0
		.amdhsa_user_sgpr_kernarg_preload_length 0
		.amdhsa_user_sgpr_kernarg_preload_offset 0
		.amdhsa_user_sgpr_private_segment_size 0
		.amdhsa_uses_dynamic_stack 0
		.amdhsa_system_sgpr_private_segment_wavefront_offset 0
		.amdhsa_system_sgpr_workgroup_id_x 1
		.amdhsa_system_sgpr_workgroup_id_y 0
		.amdhsa_system_sgpr_workgroup_id_z 0
		.amdhsa_system_sgpr_workgroup_info 0
		.amdhsa_system_vgpr_workitem_id 1
		.amdhsa_next_free_vgpr 41
		.amdhsa_next_free_sgpr 49
		.amdhsa_accum_offset 44
		.amdhsa_reserve_vcc 1
		.amdhsa_reserve_flat_scratch 0
		.amdhsa_float_round_mode_32 0
		.amdhsa_float_round_mode_16_64 0
		.amdhsa_float_denorm_mode_32 3
		.amdhsa_float_denorm_mode_16_64 3
		.amdhsa_dx10_clamp 1
		.amdhsa_ieee_mode 1
		.amdhsa_fp16_overflow 0
		.amdhsa_tg_split 0
		.amdhsa_exception_fp_ieee_invalid_op 0
		.amdhsa_exception_fp_denorm_src 0
		.amdhsa_exception_fp_ieee_div_zero 0
		.amdhsa_exception_fp_ieee_overflow 0
		.amdhsa_exception_fp_ieee_underflow 0
		.amdhsa_exception_fp_ieee_inexact 0
		.amdhsa_exception_int_div_zero 0
	.end_amdhsa_kernel
	.section	.text._ZN4vllm3moe17topkGatingSoftmaxItLi16ELi16ELi8ELi32ELb1ELi1ELNS0_23SharedExpertScoringFuncE1EEEvPKT_PKbPfiPiS9_iiiiii,"axG",@progbits,_ZN4vllm3moe17topkGatingSoftmaxItLi16ELi16ELi8ELi32ELb1ELi1ELNS0_23SharedExpertScoringFuncE1EEEvPKT_PKbPfiPiS9_iiiiii,comdat
.Lfunc_end250:
	.size	_ZN4vllm3moe17topkGatingSoftmaxItLi16ELi16ELi8ELi32ELb1ELi1ELNS0_23SharedExpertScoringFuncE1EEEvPKT_PKbPfiPiS9_iiiiii, .Lfunc_end250-_ZN4vllm3moe17topkGatingSoftmaxItLi16ELi16ELi8ELi32ELb1ELi1ELNS0_23SharedExpertScoringFuncE1EEEvPKT_PKbPfiPiS9_iiiiii
                                        ; -- End function
	.section	.AMDGPU.csdata,"",@progbits
; Kernel info:
; codeLenInByte = 2584
; NumSgprs: 53
; NumVgprs: 41
; NumAgprs: 0
; TotalNumVgprs: 41
; ScratchSize: 0
; MemoryBound: 0
; FloatMode: 240
; IeeeMode: 1
; LDSByteSize: 0 bytes/workgroup (compile time only)
; SGPRBlocks: 6
; VGPRBlocks: 5
; NumSGPRsForWavesPerEU: 53
; NumVGPRsForWavesPerEU: 41
; AccumOffset: 44
; Occupancy: 8
; WaveLimiterHint : 0
; COMPUTE_PGM_RSRC2:SCRATCH_EN: 0
; COMPUTE_PGM_RSRC2:USER_SGPR: 6
; COMPUTE_PGM_RSRC2:TRAP_HANDLER: 0
; COMPUTE_PGM_RSRC2:TGID_X_EN: 1
; COMPUTE_PGM_RSRC2:TGID_Y_EN: 0
; COMPUTE_PGM_RSRC2:TGID_Z_EN: 0
; COMPUTE_PGM_RSRC2:TIDIG_COMP_CNT: 1
; COMPUTE_PGM_RSRC3_GFX90A:ACCUM_OFFSET: 10
; COMPUTE_PGM_RSRC3_GFX90A:TG_SPLIT: 0
	.section	.text._ZN4vllm3moe17topkGatingSoftmaxItLi16ELi16ELi8ELi32ELb0ELi1ELNS0_23SharedExpertScoringFuncE1EEEvPKT_PKbPfiPiS9_iiiiii,"axG",@progbits,_ZN4vllm3moe17topkGatingSoftmaxItLi16ELi16ELi8ELi32ELb0ELi1ELNS0_23SharedExpertScoringFuncE1EEEvPKT_PKbPfiPiS9_iiiiii,comdat
	.protected	_ZN4vllm3moe17topkGatingSoftmaxItLi16ELi16ELi8ELi32ELb0ELi1ELNS0_23SharedExpertScoringFuncE1EEEvPKT_PKbPfiPiS9_iiiiii ; -- Begin function _ZN4vllm3moe17topkGatingSoftmaxItLi16ELi16ELi8ELi32ELb0ELi1ELNS0_23SharedExpertScoringFuncE1EEEvPKT_PKbPfiPiS9_iiiiii
	.globl	_ZN4vllm3moe17topkGatingSoftmaxItLi16ELi16ELi8ELi32ELb0ELi1ELNS0_23SharedExpertScoringFuncE1EEEvPKT_PKbPfiPiS9_iiiiii
	.p2align	8
	.type	_ZN4vllm3moe17topkGatingSoftmaxItLi16ELi16ELi8ELi32ELb0ELi1ELNS0_23SharedExpertScoringFuncE1EEEvPKT_PKbPfiPiS9_iiiiii,@function
_ZN4vllm3moe17topkGatingSoftmaxItLi16ELi16ELi8ELi32ELb0ELi1ELNS0_23SharedExpertScoringFuncE1EEEvPKT_PKbPfiPiS9_iiiiii: ; @_ZN4vllm3moe17topkGatingSoftmaxItLi16ELi16ELi8ELi32ELb0ELi1ELNS0_23SharedExpertScoringFuncE1EEEvPKT_PKbPfiPiS9_iiiiii
; %bb.0:
	s_load_dword s33, s[4:5], 0x18
	v_bfe_u32 v1, v0, 10, 10
	s_lshl_b32 s50, s6, 9
	v_lshlrev_b32_e32 v28, 6, v1
	v_and_b32_e32 v29, 0x3ff, v0
	v_add3_u32 v22, v28, v29, s50
	s_waitcnt lgkmcnt(0)
	v_cmp_gt_i32_e32 vcc, s33, v22
	s_and_saveexec_b64 s[0:1], vcc
	s_cbranch_execz .LBB251_19
; %bb.1:
	s_load_dwordx4 s[0:3], s[4:5], 0x0
	s_load_dwordx2 s[44:45], s[4:5], 0x10
	s_waitcnt lgkmcnt(0)
	s_cmp_eq_u64 s[2:3], 0
	s_cbranch_scc1 .LBB251_3
; %bb.2:
	v_ashrrev_i32_e32 v1, 31, v22
	v_mov_b32_e32 v2, s3
	v_add_co_u32_e32 v0, vcc, s2, v22
	v_addc_co_u32_e32 v1, vcc, v2, v1, vcc
	global_load_ubyte v0, v[0:1], off
	s_waitcnt vmcnt(0)
	v_and_b32_e32 v0, 1, v0
	v_cmp_eq_u32_e32 vcc, 1, v0
	s_xor_b64 s[2:3], vcc, -1
	s_orn2_b64 s[48:49], s[2:3], exec
	s_branch .LBB251_4
.LBB251_3:
	s_mov_b64 s[48:49], -1
.LBB251_4:
	s_load_dwordx2 s[30:31], s[4:5], 0x40
	s_load_dwordx4 s[36:39], s[4:5], 0x30
	v_mov_b32_e32 v2, s1
	v_mov_b32_e32 v3, s45
	s_mov_b32 s1, 0x42ce8ed0
	s_waitcnt lgkmcnt(0)
	v_mul_lo_u32 v0, v22, s31
	v_ashrrev_i32_e32 v1, 31, v0
	v_lshlrev_b64 v[0:1], 1, v[0:1]
	v_add_co_u32_e32 v0, vcc, s0, v0
	v_addc_co_u32_e32 v1, vcc, v2, v1, vcc
	global_load_ushort v2, v[0:1], off offset:32
	global_load_dwordx4 v[4:7], v[0:1], off
	global_load_dwordx4 v[12:15], v[0:1], off offset:16
	s_mov_b32 s0, 0xbfb8aa3b
	v_mul_lo_u32 v16, v22, s39
	v_add_u32_e32 v0, s36, v16
	v_ashrrev_i32_e32 v1, 31, v0
	v_lshlrev_b64 v[0:1], 2, v[0:1]
	s_mov_b32 s2, 0xc2b17218
	v_mov_b32_e32 v26, 0x7f800000
	s_cmp_gt_i32 s36, 0
	s_cselect_b64 s[46:47], -1, 0
	s_cmp_lt_i32 s36, 1
	s_waitcnt vmcnt(2)
	v_cvt_f32_u32_e32 v8, v2
	v_mul_f32_e32 v2, 0xbfb8aa3b, v8
	v_fma_f32 v9, v8, s0, -v2
	v_rndne_f32_e32 v10, v2
	v_fmac_f32_e32 v9, 0xb2a5705f, v8
	v_sub_f32_e32 v2, v2, v10
	v_add_f32_e32 v2, v2, v9
	v_cvt_i32_f32_e32 v10, v10
	v_exp_f32_e32 v9, v2
	v_add_co_u32_e32 v2, vcc, s44, v0
	v_addc_co_u32_e32 v3, vcc, v3, v1, vcc
	v_ldexp_f32 v0, v9, v10
	v_cmp_nlt_f32_e32 vcc, s1, v8
	v_cndmask_b32_e32 v0, 0, v0, vcc
	v_cmp_ngt_f32_e32 vcc, s2, v8
	v_cndmask_b32_e32 v0, v26, v0, vcc
	v_add_f32_e32 v8, 1.0, v0
	v_div_scale_f32 v9, s[0:1], v8, v8, 1.0
	v_rcp_f32_e32 v10, v9
	s_waitcnt vmcnt(1)
	v_cvt_f32_u32_sdwa v1, v4 dst_sel:DWORD dst_unused:UNUSED_PAD src0_sel:WORD_1
	v_cvt_f32_u32_sdwa v0, v4 dst_sel:DWORD dst_unused:UNUSED_PAD src0_sel:WORD_0
	v_div_scale_f32 v4, vcc, 1.0, v8, 1.0
	v_fma_f32 v11, -v9, v10, 1.0
	v_fmac_f32_e32 v10, v11, v10
	v_mul_f32_e32 v11, v4, v10
	v_fma_f32 v17, -v9, v11, v4
	v_fmac_f32_e32 v11, v17, v10
	v_fma_f32 v4, -v9, v11, v4
	v_div_fmas_f32 v4, v4, v10, v11
	v_div_fixup_f32 v4, v4, v8, 1.0
	global_store_dword v[2:3], v4, off
	v_cvt_f32_u32_sdwa v2, v5 dst_sel:DWORD dst_unused:UNUSED_PAD src0_sel:WORD_0
	v_cmp_lt_f32_e32 vcc, v0, v1
	v_cndmask_b32_e32 v3, v0, v1, vcc
	v_cmp_lt_f32_e64 s[0:1], v3, v2
	v_cndmask_b32_e64 v4, v3, v2, s[0:1]
	v_cvt_f32_u32_sdwa v3, v5 dst_sel:DWORD dst_unused:UNUSED_PAD src0_sel:WORD_1
	v_cmp_lt_f32_e64 s[2:3], v4, v3
	v_cndmask_b32_e64 v5, v4, v3, s[2:3]
	v_cvt_f32_u32_sdwa v4, v6 dst_sel:DWORD dst_unused:UNUSED_PAD src0_sel:WORD_0
	v_cmp_lt_f32_e64 s[6:7], v5, v4
	v_cndmask_b32_e64 v8, v5, v4, s[6:7]
	v_cvt_f32_u32_sdwa v5, v6 dst_sel:DWORD dst_unused:UNUSED_PAD src0_sel:WORD_1
	v_cvt_f32_u32_sdwa v6, v7 dst_sel:DWORD dst_unused:UNUSED_PAD src0_sel:WORD_0
	v_cvt_f32_u32_sdwa v7, v7 dst_sel:DWORD dst_unused:UNUSED_PAD src0_sel:WORD_1
	v_cmp_lt_f32_e64 s[8:9], v8, v5
	v_cndmask_b32_e64 v8, v8, v5, s[8:9]
	v_cmp_lt_f32_e64 s[10:11], v8, v6
	v_cndmask_b32_e64 v8, v8, v6, s[10:11]
	;; [unrolled: 2-line block ×3, first 2 shown]
	s_waitcnt vmcnt(1)
	v_cvt_f32_u32_sdwa v8, v12 dst_sel:DWORD dst_unused:UNUSED_PAD src0_sel:WORD_0
	v_cmp_lt_f32_e64 s[14:15], v9, v8
	v_cndmask_b32_e64 v10, v9, v8, s[14:15]
	v_cvt_f32_u32_sdwa v9, v12 dst_sel:DWORD dst_unused:UNUSED_PAD src0_sel:WORD_1
	v_cmp_lt_f32_e64 s[16:17], v10, v9
	v_cndmask_b32_e64 v11, v10, v9, s[16:17]
	v_cvt_f32_u32_sdwa v10, v13 dst_sel:DWORD dst_unused:UNUSED_PAD src0_sel:WORD_0
	v_cmp_lt_f32_e64 s[18:19], v11, v10
	v_cndmask_b32_e64 v12, v11, v10, s[18:19]
	v_cvt_f32_u32_sdwa v11, v13 dst_sel:DWORD dst_unused:UNUSED_PAD src0_sel:WORD_1
	v_cmp_lt_f32_e64 s[20:21], v12, v11
	v_cndmask_b32_e64 v13, v12, v11, s[20:21]
	v_cvt_f32_u32_sdwa v12, v14 dst_sel:DWORD dst_unused:UNUSED_PAD src0_sel:WORD_0
	v_cmp_lt_f32_e64 s[22:23], v13, v12
	v_cndmask_b32_e64 v17, v13, v12, s[22:23]
	v_cvt_f32_u32_sdwa v13, v14 dst_sel:DWORD dst_unused:UNUSED_PAD src0_sel:WORD_1
	v_cvt_f32_u32_sdwa v14, v15 dst_sel:DWORD dst_unused:UNUSED_PAD src0_sel:WORD_0
	v_cvt_f32_u32_sdwa v15, v15 dst_sel:DWORD dst_unused:UNUSED_PAD src0_sel:WORD_1
	v_cmp_lt_f32_e64 s[24:25], v17, v13
	v_cndmask_b32_e64 v17, v17, v13, s[24:25]
	v_cmp_lt_f32_e64 s[26:27], v17, v14
	v_cndmask_b32_e64 v17, v17, v14, s[26:27]
	;; [unrolled: 2-line block ×3, first 2 shown]
	v_mov_b32_e32 v17, 0
	s_cbranch_scc1 .LBB251_8
; %bb.5:
	s_load_dwordx4 s[40:43], s[4:5], 0x20
	v_mul_lo_u32 v18, v22, s30
	v_ashrrev_i32_e32 v19, 31, v18
	v_lshlrev_b64 v[20:21], 2, v[18:19]
	v_sub_f32_e32 v32, v27, v27
	s_waitcnt lgkmcnt(0)
	v_mov_b32_e32 v17, s41
	v_add_co_u32_e64 v18, s[4:5], s40, v20
	v_addc_co_u32_e64 v19, s[4:5], v17, v21, s[4:5]
	v_cndmask_b32_e64 v17, 0, 1, vcc
	v_cndmask_b32_e64 v17, v17, 2, s[0:1]
	v_cndmask_b32_e64 v17, v17, 3, s[2:3]
	;; [unrolled: 1-line block ×14, first 2 shown]
	v_cmp_le_i32_e32 vcc, s37, v31
	v_cmp_gt_i32_e64 s[0:1], s38, v31
	s_and_b64 s[0:1], vcc, s[0:1]
	v_subrev_u32_e32 v17, s37, v31
	s_and_b64 vcc, s[48:49], s[0:1]
	v_cndmask_b32_e32 v17, 16, v17, vcc
	global_store_dword v[18:19], v17, off
	v_mul_lo_u32 v18, v22, s36
	v_ashrrev_i32_e32 v19, 31, v18
	v_lshlrev_b64 v[18:19], 2, v[18:19]
	v_mov_b32_e32 v17, s43
	v_add_co_u32_e32 v24, vcc, s42, v18
	v_addc_co_u32_e32 v25, vcc, v17, v19, vcc
	v_mul_f32_e32 v17, 0x3fb8aa3b, v32
	global_store_dword v[24:25], v22, off
	s_mov_b32 s39, 0x3fb8aa3b
	v_rndne_f32_e32 v22, v17
	v_sub_f32_e32 v23, v17, v22
	v_fma_f32 v17, v32, s39, -v17
	v_fmac_f32_e32 v17, 0x32a5705f, v32
	v_add_f32_e32 v17, v23, v17
	v_exp_f32_e32 v17, v17
	v_cvt_i32_f32_e32 v22, v22
	v_mov_b32_e32 v25, s45
	s_mov_b32 s51, 0xc2ce8ed0
	v_cmp_ngt_f32_e64 s[34:35], s51, v32
	v_ldexp_f32 v33, v17, v22
	v_ashrrev_i32_e32 v17, 31, v16
	v_lshlrev_b64 v[22:23], 2, v[16:17]
	v_add_co_u32_e32 v24, vcc, s44, v22
	v_addc_co_u32_e64 v25, s[0:1], v25, v23, vcc
	s_mov_b32 s52, 0x42b17218
	v_mov_b32_e32 v30, 0xff800000
	v_cmp_ne_u32_e64 s[0:1], 15, v31
	v_cmp_ne_u32_e64 s[2:3], 14, v31
	;; [unrolled: 1-line block ×16, first 2 shown]
	v_cndmask_b32_e64 v17, 0, v33, s[34:35]
	v_cmp_nlt_f32_e64 s[34:35], s52, v32
	v_cndmask_b32_e64 v17, v26, v17, s[34:35]
	v_cndmask_b32_e64 v15, v30, v15, s[0:1]
	;; [unrolled: 1-line block ×16, first 2 shown]
	s_cmp_eq_u32 s36, 1
	v_cndmask_b32_e64 v0, v30, v0, s[30:31]
	global_store_dword v[24:25], v17, off
	s_cbranch_scc1 .LBB251_8
; %bb.6:
	v_mov_b32_e32 v22, s43
	v_add_co_u32_e64 v18, s[0:1], s42, v18
	v_addc_co_u32_e64 v19, s[0:1], v19, v22, s[0:1]
	v_add_co_u32_e64 v18, s[0:1], 4, v18
	v_addc_co_u32_e64 v19, s[0:1], 0, v19, s[0:1]
	v_mov_b32_e32 v22, s41
	v_add_co_u32_e64 v20, s[0:1], s40, v20
	v_addc_co_u32_e64 v21, s[0:1], v21, v22, s[0:1]
	v_mov_b32_e32 v22, s45
	v_addc_co_u32_e32 v23, vcc, v23, v22, vcc
	v_add_co_u32_e64 v20, s[0:1], 4, v20
	v_add_co_u32_e32 v22, vcc, 4, v24
	s_add_i32 s50, s50, s33
	v_addc_co_u32_e64 v21, s[0:1], 0, v21, s[0:1]
	v_addc_co_u32_e32 v23, vcc, 0, v23, vcc
	s_add_i32 s40, s36, -1
	v_add3_u32 v24, s50, v29, v28
	v_mov_b32_e32 v25, 0x7f800000
.LBB251_7:                              ; =>This Inner Loop Header: Depth=1
	v_cmp_gt_f32_e32 vcc, v1, v0
	v_cndmask_b32_e32 v28, v0, v1, vcc
	v_cmp_gt_f32_e64 s[0:1], v2, v28
	v_cndmask_b32_e64 v28, v28, v2, s[0:1]
	v_cmp_gt_f32_e64 s[2:3], v3, v28
	v_cndmask_b32_e64 v28, v28, v3, s[2:3]
	;; [unrolled: 2-line block ×14, first 2 shown]
	v_sub_f32_e32 v28, v28, v27
	v_mul_f32_e32 v29, 0x3fb8aa3b, v28
	v_fma_f32 v31, v28, s39, -v29
	v_rndne_f32_e32 v32, v29
	v_fmac_f32_e32 v31, 0x32a5705f, v28
	v_sub_f32_e32 v29, v29, v32
	v_add_f32_e32 v29, v29, v31
	v_cndmask_b32_e64 v31, 0, 1, vcc
	v_cndmask_b32_e64 v31, v31, 2, s[0:1]
	v_cndmask_b32_e64 v31, v31, 3, s[2:3]
	;; [unrolled: 1-line block ×14, first 2 shown]
	v_cmp_le_i32_e32 vcc, s37, v31
	v_cmp_gt_i32_e64 s[0:1], s38, v31
	s_and_b64 s[0:1], vcc, s[0:1]
	v_cmp_ne_u32_e64 s[2:3], 15, v31
	v_cmp_ne_u32_e64 s[4:5], 14, v31
	;; [unrolled: 1-line block ×16, first 2 shown]
	v_subrev_u32_e32 v31, s37, v31
	s_and_b64 vcc, s[48:49], s[0:1]
	v_cndmask_b32_e32 v31, 16, v31, vcc
	global_store_dword v[20:21], v31, off
	v_cvt_i32_f32_e32 v31, v32
	v_exp_f32_e32 v29, v29
	v_cmp_ngt_f32_e32 vcc, s51, v28
	global_store_dword v[18:19], v24, off
	s_add_i32 s40, s40, -1
	v_ldexp_f32 v29, v29, v31
	v_cndmask_b32_e32 v29, 0, v29, vcc
	v_cmp_nlt_f32_e32 vcc, s52, v28
	v_cndmask_b32_e32 v28, v25, v29, vcc
	v_add_co_u32_e32 v18, vcc, 4, v18
	v_addc_co_u32_e32 v19, vcc, 0, v19, vcc
	v_add_co_u32_e32 v20, vcc, 4, v20
	v_addc_co_u32_e32 v21, vcc, 0, v21, vcc
	global_store_dword v[22:23], v28, off
	v_add_co_u32_e32 v22, vcc, 4, v22
	v_add_f32_e32 v17, v17, v28
	v_cndmask_b32_e64 v15, v30, v15, s[2:3]
	v_cndmask_b32_e64 v14, v30, v14, s[4:5]
	;; [unrolled: 1-line block ×16, first 2 shown]
	v_add_u32_e32 v24, s33, v24
	s_cmp_eq_u32 s40, 0
	v_addc_co_u32_e32 v23, vcc, 0, v23, vcc
	s_cbranch_scc0 .LBB251_7
.LBB251_8:
	v_sub_f32_e32 v0, v0, v27
	s_mov_b32 s2, 0x3fb8aa3b
	v_mul_f32_e32 v18, 0x3fb8aa3b, v0
	v_fma_f32 v19, v0, s2, -v18
	v_rndne_f32_e32 v20, v18
	v_fmac_f32_e32 v19, 0x32a5705f, v0
	v_sub_f32_e32 v18, v18, v20
	v_add_f32_e32 v18, v18, v19
	v_exp_f32_e32 v18, v18
	v_cvt_i32_f32_e32 v19, v20
	v_sub_f32_e32 v1, v1, v27
	s_mov_b32 s4, 0xc2ce8ed0
	s_mov_b32 s3, 0x42b17218
	v_ldexp_f32 v18, v18, v19
	v_mul_f32_e32 v19, 0x3fb8aa3b, v1
	v_fma_f32 v20, v1, s2, -v19
	v_rndne_f32_e32 v21, v19
	v_fmac_f32_e32 v20, 0x32a5705f, v1
	v_sub_f32_e32 v19, v19, v21
	v_add_f32_e32 v19, v19, v20
	v_exp_f32_e32 v19, v19
	v_cvt_i32_f32_e32 v20, v21
	v_cmp_ngt_f32_e32 vcc, s4, v1
	v_cmp_ngt_f32_e64 s[0:1], s4, v0
	v_sub_f32_e32 v2, v2, v27
	v_ldexp_f32 v19, v19, v20
	v_cndmask_b32_e32 v19, 0, v19, vcc
	v_cmp_nlt_f32_e32 vcc, s3, v1
	v_cndmask_b32_e64 v1, 0, v18, s[0:1]
	v_cmp_nlt_f32_e64 s[0:1], s3, v0
	v_cndmask_b32_e64 v0, v26, v1, s[0:1]
	v_cndmask_b32_e32 v1, v26, v19, vcc
	v_add_f32_e32 v0, v0, v1
	v_mul_f32_e32 v1, 0x3fb8aa3b, v2
	v_fma_f32 v18, v2, s2, -v1
	v_rndne_f32_e32 v19, v1
	v_fmac_f32_e32 v18, 0x32a5705f, v2
	v_sub_f32_e32 v1, v1, v19
	v_add_f32_e32 v1, v1, v18
	v_exp_f32_e32 v1, v1
	v_cvt_i32_f32_e32 v18, v19
	v_cmp_ngt_f32_e32 vcc, s4, v2
	v_sub_f32_e32 v3, v3, v27
	v_sub_f32_e32 v4, v4, v27
	v_ldexp_f32 v1, v1, v18
	v_cndmask_b32_e32 v1, 0, v1, vcc
	v_cmp_nlt_f32_e32 vcc, s3, v2
	v_cndmask_b32_e32 v1, v26, v1, vcc
	v_add_f32_e32 v0, v0, v1
	v_mul_f32_e32 v1, 0x3fb8aa3b, v3
	v_fma_f32 v2, v3, s2, -v1
	v_rndne_f32_e32 v18, v1
	v_fmac_f32_e32 v2, 0x32a5705f, v3
	v_sub_f32_e32 v1, v1, v18
	v_add_f32_e32 v1, v1, v2
	v_exp_f32_e32 v1, v1
	v_cvt_i32_f32_e32 v2, v18
	v_cmp_ngt_f32_e32 vcc, s4, v3
	v_sub_f32_e32 v5, v5, v27
	v_sub_f32_e32 v6, v6, v27
	v_ldexp_f32 v1, v1, v2
	v_cndmask_b32_e32 v1, 0, v1, vcc
	v_cmp_nlt_f32_e32 vcc, s3, v3
	;; [unrolled: 16-line block ×5, first 2 shown]
	v_cndmask_b32_e32 v1, v26, v1, vcc
	v_add_f32_e32 v0, v0, v1
	v_mul_f32_e32 v1, 0x3fb8aa3b, v7
	v_fma_f32 v2, v7, s2, -v1
	v_rndne_f32_e32 v3, v1
	v_fmac_f32_e32 v2, 0x32a5705f, v7
	v_sub_f32_e32 v1, v1, v3
	v_add_f32_e32 v1, v1, v2
	v_exp_f32_e32 v1, v1
	v_cvt_i32_f32_e32 v2, v3
	v_cmp_ngt_f32_e32 vcc, s4, v7
	v_ldexp_f32 v1, v1, v2
	v_mul_f32_e32 v2, 0x3fb8aa3b, v8
	v_fma_f32 v3, v8, s2, -v2
	v_rndne_f32_e32 v4, v2
	v_fmac_f32_e32 v3, 0x32a5705f, v8
	v_sub_f32_e32 v2, v2, v4
	v_add_f32_e32 v2, v2, v3
	v_exp_f32_e32 v2, v2
	v_cvt_i32_f32_e32 v3, v4
	v_cndmask_b32_e32 v1, 0, v1, vcc
	v_cmp_nlt_f32_e32 vcc, s3, v7
	v_cndmask_b32_e32 v1, v26, v1, vcc
	v_add_f32_e32 v0, v0, v1
	v_ldexp_f32 v1, v2, v3
	v_mul_f32_e32 v2, 0x3fb8aa3b, v9
	v_fma_f32 v3, v9, s2, -v2
	v_rndne_f32_e32 v4, v2
	v_fmac_f32_e32 v3, 0x32a5705f, v9
	v_sub_f32_e32 v2, v2, v4
	v_add_f32_e32 v2, v2, v3
	v_exp_f32_e32 v2, v2
	v_cvt_i32_f32_e32 v3, v4
	v_cmp_ngt_f32_e32 vcc, s4, v8
	v_cndmask_b32_e32 v1, 0, v1, vcc
	v_cmp_nlt_f32_e32 vcc, s3, v8
	v_cndmask_b32_e32 v1, v26, v1, vcc
	v_add_f32_e32 v0, v0, v1
	v_ldexp_f32 v1, v2, v3
	v_mul_f32_e32 v2, 0x3fb8aa3b, v10
	v_fma_f32 v3, v10, s2, -v2
	v_rndne_f32_e32 v4, v2
	v_fmac_f32_e32 v3, 0x32a5705f, v10
	v_sub_f32_e32 v2, v2, v4
	v_add_f32_e32 v2, v2, v3
	v_exp_f32_e32 v2, v2
	v_cvt_i32_f32_e32 v3, v4
	v_cmp_ngt_f32_e32 vcc, s4, v9
	;; [unrolled: 14-line block ×4, first 2 shown]
	v_cndmask_b32_e32 v1, 0, v1, vcc
	v_cmp_nlt_f32_e32 vcc, s3, v11
	v_cndmask_b32_e32 v1, v26, v1, vcc
	v_add_f32_e32 v0, v0, v1
	v_ldexp_f32 v1, v2, v3
	v_sub_f32_e32 v2, v13, v27
	v_mul_f32_e32 v3, 0x3fb8aa3b, v2
	v_fma_f32 v4, v2, s2, -v3
	v_rndne_f32_e32 v5, v3
	v_fmac_f32_e32 v4, 0x32a5705f, v2
	v_sub_f32_e32 v3, v3, v5
	v_add_f32_e32 v3, v3, v4
	v_exp_f32_e32 v3, v3
	v_cvt_i32_f32_e32 v4, v5
	v_cmp_ngt_f32_e32 vcc, s4, v12
	v_cndmask_b32_e32 v1, 0, v1, vcc
	v_cmp_nlt_f32_e32 vcc, s3, v12
	v_cndmask_b32_e32 v1, v26, v1, vcc
	v_add_f32_e32 v0, v0, v1
	v_ldexp_f32 v1, v3, v4
	v_sub_f32_e32 v3, v14, v27
	v_mul_f32_e32 v4, 0x3fb8aa3b, v3
	v_fma_f32 v5, v3, s2, -v4
	v_rndne_f32_e32 v6, v4
	v_fmac_f32_e32 v5, 0x32a5705f, v3
	v_sub_f32_e32 v4, v4, v6
	v_add_f32_e32 v4, v4, v5
	v_exp_f32_e32 v4, v4
	v_cvt_i32_f32_e32 v5, v6
	v_cmp_ngt_f32_e32 vcc, s4, v2
	v_cndmask_b32_e32 v1, 0, v1, vcc
	v_cmp_nlt_f32_e32 vcc, s3, v2
	v_cndmask_b32_e32 v1, v26, v1, vcc
	v_sub_f32_e32 v2, v15, v27
	v_add_f32_e32 v0, v0, v1
	v_ldexp_f32 v1, v4, v5
	v_mul_f32_e32 v4, 0x3fb8aa3b, v2
	v_fma_f32 v5, v2, s2, -v4
	v_rndne_f32_e32 v6, v4
	v_fmac_f32_e32 v5, 0x32a5705f, v2
	v_sub_f32_e32 v4, v4, v6
	v_add_f32_e32 v4, v4, v5
	v_exp_f32_e32 v4, v4
	v_cvt_i32_f32_e32 v5, v6
	v_cmp_ngt_f32_e32 vcc, s4, v3
	v_cndmask_b32_e32 v1, 0, v1, vcc
	v_cmp_nlt_f32_e32 vcc, s3, v3
	v_cndmask_b32_e32 v1, v26, v1, vcc
	v_add_f32_e32 v0, v0, v1
	v_ldexp_f32 v1, v4, v5
	v_cmp_ngt_f32_e32 vcc, s4, v2
	v_cndmask_b32_e32 v1, 0, v1, vcc
	v_cmp_nlt_f32_e32 vcc, s3, v2
	v_cndmask_b32_e32 v1, v26, v1, vcc
	v_add_f32_e32 v0, v0, v1
	v_add_f32_e32 v0, v17, v0
	v_cmp_neq_f32_e32 vcc, 0, v0
	s_and_b64 exec, exec, vcc
	s_cbranch_execz .LBB251_19
; %bb.9:
	s_andn2_b64 vcc, exec, s[46:47]
	s_cbranch_vccnz .LBB251_19
; %bb.10:
	v_div_scale_f32 v1, s[0:1], v0, v0, 1.0
	v_rcp_f32_e32 v2, v1
	v_div_scale_f32 v3, vcc, 1.0, v0, 1.0
	s_cmp_gt_u32 s36, 3
	v_fma_f32 v4, -v1, v2, 1.0
	v_fmac_f32_e32 v2, v4, v2
	v_mul_f32_e32 v4, v3, v2
	v_fma_f32 v5, -v1, v4, v3
	v_fmac_f32_e32 v4, v5, v2
	v_fma_f32 v1, -v1, v4, v3
	v_div_fmas_f32 v1, v1, v2, v4
	v_div_fixup_f32 v0, v1, v0, 1.0
	v_ashrrev_i32_e32 v17, 31, v16
	s_cbranch_scc0 .LBB251_14
; %bb.11:
	v_lshlrev_b64 v[2:3], 2, v[16:17]
	v_mov_b32_e32 v4, s45
	v_add_co_u32_e32 v2, vcc, s44, v2
	v_addc_co_u32_e32 v3, vcc, v3, v4, vcc
	s_and_b32 s4, s36, 0x7ffffffc
	v_add_co_u32_e32 v2, vcc, 8, v2
	v_mov_b32_e32 v1, v0
	v_addc_co_u32_e32 v3, vcc, 0, v3, vcc
	s_mov_b32 s0, s4
.LBB251_12:                             ; =>This Inner Loop Header: Depth=1
	global_load_dwordx4 v[4:7], v[2:3], off offset:-8
	s_add_i32 s0, s0, -4
	s_cmp_lg_u32 s0, 0
	s_waitcnt vmcnt(0)
	v_pk_mul_f32 v[4:5], v[0:1], v[4:5]
	v_pk_mul_f32 v[6:7], v[0:1], v[6:7]
	global_store_dwordx4 v[2:3], v[4:7], off offset:-8
	v_add_co_u32_e32 v2, vcc, 16, v2
	v_addc_co_u32_e32 v3, vcc, 0, v3, vcc
	s_cbranch_scc1 .LBB251_12
; %bb.13:
	s_cmp_lg_u32 s4, s36
	s_cselect_b64 s[0:1], -1, 0
	s_branch .LBB251_16
.LBB251_14:
	s_mov_b64 s[0:1], 0
                                        ; implicit-def: $sgpr4
	s_cbranch_execz .LBB251_16
; %bb.15:
	s_mov_b64 s[0:1], -1
	s_mov_b32 s4, 0
.LBB251_16:
	s_andn2_b64 vcc, exec, s[0:1]
	s_cbranch_vccnz .LBB251_19
; %bb.17:
	v_add_co_u32_e32 v2, vcc, s4, v16
	v_addc_co_u32_e32 v3, vcc, 0, v17, vcc
	v_lshlrev_b64 v[2:3], 2, v[2:3]
	v_mov_b32_e32 v1, s45
	v_add_co_u32_e32 v2, vcc, s44, v2
	s_sub_i32 s0, s36, s4
	v_addc_co_u32_e32 v3, vcc, v1, v3, vcc
.LBB251_18:                             ; =>This Inner Loop Header: Depth=1
	global_load_dword v1, v[2:3], off
	s_add_i32 s0, s0, -1
	s_cmp_lg_u32 s0, 0
	s_waitcnt vmcnt(0)
	v_mul_f32_e32 v1, v0, v1
	global_store_dword v[2:3], v1, off
	v_add_co_u32_e32 v2, vcc, 4, v2
	v_addc_co_u32_e32 v3, vcc, 0, v3, vcc
	s_cbranch_scc1 .LBB251_18
.LBB251_19:
	s_endpgm
	.section	.rodata,"a",@progbits
	.p2align	6, 0x0
	.amdhsa_kernel _ZN4vllm3moe17topkGatingSoftmaxItLi16ELi16ELi8ELi32ELb0ELi1ELNS0_23SharedExpertScoringFuncE1EEEvPKT_PKbPfiPiS9_iiiiii
		.amdhsa_group_segment_fixed_size 0
		.amdhsa_private_segment_fixed_size 0
		.amdhsa_kernarg_size 72
		.amdhsa_user_sgpr_count 6
		.amdhsa_user_sgpr_private_segment_buffer 1
		.amdhsa_user_sgpr_dispatch_ptr 0
		.amdhsa_user_sgpr_queue_ptr 0
		.amdhsa_user_sgpr_kernarg_segment_ptr 1
		.amdhsa_user_sgpr_dispatch_id 0
		.amdhsa_user_sgpr_flat_scratch_init 0
		.amdhsa_user_sgpr_kernarg_preload_length 0
		.amdhsa_user_sgpr_kernarg_preload_offset 0
		.amdhsa_user_sgpr_private_segment_size 0
		.amdhsa_uses_dynamic_stack 0
		.amdhsa_system_sgpr_private_segment_wavefront_offset 0
		.amdhsa_system_sgpr_workgroup_id_x 1
		.amdhsa_system_sgpr_workgroup_id_y 0
		.amdhsa_system_sgpr_workgroup_id_z 0
		.amdhsa_system_sgpr_workgroup_info 0
		.amdhsa_system_vgpr_workitem_id 1
		.amdhsa_next_free_vgpr 34
		.amdhsa_next_free_sgpr 53
		.amdhsa_accum_offset 36
		.amdhsa_reserve_vcc 1
		.amdhsa_reserve_flat_scratch 0
		.amdhsa_float_round_mode_32 0
		.amdhsa_float_round_mode_16_64 0
		.amdhsa_float_denorm_mode_32 3
		.amdhsa_float_denorm_mode_16_64 3
		.amdhsa_dx10_clamp 1
		.amdhsa_ieee_mode 1
		.amdhsa_fp16_overflow 0
		.amdhsa_tg_split 0
		.amdhsa_exception_fp_ieee_invalid_op 0
		.amdhsa_exception_fp_denorm_src 0
		.amdhsa_exception_fp_ieee_div_zero 0
		.amdhsa_exception_fp_ieee_overflow 0
		.amdhsa_exception_fp_ieee_underflow 0
		.amdhsa_exception_fp_ieee_inexact 0
		.amdhsa_exception_int_div_zero 0
	.end_amdhsa_kernel
	.section	.text._ZN4vllm3moe17topkGatingSoftmaxItLi16ELi16ELi8ELi32ELb0ELi1ELNS0_23SharedExpertScoringFuncE1EEEvPKT_PKbPfiPiS9_iiiiii,"axG",@progbits,_ZN4vllm3moe17topkGatingSoftmaxItLi16ELi16ELi8ELi32ELb0ELi1ELNS0_23SharedExpertScoringFuncE1EEEvPKT_PKbPfiPiS9_iiiiii,comdat
.Lfunc_end251:
	.size	_ZN4vllm3moe17topkGatingSoftmaxItLi16ELi16ELi8ELi32ELb0ELi1ELNS0_23SharedExpertScoringFuncE1EEEvPKT_PKbPfiPiS9_iiiiii, .Lfunc_end251-_ZN4vllm3moe17topkGatingSoftmaxItLi16ELi16ELi8ELi32ELb0ELi1ELNS0_23SharedExpertScoringFuncE1EEEvPKT_PKbPfiPiS9_iiiiii
                                        ; -- End function
	.section	.AMDGPU.csdata,"",@progbits
; Kernel info:
; codeLenInByte = 3960
; NumSgprs: 57
; NumVgprs: 34
; NumAgprs: 0
; TotalNumVgprs: 34
; ScratchSize: 0
; MemoryBound: 0
; FloatMode: 240
; IeeeMode: 1
; LDSByteSize: 0 bytes/workgroup (compile time only)
; SGPRBlocks: 7
; VGPRBlocks: 4
; NumSGPRsForWavesPerEU: 57
; NumVGPRsForWavesPerEU: 34
; AccumOffset: 36
; Occupancy: 8
; WaveLimiterHint : 0
; COMPUTE_PGM_RSRC2:SCRATCH_EN: 0
; COMPUTE_PGM_RSRC2:USER_SGPR: 6
; COMPUTE_PGM_RSRC2:TRAP_HANDLER: 0
; COMPUTE_PGM_RSRC2:TGID_X_EN: 1
; COMPUTE_PGM_RSRC2:TGID_Y_EN: 0
; COMPUTE_PGM_RSRC2:TGID_Z_EN: 0
; COMPUTE_PGM_RSRC2:TIDIG_COMP_CNT: 1
; COMPUTE_PGM_RSRC3_GFX90A:ACCUM_OFFSET: 8
; COMPUTE_PGM_RSRC3_GFX90A:TG_SPLIT: 0
	.section	.text._ZN4vllm3moe17topkGatingSoftmaxItLi16ELi16ELi8ELi32ELb1ELi2ELNS0_23SharedExpertScoringFuncE1EEEvPKT_PKbPfiPiS9_iiiiii,"axG",@progbits,_ZN4vllm3moe17topkGatingSoftmaxItLi16ELi16ELi8ELi32ELb1ELi2ELNS0_23SharedExpertScoringFuncE1EEEvPKT_PKbPfiPiS9_iiiiii,comdat
	.protected	_ZN4vllm3moe17topkGatingSoftmaxItLi16ELi16ELi8ELi32ELb1ELi2ELNS0_23SharedExpertScoringFuncE1EEEvPKT_PKbPfiPiS9_iiiiii ; -- Begin function _ZN4vllm3moe17topkGatingSoftmaxItLi16ELi16ELi8ELi32ELb1ELi2ELNS0_23SharedExpertScoringFuncE1EEEvPKT_PKbPfiPiS9_iiiiii
	.globl	_ZN4vllm3moe17topkGatingSoftmaxItLi16ELi16ELi8ELi32ELb1ELi2ELNS0_23SharedExpertScoringFuncE1EEEvPKT_PKbPfiPiS9_iiiiii
	.p2align	8
	.type	_ZN4vllm3moe17topkGatingSoftmaxItLi16ELi16ELi8ELi32ELb1ELi2ELNS0_23SharedExpertScoringFuncE1EEEvPKT_PKbPfiPiS9_iiiiii,@function
_ZN4vllm3moe17topkGatingSoftmaxItLi16ELi16ELi8ELi32ELb1ELi2ELNS0_23SharedExpertScoringFuncE1EEEvPKT_PKbPfiPiS9_iiiiii: ; @_ZN4vllm3moe17topkGatingSoftmaxItLi16ELi16ELi8ELi32ELb1ELi2ELNS0_23SharedExpertScoringFuncE1EEEvPKT_PKbPfiPiS9_iiiiii
; %bb.0:
	s_load_dword s33, s[4:5], 0x18
	v_bfe_u32 v1, v0, 10, 10
	s_lshl_b32 s34, s6, 9
	v_lshlrev_b32_e32 v8, 6, v1
	v_and_b32_e32 v9, 0x3ff, v0
	v_add3_u32 v10, v8, v9, s34
	s_waitcnt lgkmcnt(0)
	v_cmp_gt_i32_e32 vcc, s33, v10
	s_and_saveexec_b64 s[0:1], vcc
	s_cbranch_execz .LBB252_19
; %bb.1:
	s_load_dwordx4 s[0:3], s[4:5], 0x0
	s_load_dwordx2 s[40:41], s[4:5], 0x10
	s_waitcnt lgkmcnt(0)
	s_cmp_eq_u64 s[2:3], 0
	s_cbranch_scc1 .LBB252_3
; %bb.2:
	v_ashrrev_i32_e32 v1, 31, v10
	v_mov_b32_e32 v2, s3
	v_add_co_u32_e32 v0, vcc, s2, v10
	v_addc_co_u32_e32 v1, vcc, v2, v1, vcc
	global_load_ubyte v0, v[0:1], off
	s_waitcnt vmcnt(0)
	v_and_b32_e32 v0, 1, v0
	v_cmp_eq_u32_e32 vcc, 1, v0
	s_xor_b64 s[2:3], vcc, -1
	s_orn2_b64 s[42:43], s[2:3], exec
	s_branch .LBB252_4
.LBB252_3:
	s_mov_b64 s[42:43], -1
.LBB252_4:
	s_load_dwordx2 s[2:3], s[4:5], 0x40
	s_load_dwordx4 s[36:39], s[4:5], 0x30
	v_mov_b32_e32 v2, s1
	v_mov_b32_e32 v15, s41
	s_mov_b32 s1, 0x42ce8ed0
	s_waitcnt lgkmcnt(0)
	v_mul_lo_u32 v0, v10, s3
	v_ashrrev_i32_e32 v1, 31, v0
	v_lshlrev_b64 v[0:1], 1, v[0:1]
	v_add_co_u32_e32 v12, vcc, s0, v0
	v_addc_co_u32_e32 v13, vcc, v2, v1, vcc
	global_load_dword v14, v[12:13], off offset:32
	global_load_dwordx4 v[0:3], v[12:13], off offset:16
	global_load_dwordx4 v[4:7], v[12:13], off
	s_mov_b32 s0, 0xbfb8aa3b
	v_mul_lo_u32 v16, v10, s39
	v_add_u32_e32 v12, s36, v16
	v_ashrrev_i32_e32 v13, 31, v12
	v_lshlrev_b64 v[12:13], 2, v[12:13]
	v_add_co_u32_e32 v12, vcc, s40, v12
	v_addc_co_u32_e32 v13, vcc, v15, v13, vcc
	s_mov_b32 s3, 0xc2b17218
	v_mov_b32_e32 v11, 0x7f800000
	s_cmp_gt_i32 s36, 0
	v_mov_b32_e32 v24, 0
	s_cselect_b64 s[44:45], -1, 0
	s_cmp_lt_i32 s36, 1
	s_waitcnt vmcnt(2)
	v_cvt_f32_u32_sdwa v17, v14 dst_sel:DWORD dst_unused:UNUSED_PAD src0_sel:WORD_1
	v_cvt_f32_u32_sdwa v14, v14 dst_sel:DWORD dst_unused:UNUSED_PAD src0_sel:WORD_0
	v_mul_f32_e32 v18, 0xbfb8aa3b, v17
	v_mul_f32_e32 v19, 0xbfb8aa3b, v14
	v_fma_f32 v20, v17, s0, -v18
	v_rndne_f32_e32 v21, v18
	v_fma_f32 v22, v14, s0, -v19
	v_rndne_f32_e32 v23, v19
	v_fmac_f32_e32 v20, 0xb2a5705f, v17
	v_sub_f32_e32 v18, v18, v21
	v_fmac_f32_e32 v22, 0xb2a5705f, v14
	v_sub_f32_e32 v19, v19, v23
	v_add_f32_e32 v18, v18, v20
	v_cvt_i32_f32_e32 v21, v21
	v_add_f32_e32 v19, v19, v22
	v_exp_f32_e32 v18, v18
	v_cvt_i32_f32_e32 v23, v23
	v_exp_f32_e32 v19, v19
	v_cmp_nlt_f32_e32 vcc, s1, v17
	v_ldexp_f32 v15, v18, v21
	v_cndmask_b32_e32 v15, 0, v15, vcc
	v_ldexp_f32 v18, v19, v23
	v_cmp_nlt_f32_e32 vcc, s1, v14
	v_cndmask_b32_e32 v18, 0, v18, vcc
	v_cmp_ngt_f32_e32 vcc, s3, v17
	v_cndmask_b32_e32 v15, v11, v15, vcc
	v_cmp_ngt_f32_e32 vcc, s3, v14
	v_cndmask_b32_e32 v14, v11, v18, vcc
	v_pk_add_f32 v[14:15], v[14:15], 1.0 op_sel_hi:[1,0]
	v_div_scale_f32 v17, s[0:1], v15, v15, 1.0
	v_div_scale_f32 v19, s[0:1], v14, v14, 1.0
	v_rcp_f32_e32 v20, v17
	v_rcp_f32_e32 v21, v19
	v_div_scale_f32 v18, vcc, 1.0, v15, 1.0
	v_fma_f32 v23, -v17, v20, 1.0
	v_fma_f32 v25, -v19, v21, 1.0
	v_fmac_f32_e32 v20, v23, v20
	v_div_scale_f32 v22, s[0:1], 1.0, v14, 1.0
	v_fmac_f32_e32 v21, v25, v21
	v_mul_f32_e32 v23, v18, v20
	v_mul_f32_e32 v25, v22, v21
	v_fma_f32 v26, -v17, v23, v18
	v_fma_f32 v27, -v19, v25, v22
	v_fmac_f32_e32 v23, v26, v20
	v_fmac_f32_e32 v25, v27, v21
	v_fma_f32 v17, -v17, v23, v18
	v_fma_f32 v18, -v19, v25, v22
	v_div_fmas_f32 v17, v17, v20, v23
	s_mov_b64 vcc, s[0:1]
	v_div_fixup_f32 v15, v17, v15, 1.0
	v_div_fmas_f32 v17, v18, v21, v25
	v_div_fixup_f32 v14, v17, v14, 1.0
	global_store_dwordx2 v[12:13], v[14:15], off
	s_cbranch_scc1 .LBB252_8
; %bb.5:
	s_waitcnt vmcnt(1)
	v_cvt_f32_u32_sdwa v26, v4 dst_sel:DWORD dst_unused:UNUSED_PAD src0_sel:WORD_1
	v_cvt_f32_u32_sdwa v27, v4 dst_sel:DWORD dst_unused:UNUSED_PAD src0_sel:WORD_0
	v_cvt_f32_u32_sdwa v31, v5 dst_sel:DWORD dst_unused:UNUSED_PAD src0_sel:WORD_0
	v_cvt_f32_u32_sdwa v30, v5 dst_sel:DWORD dst_unused:UNUSED_PAD src0_sel:WORD_1
	v_cvt_f32_u32_sdwa v38, v1 dst_sel:DWORD dst_unused:UNUSED_PAD src0_sel:WORD_1
	v_cmp_lt_f32_e32 vcc, v27, v26
	v_cvt_f32_u32_sdwa v39, v1 dst_sel:DWORD dst_unused:UNUSED_PAD src0_sel:WORD_0
	v_cndmask_b32_e32 v1, v27, v26, vcc
	v_cvt_f32_u32_sdwa v33, v6 dst_sel:DWORD dst_unused:UNUSED_PAD src0_sel:WORD_0
	v_cvt_f32_u32_sdwa v36, v0 dst_sel:DWORD dst_unused:UNUSED_PAD src0_sel:WORD_1
	v_cvt_f32_u32_sdwa v37, v0 dst_sel:DWORD dst_unused:UNUSED_PAD src0_sel:WORD_0
	v_cndmask_b32_e64 v0, 0, 1, vcc
	v_cmp_lt_f32_e32 vcc, v1, v31
	v_cndmask_b32_e32 v1, v1, v31, vcc
	v_cvt_f32_u32_sdwa v32, v6 dst_sel:DWORD dst_unused:UNUSED_PAD src0_sel:WORD_1
	v_cndmask_b32_e64 v0, v0, 2, vcc
	v_cmp_lt_f32_e32 vcc, v1, v30
	v_cndmask_b32_e32 v1, v1, v30, vcc
	v_cvt_f32_u32_sdwa v35, v7 dst_sel:DWORD dst_unused:UNUSED_PAD src0_sel:WORD_0
	v_cndmask_b32_e64 v0, v0, 3, vcc
	v_cmp_lt_f32_e32 vcc, v1, v33
	v_cndmask_b32_e32 v1, v1, v33, vcc
	v_cvt_f32_u32_sdwa v34, v7 dst_sel:DWORD dst_unused:UNUSED_PAD src0_sel:WORD_1
	v_cndmask_b32_e64 v0, v0, 4, vcc
	v_cmp_lt_f32_e32 vcc, v1, v32
	v_cndmask_b32_e32 v1, v1, v32, vcc
	v_cndmask_b32_e64 v0, v0, 5, vcc
	v_cmp_lt_f32_e32 vcc, v1, v35
	v_cndmask_b32_e32 v1, v1, v35, vcc
	;; [unrolled: 3-line block ×5, first 2 shown]
	v_cvt_f32_u32_sdwa v40, v2 dst_sel:DWORD dst_unused:UNUSED_PAD src0_sel:WORD_0
	v_cndmask_b32_e64 v0, v0, 9, vcc
	v_cmp_lt_f32_e32 vcc, v1, v39
	v_cndmask_b32_e32 v1, v1, v39, vcc
	v_cvt_f32_u32_sdwa v12, v2 dst_sel:DWORD dst_unused:UNUSED_PAD src0_sel:WORD_1
	v_cndmask_b32_e64 v0, v0, 10, vcc
	v_cmp_lt_f32_e32 vcc, v1, v38
	v_cndmask_b32_e32 v1, v1, v38, vcc
	v_cvt_f32_u32_sdwa v14, v3 dst_sel:DWORD dst_unused:UNUSED_PAD src0_sel:WORD_0
	v_cndmask_b32_e64 v0, v0, 11, vcc
	v_cmp_lt_f32_e32 vcc, v1, v40
	v_cndmask_b32_e32 v1, v1, v40, vcc
	v_cvt_f32_u32_sdwa v15, v3 dst_sel:DWORD dst_unused:UNUSED_PAD src0_sel:WORD_1
	v_cndmask_b32_e64 v0, v0, 12, vcc
	v_cmp_lt_f32_e32 vcc, v1, v12
	v_cndmask_b32_e32 v1, v1, v12, vcc
	v_cndmask_b32_e64 v0, v0, 13, vcc
	v_cmp_lt_f32_e32 vcc, v1, v14
	v_cndmask_b32_e32 v1, v1, v14, vcc
	;; [unrolled: 3-line block ×3, first 2 shown]
	v_cndmask_b32_e64 v13, v0, 15, vcc
	v_sub_f32_e32 v0, v25, v25
	s_mov_b32 s39, 0x3fb8aa3b
	v_mul_f32_e32 v1, 0x3fb8aa3b, v0
	v_fma_f32 v2, v0, s39, -v1
	v_rndne_f32_e32 v3, v1
	v_fmac_f32_e32 v2, 0x32a5705f, v0
	v_sub_f32_e32 v1, v1, v3
	v_add_f32_e32 v1, v1, v2
	v_exp_f32_e32 v1, v1
	v_cvt_i32_f32_e32 v2, v3
	v_cmp_le_i32_e32 vcc, s37, v13
	v_cmp_gt_i32_e64 s[0:1], s38, v13
	s_mov_b32 s46, 0xc2ce8ed0
	v_mul_lo_u32 v4, v10, s2
	s_and_b64 s[2:3], vcc, s[0:1]
	v_ldexp_f32 v1, v1, v2
	v_cmp_ngt_f32_e32 vcc, s46, v0
	s_mov_b32 s47, 0x42b17218
	s_load_dwordx4 s[28:31], s[4:5], 0x20
	v_cndmask_b32_e32 v1, 0, v1, vcc
	v_cmp_nlt_f32_e32 vcc, s47, v0
	v_ashrrev_i32_e32 v17, 31, v16
	v_cndmask_b32_e32 v24, v11, v1, vcc
	v_lshlrev_b64 v[0:1], 2, v[16:17]
	v_mov_b32_e32 v3, s41
	v_add_co_u32_e32 v2, vcc, s40, v0
	v_addc_co_u32_e64 v3, s[0:1], v3, v1, vcc
	v_ashrrev_i32_e32 v5, 31, v4
	v_mul_lo_u32 v6, v10, s36
	v_subrev_u32_e32 v0, s37, v13
	s_and_b64 s[0:1], s[42:43], s[2:3]
	v_lshlrev_b64 v[4:5], 2, v[4:5]
	global_store_dword v[2:3], v24, off
	v_cndmask_b32_e64 v0, 16, v0, s[0:1]
	s_waitcnt lgkmcnt(0)
	v_mov_b32_e32 v3, s29
	v_add_co_u32_e64 v18, s[0:1], s28, v4
	v_ashrrev_i32_e32 v7, 31, v6
	v_addc_co_u32_e64 v19, s[0:1], v3, v5, s[0:1]
	v_lshlrev_b64 v[6:7], 2, v[6:7]
	global_store_dword v[18:19], v0, off
	v_mov_b32_e32 v0, s31
	v_add_co_u32_e64 v18, s[0:1], s30, v6
	v_addc_co_u32_e64 v19, s[0:1], v0, v7, s[0:1]
	s_cmp_eq_u32 s36, 1
	global_store_dword v[18:19], v10, off
	s_cbranch_scc1 .LBB252_8
; %bb.6:
	v_mov_b32_e32 v0, s31
	v_add_co_u32_e64 v3, s[26:27], s30, v6
	v_addc_co_u32_e64 v0, s[26:27], v7, v0, s[26:27]
	v_add_co_u32_e64 v18, s[26:27], 4, v3
	v_addc_co_u32_e64 v19, s[26:27], 0, v0, s[26:27]
	v_mov_b32_e32 v0, s29
	v_add_co_u32_e64 v3, s[26:27], s28, v4
	v_addc_co_u32_e64 v0, s[26:27], v5, v0, s[26:27]
	v_add_co_u32_e64 v20, s[26:27], 4, v3
	v_addc_co_u32_e64 v21, s[26:27], 0, v0, s[26:27]
	v_mov_b32_e32 v0, s41
	v_addc_co_u32_e32 v0, vcc, v1, v0, vcc
	v_mov_b32_e32 v17, 0xff800000
	v_cmp_ne_u32_e64 s[0:1], 15, v13
	v_add_co_u32_e32 v22, vcc, 4, v2
	v_cndmask_b32_e64 v15, v17, v15, s[0:1]
	v_cmp_ne_u32_e64 s[0:1], 14, v13
	v_addc_co_u32_e32 v23, vcc, 0, v0, vcc
	v_cndmask_b32_e64 v14, v17, v14, s[0:1]
	v_cmp_ne_u32_e64 s[0:1], 12, v13
	v_cmp_ne_u32_e64 s[2:3], 11, v13
	;; [unrolled: 1-line block ×13, first 2 shown]
	s_add_i32 s34, s34, s33
	v_cmp_ne_u32_e32 vcc, 13, v13
	s_add_i32 s48, s36, -1
	v_add3_u32 v28, s34, v9, v8
	v_mov_b32_e32 v29, 0x7f800000
	v_cndmask_b32_e32 v13, v17, v12, vcc
	v_cndmask_b32_e64 v12, v17, v40, s[0:1]
	v_cndmask_b32_e64 v11, v17, v38, s[2:3]
	;; [unrolled: 1-line block ×13, first 2 shown]
.LBB252_7:                              ; =>This Inner Loop Header: Depth=1
	v_cmp_gt_f32_e32 vcc, v1, v0
	v_cndmask_b32_e32 v26, v0, v1, vcc
	v_cmp_gt_f32_e64 s[0:1], v2, v26
	v_cndmask_b32_e64 v26, v26, v2, s[0:1]
	v_cmp_gt_f32_e64 s[2:3], v3, v26
	v_cndmask_b32_e64 v26, v26, v3, s[2:3]
	;; [unrolled: 2-line block ×14, first 2 shown]
	v_sub_f32_e32 v26, v26, v25
	v_mul_f32_e32 v27, 0x3fb8aa3b, v26
	v_fma_f32 v30, v26, s39, -v27
	v_rndne_f32_e32 v31, v27
	v_fmac_f32_e32 v30, 0x32a5705f, v26
	v_sub_f32_e32 v27, v27, v31
	v_add_f32_e32 v27, v27, v30
	v_cndmask_b32_e64 v30, 0, 1, vcc
	v_cndmask_b32_e64 v30, v30, 2, s[0:1]
	v_cndmask_b32_e64 v30, v30, 3, s[2:3]
	;; [unrolled: 1-line block ×14, first 2 shown]
	v_cmp_le_i32_e32 vcc, s37, v30
	v_cmp_gt_i32_e64 s[0:1], s38, v30
	s_and_b64 s[0:1], vcc, s[0:1]
	v_cmp_ne_u32_e64 s[2:3], 15, v30
	v_cmp_ne_u32_e64 s[4:5], 14, v30
	;; [unrolled: 1-line block ×16, first 2 shown]
	v_subrev_u32_e32 v30, s37, v30
	s_and_b64 vcc, s[42:43], s[0:1]
	v_cndmask_b32_e32 v30, 16, v30, vcc
	global_store_dword v[20:21], v30, off
	v_cvt_i32_f32_e32 v30, v31
	v_exp_f32_e32 v27, v27
	v_cmp_ngt_f32_e32 vcc, s46, v26
	global_store_dword v[18:19], v28, off
	s_add_i32 s48, s48, -1
	v_ldexp_f32 v27, v27, v30
	v_cndmask_b32_e32 v27, 0, v27, vcc
	v_cmp_nlt_f32_e32 vcc, s47, v26
	v_cndmask_b32_e32 v26, v29, v27, vcc
	v_add_co_u32_e32 v18, vcc, 4, v18
	v_addc_co_u32_e32 v19, vcc, 0, v19, vcc
	v_add_co_u32_e32 v20, vcc, 4, v20
	v_addc_co_u32_e32 v21, vcc, 0, v21, vcc
	global_store_dword v[22:23], v26, off
	v_add_co_u32_e32 v22, vcc, 4, v22
	v_add_f32_e32 v24, v24, v26
	v_cndmask_b32_e64 v15, v17, v15, s[2:3]
	v_cndmask_b32_e64 v14, v17, v14, s[4:5]
	v_cndmask_b32_e64 v13, v17, v13, s[6:7]
	v_cndmask_b32_e64 v12, v17, v12, s[8:9]
	v_cndmask_b32_e64 v11, v17, v11, s[10:11]
	v_cndmask_b32_e64 v10, v17, v10, s[12:13]
	v_cndmask_b32_e64 v9, v17, v9, s[14:15]
	v_cndmask_b32_e64 v8, v17, v8, s[16:17]
	v_cndmask_b32_e64 v7, v17, v7, s[18:19]
	v_cndmask_b32_e64 v6, v17, v6, s[20:21]
	v_cndmask_b32_e64 v5, v17, v5, s[22:23]
	v_cndmask_b32_e64 v4, v17, v4, s[24:25]
	v_cndmask_b32_e64 v3, v17, v3, s[26:27]
	v_cndmask_b32_e64 v2, v17, v2, s[28:29]
	v_cndmask_b32_e64 v1, v17, v1, s[30:31]
	v_cndmask_b32_e64 v0, v17, v0, s[34:35]
	v_add_u32_e32 v28, s33, v28
	s_cmp_eq_u32 s48, 0
	v_addc_co_u32_e32 v23, vcc, 0, v23, vcc
	s_cbranch_scc0 .LBB252_7
.LBB252_8:
	v_cmp_neq_f32_e32 vcc, 0, v24
	s_and_b64 exec, exec, vcc
	s_cbranch_execz .LBB252_19
; %bb.9:
	s_andn2_b64 vcc, exec, s[44:45]
	s_cbranch_vccnz .LBB252_19
; %bb.10:
	s_waitcnt vmcnt(2)
	v_div_scale_f32 v0, s[0:1], v24, v24, 1.0
	v_rcp_f32_e32 v1, v0
	v_div_scale_f32 v2, vcc, 1.0, v24, 1.0
	s_cmp_gt_u32 s36, 3
	v_fma_f32 v3, -v0, v1, 1.0
	v_fmac_f32_e32 v1, v3, v1
	v_mul_f32_e32 v3, v2, v1
	s_waitcnt vmcnt(1)
	v_fma_f32 v4, -v0, v3, v2
	v_fmac_f32_e32 v3, v4, v1
	v_fma_f32 v0, -v0, v3, v2
	v_div_fmas_f32 v0, v0, v1, v3
	v_div_fixup_f32 v0, v0, v24, 1.0
	v_ashrrev_i32_e32 v17, 31, v16
	s_cbranch_scc0 .LBB252_14
; %bb.11:
	v_lshlrev_b64 v[2:3], 2, v[16:17]
	v_mov_b32_e32 v4, s41
	v_add_co_u32_e32 v2, vcc, s40, v2
	v_addc_co_u32_e32 v3, vcc, v3, v4, vcc
	s_and_b32 s4, s36, 0x7ffffffc
	v_add_co_u32_e32 v2, vcc, 8, v2
	v_mov_b32_e32 v1, v0
	v_addc_co_u32_e32 v3, vcc, 0, v3, vcc
	s_mov_b32 s0, s4
.LBB252_12:                             ; =>This Inner Loop Header: Depth=1
	global_load_dwordx4 v[4:7], v[2:3], off offset:-8
	s_add_i32 s0, s0, -4
	s_cmp_lg_u32 s0, 0
	s_waitcnt vmcnt(0)
	v_pk_mul_f32 v[4:5], v[0:1], v[4:5]
	v_pk_mul_f32 v[6:7], v[0:1], v[6:7]
	global_store_dwordx4 v[2:3], v[4:7], off offset:-8
	v_add_co_u32_e32 v2, vcc, 16, v2
	v_addc_co_u32_e32 v3, vcc, 0, v3, vcc
	s_cbranch_scc1 .LBB252_12
; %bb.13:
	s_cmp_lg_u32 s4, s36
	s_cselect_b64 s[0:1], -1, 0
	s_branch .LBB252_16
.LBB252_14:
	s_mov_b64 s[0:1], 0
                                        ; implicit-def: $sgpr4
	s_cbranch_execz .LBB252_16
; %bb.15:
	s_mov_b64 s[0:1], -1
	s_mov_b32 s4, 0
.LBB252_16:
	s_andn2_b64 vcc, exec, s[0:1]
	s_cbranch_vccnz .LBB252_19
; %bb.17:
	v_add_co_u32_e32 v2, vcc, s4, v16
	v_addc_co_u32_e32 v3, vcc, 0, v17, vcc
	v_lshlrev_b64 v[2:3], 2, v[2:3]
	v_mov_b32_e32 v1, s41
	v_add_co_u32_e32 v2, vcc, s40, v2
	s_sub_i32 s0, s36, s4
	v_addc_co_u32_e32 v3, vcc, v1, v3, vcc
.LBB252_18:                             ; =>This Inner Loop Header: Depth=1
	global_load_dword v1, v[2:3], off
	s_add_i32 s0, s0, -1
	s_cmp_lg_u32 s0, 0
	s_waitcnt vmcnt(0)
	v_mul_f32_e32 v1, v0, v1
	global_store_dword v[2:3], v1, off
	v_add_co_u32_e32 v2, vcc, 4, v2
	v_addc_co_u32_e32 v3, vcc, 0, v3, vcc
	s_cbranch_scc1 .LBB252_18
.LBB252_19:
	s_endpgm
	.section	.rodata,"a",@progbits
	.p2align	6, 0x0
	.amdhsa_kernel _ZN4vllm3moe17topkGatingSoftmaxItLi16ELi16ELi8ELi32ELb1ELi2ELNS0_23SharedExpertScoringFuncE1EEEvPKT_PKbPfiPiS9_iiiiii
		.amdhsa_group_segment_fixed_size 0
		.amdhsa_private_segment_fixed_size 0
		.amdhsa_kernarg_size 72
		.amdhsa_user_sgpr_count 6
		.amdhsa_user_sgpr_private_segment_buffer 1
		.amdhsa_user_sgpr_dispatch_ptr 0
		.amdhsa_user_sgpr_queue_ptr 0
		.amdhsa_user_sgpr_kernarg_segment_ptr 1
		.amdhsa_user_sgpr_dispatch_id 0
		.amdhsa_user_sgpr_flat_scratch_init 0
		.amdhsa_user_sgpr_kernarg_preload_length 0
		.amdhsa_user_sgpr_kernarg_preload_offset 0
		.amdhsa_user_sgpr_private_segment_size 0
		.amdhsa_uses_dynamic_stack 0
		.amdhsa_system_sgpr_private_segment_wavefront_offset 0
		.amdhsa_system_sgpr_workgroup_id_x 1
		.amdhsa_system_sgpr_workgroup_id_y 0
		.amdhsa_system_sgpr_workgroup_id_z 0
		.amdhsa_system_sgpr_workgroup_info 0
		.amdhsa_system_vgpr_workitem_id 1
		.amdhsa_next_free_vgpr 41
		.amdhsa_next_free_sgpr 49
		.amdhsa_accum_offset 44
		.amdhsa_reserve_vcc 1
		.amdhsa_reserve_flat_scratch 0
		.amdhsa_float_round_mode_32 0
		.amdhsa_float_round_mode_16_64 0
		.amdhsa_float_denorm_mode_32 3
		.amdhsa_float_denorm_mode_16_64 3
		.amdhsa_dx10_clamp 1
		.amdhsa_ieee_mode 1
		.amdhsa_fp16_overflow 0
		.amdhsa_tg_split 0
		.amdhsa_exception_fp_ieee_invalid_op 0
		.amdhsa_exception_fp_denorm_src 0
		.amdhsa_exception_fp_ieee_div_zero 0
		.amdhsa_exception_fp_ieee_overflow 0
		.amdhsa_exception_fp_ieee_underflow 0
		.amdhsa_exception_fp_ieee_inexact 0
		.amdhsa_exception_int_div_zero 0
	.end_amdhsa_kernel
	.section	.text._ZN4vllm3moe17topkGatingSoftmaxItLi16ELi16ELi8ELi32ELb1ELi2ELNS0_23SharedExpertScoringFuncE1EEEvPKT_PKbPfiPiS9_iiiiii,"axG",@progbits,_ZN4vllm3moe17topkGatingSoftmaxItLi16ELi16ELi8ELi32ELb1ELi2ELNS0_23SharedExpertScoringFuncE1EEEvPKT_PKbPfiPiS9_iiiiii,comdat
.Lfunc_end252:
	.size	_ZN4vllm3moe17topkGatingSoftmaxItLi16ELi16ELi8ELi32ELb1ELi2ELNS0_23SharedExpertScoringFuncE1EEEvPKT_PKbPfiPiS9_iiiiii, .Lfunc_end252-_ZN4vllm3moe17topkGatingSoftmaxItLi16ELi16ELi8ELi32ELb1ELi2ELNS0_23SharedExpertScoringFuncE1EEEvPKT_PKbPfiPiS9_iiiiii
                                        ; -- End function
	.section	.AMDGPU.csdata,"",@progbits
; Kernel info:
; codeLenInByte = 2744
; NumSgprs: 53
; NumVgprs: 41
; NumAgprs: 0
; TotalNumVgprs: 41
; ScratchSize: 0
; MemoryBound: 0
; FloatMode: 240
; IeeeMode: 1
; LDSByteSize: 0 bytes/workgroup (compile time only)
; SGPRBlocks: 6
; VGPRBlocks: 5
; NumSGPRsForWavesPerEU: 53
; NumVGPRsForWavesPerEU: 41
; AccumOffset: 44
; Occupancy: 8
; WaveLimiterHint : 0
; COMPUTE_PGM_RSRC2:SCRATCH_EN: 0
; COMPUTE_PGM_RSRC2:USER_SGPR: 6
; COMPUTE_PGM_RSRC2:TRAP_HANDLER: 0
; COMPUTE_PGM_RSRC2:TGID_X_EN: 1
; COMPUTE_PGM_RSRC2:TGID_Y_EN: 0
; COMPUTE_PGM_RSRC2:TGID_Z_EN: 0
; COMPUTE_PGM_RSRC2:TIDIG_COMP_CNT: 1
; COMPUTE_PGM_RSRC3_GFX90A:ACCUM_OFFSET: 10
; COMPUTE_PGM_RSRC3_GFX90A:TG_SPLIT: 0
	.section	.text._ZN4vllm3moe17topkGatingSoftmaxItLi16ELi16ELi8ELi32ELb0ELi2ELNS0_23SharedExpertScoringFuncE1EEEvPKT_PKbPfiPiS9_iiiiii,"axG",@progbits,_ZN4vllm3moe17topkGatingSoftmaxItLi16ELi16ELi8ELi32ELb0ELi2ELNS0_23SharedExpertScoringFuncE1EEEvPKT_PKbPfiPiS9_iiiiii,comdat
	.protected	_ZN4vllm3moe17topkGatingSoftmaxItLi16ELi16ELi8ELi32ELb0ELi2ELNS0_23SharedExpertScoringFuncE1EEEvPKT_PKbPfiPiS9_iiiiii ; -- Begin function _ZN4vllm3moe17topkGatingSoftmaxItLi16ELi16ELi8ELi32ELb0ELi2ELNS0_23SharedExpertScoringFuncE1EEEvPKT_PKbPfiPiS9_iiiiii
	.globl	_ZN4vllm3moe17topkGatingSoftmaxItLi16ELi16ELi8ELi32ELb0ELi2ELNS0_23SharedExpertScoringFuncE1EEEvPKT_PKbPfiPiS9_iiiiii
	.p2align	8
	.type	_ZN4vllm3moe17topkGatingSoftmaxItLi16ELi16ELi8ELi32ELb0ELi2ELNS0_23SharedExpertScoringFuncE1EEEvPKT_PKbPfiPiS9_iiiiii,@function
_ZN4vllm3moe17topkGatingSoftmaxItLi16ELi16ELi8ELi32ELb0ELi2ELNS0_23SharedExpertScoringFuncE1EEEvPKT_PKbPfiPiS9_iiiiii: ; @_ZN4vllm3moe17topkGatingSoftmaxItLi16ELi16ELi8ELi32ELb0ELi2ELNS0_23SharedExpertScoringFuncE1EEEvPKT_PKbPfiPiS9_iiiiii
; %bb.0:
	s_load_dword s33, s[4:5], 0x18
	v_bfe_u32 v1, v0, 10, 10
	s_lshl_b32 s50, s6, 9
	v_lshlrev_b32_e32 v28, 6, v1
	v_and_b32_e32 v29, 0x3ff, v0
	v_add3_u32 v22, v28, v29, s50
	s_waitcnt lgkmcnt(0)
	v_cmp_gt_i32_e32 vcc, s33, v22
	s_and_saveexec_b64 s[0:1], vcc
	s_cbranch_execz .LBB253_19
; %bb.1:
	s_load_dwordx4 s[0:3], s[4:5], 0x0
	s_load_dwordx2 s[44:45], s[4:5], 0x10
	s_waitcnt lgkmcnt(0)
	s_cmp_eq_u64 s[2:3], 0
	s_cbranch_scc1 .LBB253_3
; %bb.2:
	v_ashrrev_i32_e32 v1, 31, v22
	v_mov_b32_e32 v2, s3
	v_add_co_u32_e32 v0, vcc, s2, v22
	v_addc_co_u32_e32 v1, vcc, v2, v1, vcc
	global_load_ubyte v0, v[0:1], off
	s_waitcnt vmcnt(0)
	v_and_b32_e32 v0, 1, v0
	v_cmp_eq_u32_e32 vcc, 1, v0
	s_xor_b64 s[2:3], vcc, -1
	s_orn2_b64 s[48:49], s[2:3], exec
	s_branch .LBB253_4
.LBB253_3:
	s_mov_b64 s[48:49], -1
.LBB253_4:
	s_load_dwordx2 s[30:31], s[4:5], 0x40
	s_load_dwordx4 s[36:39], s[4:5], 0x30
	v_mov_b32_e32 v2, s1
	v_mov_b32_e32 v3, s45
	s_mov_b32 s1, 0x42ce8ed0
	s_waitcnt lgkmcnt(0)
	v_mul_lo_u32 v0, v22, s31
	v_ashrrev_i32_e32 v1, 31, v0
	v_lshlrev_b64 v[0:1], 1, v[0:1]
	v_add_co_u32_e32 v0, vcc, s0, v0
	v_addc_co_u32_e32 v1, vcc, v2, v1, vcc
	global_load_dword v2, v[0:1], off offset:32
	global_load_dwordx4 v[4:7], v[0:1], off
	global_load_dwordx4 v[12:15], v[0:1], off offset:16
	v_mul_lo_u32 v16, v22, s39
	v_add_u32_e32 v0, s36, v16
	v_ashrrev_i32_e32 v1, 31, v0
	v_lshlrev_b64 v[0:1], 2, v[0:1]
	s_mov_b32 s0, 0xbfb8aa3b
	s_mov_b32 s2, 0xc2b17218
	v_mov_b32_e32 v26, 0x7f800000
	s_cmp_gt_i32 s36, 0
	s_cselect_b64 s[46:47], -1, 0
	s_cmp_lt_i32 s36, 1
	s_waitcnt vmcnt(2)
	v_cvt_f32_u32_sdwa v9, v2 dst_sel:DWORD dst_unused:UNUSED_PAD src0_sel:WORD_1
	v_cvt_f32_u32_sdwa v8, v2 dst_sel:DWORD dst_unused:UNUSED_PAD src0_sel:WORD_0
	v_add_co_u32_e32 v2, vcc, s44, v0
	v_mul_f32_e32 v0, 0xbfb8aa3b, v9
	v_addc_co_u32_e32 v3, vcc, v3, v1, vcc
	v_mul_f32_e32 v1, 0xbfb8aa3b, v8
	v_fma_f32 v10, v9, s0, -v0
	v_rndne_f32_e32 v11, v0
	v_fma_f32 v17, v8, s0, -v1
	v_rndne_f32_e32 v18, v1
	v_fmac_f32_e32 v10, 0xb2a5705f, v9
	v_sub_f32_e32 v0, v0, v11
	v_fmac_f32_e32 v17, 0xb2a5705f, v8
	v_sub_f32_e32 v1, v1, v18
	v_add_f32_e32 v0, v0, v10
	v_cvt_i32_f32_e32 v11, v11
	v_add_f32_e32 v1, v1, v17
	v_exp_f32_e32 v10, v0
	v_cvt_i32_f32_e32 v18, v18
	v_exp_f32_e32 v17, v1
	s_waitcnt vmcnt(1)
	v_cvt_f32_u32_sdwa v1, v4 dst_sel:DWORD dst_unused:UNUSED_PAD src0_sel:WORD_1
	v_cvt_f32_u32_sdwa v0, v4 dst_sel:DWORD dst_unused:UNUSED_PAD src0_sel:WORD_0
	v_ldexp_f32 v4, v10, v11
	v_cmp_nlt_f32_e32 vcc, s1, v9
	v_ldexp_f32 v10, v17, v18
	v_cndmask_b32_e32 v4, 0, v4, vcc
	v_cmp_nlt_f32_e32 vcc, s1, v8
	v_cndmask_b32_e32 v10, 0, v10, vcc
	v_cmp_ngt_f32_e32 vcc, s2, v9
	v_cndmask_b32_e32 v9, v26, v4, vcc
	v_cmp_ngt_f32_e32 vcc, s2, v8
	v_cndmask_b32_e32 v8, v26, v10, vcc
	v_pk_add_f32 v[8:9], v[8:9], 1.0 op_sel_hi:[1,0]
	v_div_scale_f32 v4, s[0:1], v9, v9, 1.0
	v_div_scale_f32 v11, s[0:1], v8, v8, 1.0
	v_rcp_f32_e32 v17, v4
	v_rcp_f32_e32 v18, v11
	v_div_scale_f32 v10, vcc, 1.0, v9, 1.0
	v_fma_f32 v20, -v4, v17, 1.0
	v_fma_f32 v21, -v11, v18, 1.0
	v_fmac_f32_e32 v17, v20, v17
	v_div_scale_f32 v19, s[0:1], 1.0, v8, 1.0
	v_fmac_f32_e32 v18, v21, v18
	v_mul_f32_e32 v20, v10, v17
	v_mul_f32_e32 v21, v19, v18
	v_fma_f32 v23, -v4, v20, v10
	v_fma_f32 v24, -v11, v21, v19
	v_fmac_f32_e32 v20, v23, v17
	v_fmac_f32_e32 v21, v24, v18
	v_fma_f32 v4, -v4, v20, v10
	v_fma_f32 v10, -v11, v21, v19
	v_div_fmas_f32 v4, v4, v17, v20
	s_mov_b64 vcc, s[0:1]
	v_div_fixup_f32 v9, v4, v9, 1.0
	v_div_fmas_f32 v4, v10, v18, v21
	v_div_fixup_f32 v8, v4, v8, 1.0
	global_store_dwordx2 v[2:3], v[8:9], off
	v_cvt_f32_u32_sdwa v2, v5 dst_sel:DWORD dst_unused:UNUSED_PAD src0_sel:WORD_0
	v_cmp_lt_f32_e32 vcc, v0, v1
	v_cndmask_b32_e32 v3, v0, v1, vcc
	v_cmp_lt_f32_e64 s[0:1], v3, v2
	v_cndmask_b32_e64 v4, v3, v2, s[0:1]
	v_cvt_f32_u32_sdwa v3, v5 dst_sel:DWORD dst_unused:UNUSED_PAD src0_sel:WORD_1
	v_cmp_lt_f32_e64 s[2:3], v4, v3
	v_cndmask_b32_e64 v5, v4, v3, s[2:3]
	v_cvt_f32_u32_sdwa v4, v6 dst_sel:DWORD dst_unused:UNUSED_PAD src0_sel:WORD_0
	v_cmp_lt_f32_e64 s[6:7], v5, v4
	v_cndmask_b32_e64 v8, v5, v4, s[6:7]
	v_cvt_f32_u32_sdwa v5, v6 dst_sel:DWORD dst_unused:UNUSED_PAD src0_sel:WORD_1
	v_cvt_f32_u32_sdwa v6, v7 dst_sel:DWORD dst_unused:UNUSED_PAD src0_sel:WORD_0
	v_cvt_f32_u32_sdwa v7, v7 dst_sel:DWORD dst_unused:UNUSED_PAD src0_sel:WORD_1
	v_cmp_lt_f32_e64 s[8:9], v8, v5
	v_cndmask_b32_e64 v8, v8, v5, s[8:9]
	v_cmp_lt_f32_e64 s[10:11], v8, v6
	v_cndmask_b32_e64 v8, v8, v6, s[10:11]
	;; [unrolled: 2-line block ×3, first 2 shown]
	s_waitcnt vmcnt(1)
	v_cvt_f32_u32_sdwa v8, v12 dst_sel:DWORD dst_unused:UNUSED_PAD src0_sel:WORD_0
	v_cmp_lt_f32_e64 s[14:15], v9, v8
	v_cndmask_b32_e64 v10, v9, v8, s[14:15]
	v_cvt_f32_u32_sdwa v9, v12 dst_sel:DWORD dst_unused:UNUSED_PAD src0_sel:WORD_1
	v_cmp_lt_f32_e64 s[16:17], v10, v9
	v_cndmask_b32_e64 v11, v10, v9, s[16:17]
	v_cvt_f32_u32_sdwa v10, v13 dst_sel:DWORD dst_unused:UNUSED_PAD src0_sel:WORD_0
	v_cmp_lt_f32_e64 s[18:19], v11, v10
	v_cndmask_b32_e64 v12, v11, v10, s[18:19]
	v_cvt_f32_u32_sdwa v11, v13 dst_sel:DWORD dst_unused:UNUSED_PAD src0_sel:WORD_1
	v_cmp_lt_f32_e64 s[20:21], v12, v11
	v_cndmask_b32_e64 v13, v12, v11, s[20:21]
	v_cvt_f32_u32_sdwa v12, v14 dst_sel:DWORD dst_unused:UNUSED_PAD src0_sel:WORD_0
	v_cmp_lt_f32_e64 s[22:23], v13, v12
	v_cndmask_b32_e64 v17, v13, v12, s[22:23]
	v_cvt_f32_u32_sdwa v13, v14 dst_sel:DWORD dst_unused:UNUSED_PAD src0_sel:WORD_1
	v_cvt_f32_u32_sdwa v14, v15 dst_sel:DWORD dst_unused:UNUSED_PAD src0_sel:WORD_0
	v_cvt_f32_u32_sdwa v15, v15 dst_sel:DWORD dst_unused:UNUSED_PAD src0_sel:WORD_1
	v_cmp_lt_f32_e64 s[24:25], v17, v13
	v_cndmask_b32_e64 v17, v17, v13, s[24:25]
	v_cmp_lt_f32_e64 s[26:27], v17, v14
	v_cndmask_b32_e64 v17, v17, v14, s[26:27]
	;; [unrolled: 2-line block ×3, first 2 shown]
	v_mov_b32_e32 v17, 0
	s_cbranch_scc1 .LBB253_8
; %bb.5:
	s_load_dwordx4 s[40:43], s[4:5], 0x20
	v_mul_lo_u32 v18, v22, s30
	v_ashrrev_i32_e32 v19, 31, v18
	v_lshlrev_b64 v[20:21], 2, v[18:19]
	v_sub_f32_e32 v32, v27, v27
	s_waitcnt lgkmcnt(0)
	v_mov_b32_e32 v17, s41
	v_add_co_u32_e64 v18, s[4:5], s40, v20
	v_addc_co_u32_e64 v19, s[4:5], v17, v21, s[4:5]
	v_cndmask_b32_e64 v17, 0, 1, vcc
	v_cndmask_b32_e64 v17, v17, 2, s[0:1]
	v_cndmask_b32_e64 v17, v17, 3, s[2:3]
	;; [unrolled: 1-line block ×14, first 2 shown]
	v_cmp_le_i32_e32 vcc, s37, v31
	v_cmp_gt_i32_e64 s[0:1], s38, v31
	s_and_b64 s[0:1], vcc, s[0:1]
	v_subrev_u32_e32 v17, s37, v31
	s_and_b64 vcc, s[48:49], s[0:1]
	v_cndmask_b32_e32 v17, 16, v17, vcc
	global_store_dword v[18:19], v17, off
	v_mul_lo_u32 v18, v22, s36
	v_ashrrev_i32_e32 v19, 31, v18
	v_lshlrev_b64 v[18:19], 2, v[18:19]
	v_mov_b32_e32 v17, s43
	v_add_co_u32_e32 v24, vcc, s42, v18
	v_addc_co_u32_e32 v25, vcc, v17, v19, vcc
	v_mul_f32_e32 v17, 0x3fb8aa3b, v32
	global_store_dword v[24:25], v22, off
	s_mov_b32 s39, 0x3fb8aa3b
	v_rndne_f32_e32 v22, v17
	v_sub_f32_e32 v23, v17, v22
	v_fma_f32 v17, v32, s39, -v17
	v_fmac_f32_e32 v17, 0x32a5705f, v32
	v_add_f32_e32 v17, v23, v17
	v_exp_f32_e32 v17, v17
	v_cvt_i32_f32_e32 v22, v22
	v_mov_b32_e32 v25, s45
	s_mov_b32 s51, 0xc2ce8ed0
	v_cmp_ngt_f32_e64 s[34:35], s51, v32
	v_ldexp_f32 v33, v17, v22
	v_ashrrev_i32_e32 v17, 31, v16
	v_lshlrev_b64 v[22:23], 2, v[16:17]
	v_add_co_u32_e32 v24, vcc, s44, v22
	v_addc_co_u32_e64 v25, s[0:1], v25, v23, vcc
	s_mov_b32 s52, 0x42b17218
	v_mov_b32_e32 v30, 0xff800000
	v_cmp_ne_u32_e64 s[0:1], 15, v31
	v_cmp_ne_u32_e64 s[2:3], 14, v31
	;; [unrolled: 1-line block ×16, first 2 shown]
	v_cndmask_b32_e64 v17, 0, v33, s[34:35]
	v_cmp_nlt_f32_e64 s[34:35], s52, v32
	v_cndmask_b32_e64 v17, v26, v17, s[34:35]
	v_cndmask_b32_e64 v15, v30, v15, s[0:1]
	;; [unrolled: 1-line block ×16, first 2 shown]
	s_cmp_eq_u32 s36, 1
	v_cndmask_b32_e64 v0, v30, v0, s[30:31]
	global_store_dword v[24:25], v17, off
	s_cbranch_scc1 .LBB253_8
; %bb.6:
	v_mov_b32_e32 v22, s43
	v_add_co_u32_e64 v18, s[0:1], s42, v18
	v_addc_co_u32_e64 v19, s[0:1], v19, v22, s[0:1]
	v_add_co_u32_e64 v18, s[0:1], 4, v18
	v_addc_co_u32_e64 v19, s[0:1], 0, v19, s[0:1]
	v_mov_b32_e32 v22, s41
	v_add_co_u32_e64 v20, s[0:1], s40, v20
	v_addc_co_u32_e64 v21, s[0:1], v21, v22, s[0:1]
	v_mov_b32_e32 v22, s45
	v_addc_co_u32_e32 v23, vcc, v23, v22, vcc
	v_add_co_u32_e64 v20, s[0:1], 4, v20
	v_add_co_u32_e32 v22, vcc, 4, v24
	s_add_i32 s50, s50, s33
	v_addc_co_u32_e64 v21, s[0:1], 0, v21, s[0:1]
	v_addc_co_u32_e32 v23, vcc, 0, v23, vcc
	s_add_i32 s40, s36, -1
	v_add3_u32 v24, s50, v29, v28
	v_mov_b32_e32 v25, 0x7f800000
.LBB253_7:                              ; =>This Inner Loop Header: Depth=1
	v_cmp_gt_f32_e32 vcc, v1, v0
	v_cndmask_b32_e32 v28, v0, v1, vcc
	v_cmp_gt_f32_e64 s[0:1], v2, v28
	v_cndmask_b32_e64 v28, v28, v2, s[0:1]
	v_cmp_gt_f32_e64 s[2:3], v3, v28
	v_cndmask_b32_e64 v28, v28, v3, s[2:3]
	;; [unrolled: 2-line block ×14, first 2 shown]
	v_sub_f32_e32 v28, v28, v27
	v_mul_f32_e32 v29, 0x3fb8aa3b, v28
	v_fma_f32 v31, v28, s39, -v29
	v_rndne_f32_e32 v32, v29
	v_fmac_f32_e32 v31, 0x32a5705f, v28
	v_sub_f32_e32 v29, v29, v32
	v_add_f32_e32 v29, v29, v31
	v_cndmask_b32_e64 v31, 0, 1, vcc
	v_cndmask_b32_e64 v31, v31, 2, s[0:1]
	v_cndmask_b32_e64 v31, v31, 3, s[2:3]
	;; [unrolled: 1-line block ×14, first 2 shown]
	v_cmp_le_i32_e32 vcc, s37, v31
	v_cmp_gt_i32_e64 s[0:1], s38, v31
	s_and_b64 s[0:1], vcc, s[0:1]
	v_cmp_ne_u32_e64 s[2:3], 15, v31
	v_cmp_ne_u32_e64 s[4:5], 14, v31
	;; [unrolled: 1-line block ×16, first 2 shown]
	v_subrev_u32_e32 v31, s37, v31
	s_and_b64 vcc, s[48:49], s[0:1]
	v_cndmask_b32_e32 v31, 16, v31, vcc
	global_store_dword v[20:21], v31, off
	v_cvt_i32_f32_e32 v31, v32
	v_exp_f32_e32 v29, v29
	v_cmp_ngt_f32_e32 vcc, s51, v28
	global_store_dword v[18:19], v24, off
	s_add_i32 s40, s40, -1
	v_ldexp_f32 v29, v29, v31
	v_cndmask_b32_e32 v29, 0, v29, vcc
	v_cmp_nlt_f32_e32 vcc, s52, v28
	v_cndmask_b32_e32 v28, v25, v29, vcc
	v_add_co_u32_e32 v18, vcc, 4, v18
	v_addc_co_u32_e32 v19, vcc, 0, v19, vcc
	v_add_co_u32_e32 v20, vcc, 4, v20
	v_addc_co_u32_e32 v21, vcc, 0, v21, vcc
	global_store_dword v[22:23], v28, off
	v_add_co_u32_e32 v22, vcc, 4, v22
	v_add_f32_e32 v17, v17, v28
	v_cndmask_b32_e64 v15, v30, v15, s[2:3]
	v_cndmask_b32_e64 v14, v30, v14, s[4:5]
	;; [unrolled: 1-line block ×16, first 2 shown]
	v_add_u32_e32 v24, s33, v24
	s_cmp_eq_u32 s40, 0
	v_addc_co_u32_e32 v23, vcc, 0, v23, vcc
	s_cbranch_scc0 .LBB253_7
.LBB253_8:
	v_sub_f32_e32 v0, v0, v27
	s_mov_b32 s2, 0x3fb8aa3b
	v_mul_f32_e32 v18, 0x3fb8aa3b, v0
	v_fma_f32 v19, v0, s2, -v18
	v_rndne_f32_e32 v20, v18
	v_fmac_f32_e32 v19, 0x32a5705f, v0
	v_sub_f32_e32 v18, v18, v20
	v_add_f32_e32 v18, v18, v19
	v_exp_f32_e32 v18, v18
	v_cvt_i32_f32_e32 v19, v20
	v_sub_f32_e32 v1, v1, v27
	s_mov_b32 s4, 0xc2ce8ed0
	s_mov_b32 s3, 0x42b17218
	v_ldexp_f32 v18, v18, v19
	v_mul_f32_e32 v19, 0x3fb8aa3b, v1
	v_fma_f32 v20, v1, s2, -v19
	v_rndne_f32_e32 v21, v19
	v_fmac_f32_e32 v20, 0x32a5705f, v1
	v_sub_f32_e32 v19, v19, v21
	v_add_f32_e32 v19, v19, v20
	v_exp_f32_e32 v19, v19
	v_cvt_i32_f32_e32 v20, v21
	v_cmp_ngt_f32_e32 vcc, s4, v1
	v_cmp_ngt_f32_e64 s[0:1], s4, v0
	v_sub_f32_e32 v2, v2, v27
	v_ldexp_f32 v19, v19, v20
	v_cndmask_b32_e32 v19, 0, v19, vcc
	v_cmp_nlt_f32_e32 vcc, s3, v1
	v_cndmask_b32_e64 v1, 0, v18, s[0:1]
	v_cmp_nlt_f32_e64 s[0:1], s3, v0
	v_cndmask_b32_e64 v0, v26, v1, s[0:1]
	v_cndmask_b32_e32 v1, v26, v19, vcc
	v_add_f32_e32 v0, v0, v1
	v_mul_f32_e32 v1, 0x3fb8aa3b, v2
	v_fma_f32 v18, v2, s2, -v1
	v_rndne_f32_e32 v19, v1
	v_fmac_f32_e32 v18, 0x32a5705f, v2
	v_sub_f32_e32 v1, v1, v19
	v_add_f32_e32 v1, v1, v18
	v_exp_f32_e32 v1, v1
	v_cvt_i32_f32_e32 v18, v19
	v_cmp_ngt_f32_e32 vcc, s4, v2
	v_sub_f32_e32 v3, v3, v27
	v_sub_f32_e32 v4, v4, v27
	v_ldexp_f32 v1, v1, v18
	v_cndmask_b32_e32 v1, 0, v1, vcc
	v_cmp_nlt_f32_e32 vcc, s3, v2
	v_cndmask_b32_e32 v1, v26, v1, vcc
	v_add_f32_e32 v0, v0, v1
	v_mul_f32_e32 v1, 0x3fb8aa3b, v3
	v_fma_f32 v2, v3, s2, -v1
	v_rndne_f32_e32 v18, v1
	v_fmac_f32_e32 v2, 0x32a5705f, v3
	v_sub_f32_e32 v1, v1, v18
	v_add_f32_e32 v1, v1, v2
	v_exp_f32_e32 v1, v1
	v_cvt_i32_f32_e32 v2, v18
	v_cmp_ngt_f32_e32 vcc, s4, v3
	v_sub_f32_e32 v5, v5, v27
	v_sub_f32_e32 v6, v6, v27
	v_ldexp_f32 v1, v1, v2
	v_cndmask_b32_e32 v1, 0, v1, vcc
	v_cmp_nlt_f32_e32 vcc, s3, v3
	;; [unrolled: 16-line block ×5, first 2 shown]
	v_cndmask_b32_e32 v1, v26, v1, vcc
	v_add_f32_e32 v0, v0, v1
	v_mul_f32_e32 v1, 0x3fb8aa3b, v7
	v_fma_f32 v2, v7, s2, -v1
	v_rndne_f32_e32 v3, v1
	v_fmac_f32_e32 v2, 0x32a5705f, v7
	v_sub_f32_e32 v1, v1, v3
	v_add_f32_e32 v1, v1, v2
	v_exp_f32_e32 v1, v1
	v_cvt_i32_f32_e32 v2, v3
	v_cmp_ngt_f32_e32 vcc, s4, v7
	v_ldexp_f32 v1, v1, v2
	v_mul_f32_e32 v2, 0x3fb8aa3b, v8
	v_fma_f32 v3, v8, s2, -v2
	v_rndne_f32_e32 v4, v2
	v_fmac_f32_e32 v3, 0x32a5705f, v8
	v_sub_f32_e32 v2, v2, v4
	v_add_f32_e32 v2, v2, v3
	v_exp_f32_e32 v2, v2
	v_cvt_i32_f32_e32 v3, v4
	v_cndmask_b32_e32 v1, 0, v1, vcc
	v_cmp_nlt_f32_e32 vcc, s3, v7
	v_cndmask_b32_e32 v1, v26, v1, vcc
	v_add_f32_e32 v0, v0, v1
	v_ldexp_f32 v1, v2, v3
	v_mul_f32_e32 v2, 0x3fb8aa3b, v9
	v_fma_f32 v3, v9, s2, -v2
	v_rndne_f32_e32 v4, v2
	v_fmac_f32_e32 v3, 0x32a5705f, v9
	v_sub_f32_e32 v2, v2, v4
	v_add_f32_e32 v2, v2, v3
	v_exp_f32_e32 v2, v2
	v_cvt_i32_f32_e32 v3, v4
	v_cmp_ngt_f32_e32 vcc, s4, v8
	v_cndmask_b32_e32 v1, 0, v1, vcc
	v_cmp_nlt_f32_e32 vcc, s3, v8
	v_cndmask_b32_e32 v1, v26, v1, vcc
	v_add_f32_e32 v0, v0, v1
	v_ldexp_f32 v1, v2, v3
	v_mul_f32_e32 v2, 0x3fb8aa3b, v10
	v_fma_f32 v3, v10, s2, -v2
	v_rndne_f32_e32 v4, v2
	v_fmac_f32_e32 v3, 0x32a5705f, v10
	v_sub_f32_e32 v2, v2, v4
	v_add_f32_e32 v2, v2, v3
	v_exp_f32_e32 v2, v2
	v_cvt_i32_f32_e32 v3, v4
	v_cmp_ngt_f32_e32 vcc, s4, v9
	;; [unrolled: 14-line block ×4, first 2 shown]
	v_cndmask_b32_e32 v1, 0, v1, vcc
	v_cmp_nlt_f32_e32 vcc, s3, v11
	v_cndmask_b32_e32 v1, v26, v1, vcc
	v_add_f32_e32 v0, v0, v1
	v_ldexp_f32 v1, v2, v3
	v_sub_f32_e32 v2, v13, v27
	v_mul_f32_e32 v3, 0x3fb8aa3b, v2
	v_fma_f32 v4, v2, s2, -v3
	v_rndne_f32_e32 v5, v3
	v_fmac_f32_e32 v4, 0x32a5705f, v2
	v_sub_f32_e32 v3, v3, v5
	v_add_f32_e32 v3, v3, v4
	v_exp_f32_e32 v3, v3
	v_cvt_i32_f32_e32 v4, v5
	v_cmp_ngt_f32_e32 vcc, s4, v12
	v_cndmask_b32_e32 v1, 0, v1, vcc
	v_cmp_nlt_f32_e32 vcc, s3, v12
	v_cndmask_b32_e32 v1, v26, v1, vcc
	v_add_f32_e32 v0, v0, v1
	v_ldexp_f32 v1, v3, v4
	v_sub_f32_e32 v3, v14, v27
	v_mul_f32_e32 v4, 0x3fb8aa3b, v3
	v_fma_f32 v5, v3, s2, -v4
	v_rndne_f32_e32 v6, v4
	v_fmac_f32_e32 v5, 0x32a5705f, v3
	v_sub_f32_e32 v4, v4, v6
	v_add_f32_e32 v4, v4, v5
	v_exp_f32_e32 v4, v4
	v_cvt_i32_f32_e32 v5, v6
	v_cmp_ngt_f32_e32 vcc, s4, v2
	v_cndmask_b32_e32 v1, 0, v1, vcc
	v_cmp_nlt_f32_e32 vcc, s3, v2
	v_cndmask_b32_e32 v1, v26, v1, vcc
	v_sub_f32_e32 v2, v15, v27
	v_add_f32_e32 v0, v0, v1
	v_ldexp_f32 v1, v4, v5
	v_mul_f32_e32 v4, 0x3fb8aa3b, v2
	v_fma_f32 v5, v2, s2, -v4
	v_rndne_f32_e32 v6, v4
	v_fmac_f32_e32 v5, 0x32a5705f, v2
	v_sub_f32_e32 v4, v4, v6
	v_add_f32_e32 v4, v4, v5
	v_exp_f32_e32 v4, v4
	v_cvt_i32_f32_e32 v5, v6
	v_cmp_ngt_f32_e32 vcc, s4, v3
	v_cndmask_b32_e32 v1, 0, v1, vcc
	v_cmp_nlt_f32_e32 vcc, s3, v3
	v_cndmask_b32_e32 v1, v26, v1, vcc
	v_add_f32_e32 v0, v0, v1
	v_ldexp_f32 v1, v4, v5
	v_cmp_ngt_f32_e32 vcc, s4, v2
	v_cndmask_b32_e32 v1, 0, v1, vcc
	v_cmp_nlt_f32_e32 vcc, s3, v2
	v_cndmask_b32_e32 v1, v26, v1, vcc
	v_add_f32_e32 v0, v0, v1
	v_add_f32_e32 v0, v17, v0
	v_cmp_neq_f32_e32 vcc, 0, v0
	s_and_b64 exec, exec, vcc
	s_cbranch_execz .LBB253_19
; %bb.9:
	s_andn2_b64 vcc, exec, s[46:47]
	s_cbranch_vccnz .LBB253_19
; %bb.10:
	v_div_scale_f32 v1, s[0:1], v0, v0, 1.0
	v_rcp_f32_e32 v2, v1
	v_div_scale_f32 v3, vcc, 1.0, v0, 1.0
	s_cmp_gt_u32 s36, 3
	v_fma_f32 v4, -v1, v2, 1.0
	v_fmac_f32_e32 v2, v4, v2
	v_mul_f32_e32 v4, v3, v2
	v_fma_f32 v5, -v1, v4, v3
	v_fmac_f32_e32 v4, v5, v2
	v_fma_f32 v1, -v1, v4, v3
	v_div_fmas_f32 v1, v1, v2, v4
	v_div_fixup_f32 v0, v1, v0, 1.0
	v_ashrrev_i32_e32 v17, 31, v16
	s_cbranch_scc0 .LBB253_14
; %bb.11:
	v_lshlrev_b64 v[2:3], 2, v[16:17]
	v_mov_b32_e32 v4, s45
	v_add_co_u32_e32 v2, vcc, s44, v2
	v_addc_co_u32_e32 v3, vcc, v3, v4, vcc
	s_and_b32 s4, s36, 0x7ffffffc
	v_add_co_u32_e32 v2, vcc, 8, v2
	v_mov_b32_e32 v1, v0
	v_addc_co_u32_e32 v3, vcc, 0, v3, vcc
	s_mov_b32 s0, s4
.LBB253_12:                             ; =>This Inner Loop Header: Depth=1
	global_load_dwordx4 v[4:7], v[2:3], off offset:-8
	s_add_i32 s0, s0, -4
	s_cmp_lg_u32 s0, 0
	s_waitcnt vmcnt(0)
	v_pk_mul_f32 v[4:5], v[0:1], v[4:5]
	v_pk_mul_f32 v[6:7], v[0:1], v[6:7]
	global_store_dwordx4 v[2:3], v[4:7], off offset:-8
	v_add_co_u32_e32 v2, vcc, 16, v2
	v_addc_co_u32_e32 v3, vcc, 0, v3, vcc
	s_cbranch_scc1 .LBB253_12
; %bb.13:
	s_cmp_lg_u32 s4, s36
	s_cselect_b64 s[0:1], -1, 0
	s_branch .LBB253_16
.LBB253_14:
	s_mov_b64 s[0:1], 0
                                        ; implicit-def: $sgpr4
	s_cbranch_execz .LBB253_16
; %bb.15:
	s_mov_b64 s[0:1], -1
	s_mov_b32 s4, 0
.LBB253_16:
	s_andn2_b64 vcc, exec, s[0:1]
	s_cbranch_vccnz .LBB253_19
; %bb.17:
	v_add_co_u32_e32 v2, vcc, s4, v16
	v_addc_co_u32_e32 v3, vcc, 0, v17, vcc
	v_lshlrev_b64 v[2:3], 2, v[2:3]
	v_mov_b32_e32 v1, s45
	v_add_co_u32_e32 v2, vcc, s44, v2
	s_sub_i32 s0, s36, s4
	v_addc_co_u32_e32 v3, vcc, v1, v3, vcc
.LBB253_18:                             ; =>This Inner Loop Header: Depth=1
	global_load_dword v1, v[2:3], off
	s_add_i32 s0, s0, -1
	s_cmp_lg_u32 s0, 0
	s_waitcnt vmcnt(0)
	v_mul_f32_e32 v1, v0, v1
	global_store_dword v[2:3], v1, off
	v_add_co_u32_e32 v2, vcc, 4, v2
	v_addc_co_u32_e32 v3, vcc, 0, v3, vcc
	s_cbranch_scc1 .LBB253_18
.LBB253_19:
	s_endpgm
	.section	.rodata,"a",@progbits
	.p2align	6, 0x0
	.amdhsa_kernel _ZN4vllm3moe17topkGatingSoftmaxItLi16ELi16ELi8ELi32ELb0ELi2ELNS0_23SharedExpertScoringFuncE1EEEvPKT_PKbPfiPiS9_iiiiii
		.amdhsa_group_segment_fixed_size 0
		.amdhsa_private_segment_fixed_size 0
		.amdhsa_kernarg_size 72
		.amdhsa_user_sgpr_count 6
		.amdhsa_user_sgpr_private_segment_buffer 1
		.amdhsa_user_sgpr_dispatch_ptr 0
		.amdhsa_user_sgpr_queue_ptr 0
		.amdhsa_user_sgpr_kernarg_segment_ptr 1
		.amdhsa_user_sgpr_dispatch_id 0
		.amdhsa_user_sgpr_flat_scratch_init 0
		.amdhsa_user_sgpr_kernarg_preload_length 0
		.amdhsa_user_sgpr_kernarg_preload_offset 0
		.amdhsa_user_sgpr_private_segment_size 0
		.amdhsa_uses_dynamic_stack 0
		.amdhsa_system_sgpr_private_segment_wavefront_offset 0
		.amdhsa_system_sgpr_workgroup_id_x 1
		.amdhsa_system_sgpr_workgroup_id_y 0
		.amdhsa_system_sgpr_workgroup_id_z 0
		.amdhsa_system_sgpr_workgroup_info 0
		.amdhsa_system_vgpr_workitem_id 1
		.amdhsa_next_free_vgpr 34
		.amdhsa_next_free_sgpr 53
		.amdhsa_accum_offset 36
		.amdhsa_reserve_vcc 1
		.amdhsa_reserve_flat_scratch 0
		.amdhsa_float_round_mode_32 0
		.amdhsa_float_round_mode_16_64 0
		.amdhsa_float_denorm_mode_32 3
		.amdhsa_float_denorm_mode_16_64 3
		.amdhsa_dx10_clamp 1
		.amdhsa_ieee_mode 1
		.amdhsa_fp16_overflow 0
		.amdhsa_tg_split 0
		.amdhsa_exception_fp_ieee_invalid_op 0
		.amdhsa_exception_fp_denorm_src 0
		.amdhsa_exception_fp_ieee_div_zero 0
		.amdhsa_exception_fp_ieee_overflow 0
		.amdhsa_exception_fp_ieee_underflow 0
		.amdhsa_exception_fp_ieee_inexact 0
		.amdhsa_exception_int_div_zero 0
	.end_amdhsa_kernel
	.section	.text._ZN4vllm3moe17topkGatingSoftmaxItLi16ELi16ELi8ELi32ELb0ELi2ELNS0_23SharedExpertScoringFuncE1EEEvPKT_PKbPfiPiS9_iiiiii,"axG",@progbits,_ZN4vllm3moe17topkGatingSoftmaxItLi16ELi16ELi8ELi32ELb0ELi2ELNS0_23SharedExpertScoringFuncE1EEEvPKT_PKbPfiPiS9_iiiiii,comdat
.Lfunc_end253:
	.size	_ZN4vllm3moe17topkGatingSoftmaxItLi16ELi16ELi8ELi32ELb0ELi2ELNS0_23SharedExpertScoringFuncE1EEEvPKT_PKbPfiPiS9_iiiiii, .Lfunc_end253-_ZN4vllm3moe17topkGatingSoftmaxItLi16ELi16ELi8ELi32ELb0ELi2ELNS0_23SharedExpertScoringFuncE1EEEvPKT_PKbPfiPiS9_iiiiii
                                        ; -- End function
	.section	.AMDGPU.csdata,"",@progbits
; Kernel info:
; codeLenInByte = 4120
; NumSgprs: 57
; NumVgprs: 34
; NumAgprs: 0
; TotalNumVgprs: 34
; ScratchSize: 0
; MemoryBound: 0
; FloatMode: 240
; IeeeMode: 1
; LDSByteSize: 0 bytes/workgroup (compile time only)
; SGPRBlocks: 7
; VGPRBlocks: 4
; NumSGPRsForWavesPerEU: 57
; NumVGPRsForWavesPerEU: 34
; AccumOffset: 36
; Occupancy: 8
; WaveLimiterHint : 0
; COMPUTE_PGM_RSRC2:SCRATCH_EN: 0
; COMPUTE_PGM_RSRC2:USER_SGPR: 6
; COMPUTE_PGM_RSRC2:TRAP_HANDLER: 0
; COMPUTE_PGM_RSRC2:TGID_X_EN: 1
; COMPUTE_PGM_RSRC2:TGID_Y_EN: 0
; COMPUTE_PGM_RSRC2:TGID_Z_EN: 0
; COMPUTE_PGM_RSRC2:TIDIG_COMP_CNT: 1
; COMPUTE_PGM_RSRC3_GFX90A:ACCUM_OFFSET: 8
; COMPUTE_PGM_RSRC3_GFX90A:TG_SPLIT: 0
	.section	.text._ZN4vllm3moe17topkGatingSoftmaxItLi16ELi16ELi8ELi32ELb1ELi4ELNS0_23SharedExpertScoringFuncE1EEEvPKT_PKbPfiPiS9_iiiiii,"axG",@progbits,_ZN4vllm3moe17topkGatingSoftmaxItLi16ELi16ELi8ELi32ELb1ELi4ELNS0_23SharedExpertScoringFuncE1EEEvPKT_PKbPfiPiS9_iiiiii,comdat
	.protected	_ZN4vllm3moe17topkGatingSoftmaxItLi16ELi16ELi8ELi32ELb1ELi4ELNS0_23SharedExpertScoringFuncE1EEEvPKT_PKbPfiPiS9_iiiiii ; -- Begin function _ZN4vllm3moe17topkGatingSoftmaxItLi16ELi16ELi8ELi32ELb1ELi4ELNS0_23SharedExpertScoringFuncE1EEEvPKT_PKbPfiPiS9_iiiiii
	.globl	_ZN4vllm3moe17topkGatingSoftmaxItLi16ELi16ELi8ELi32ELb1ELi4ELNS0_23SharedExpertScoringFuncE1EEEvPKT_PKbPfiPiS9_iiiiii
	.p2align	8
	.type	_ZN4vllm3moe17topkGatingSoftmaxItLi16ELi16ELi8ELi32ELb1ELi4ELNS0_23SharedExpertScoringFuncE1EEEvPKT_PKbPfiPiS9_iiiiii,@function
_ZN4vllm3moe17topkGatingSoftmaxItLi16ELi16ELi8ELi32ELb1ELi4ELNS0_23SharedExpertScoringFuncE1EEEvPKT_PKbPfiPiS9_iiiiii: ; @_ZN4vllm3moe17topkGatingSoftmaxItLi16ELi16ELi8ELi32ELb1ELi4ELNS0_23SharedExpertScoringFuncE1EEEvPKT_PKbPfiPiS9_iiiiii
; %bb.0:
	s_load_dword s33, s[4:5], 0x18
	v_bfe_u32 v1, v0, 10, 10
	s_lshl_b32 s34, s6, 9
	v_lshlrev_b32_e32 v8, 6, v1
	v_and_b32_e32 v9, 0x3ff, v0
	v_add3_u32 v10, v8, v9, s34
	s_waitcnt lgkmcnt(0)
	v_cmp_gt_i32_e32 vcc, s33, v10
	s_and_saveexec_b64 s[0:1], vcc
	s_cbranch_execz .LBB254_19
; %bb.1:
	s_load_dwordx4 s[0:3], s[4:5], 0x0
	s_load_dwordx2 s[40:41], s[4:5], 0x10
	s_waitcnt lgkmcnt(0)
	s_cmp_eq_u64 s[2:3], 0
	s_cbranch_scc1 .LBB254_3
; %bb.2:
	v_ashrrev_i32_e32 v1, 31, v10
	v_mov_b32_e32 v2, s3
	v_add_co_u32_e32 v0, vcc, s2, v10
	v_addc_co_u32_e32 v1, vcc, v2, v1, vcc
	global_load_ubyte v0, v[0:1], off
	s_waitcnt vmcnt(0)
	v_and_b32_e32 v0, 1, v0
	v_cmp_eq_u32_e32 vcc, 1, v0
	s_xor_b64 s[2:3], vcc, -1
	s_orn2_b64 s[42:43], s[2:3], exec
	s_branch .LBB254_4
.LBB254_3:
	s_mov_b64 s[42:43], -1
.LBB254_4:
	s_load_dwordx2 s[2:3], s[4:5], 0x40
	s_load_dwordx4 s[36:39], s[4:5], 0x30
	v_mov_b32_e32 v2, s1
	v_mov_b32_e32 v17, s41
	s_mov_b32 s1, 0x42ce8ed0
	s_waitcnt lgkmcnt(0)
	v_mul_lo_u32 v0, v10, s3
	v_ashrrev_i32_e32 v1, 31, v0
	v_lshlrev_b64 v[0:1], 1, v[0:1]
	v_add_co_u32_e32 v12, vcc, s0, v0
	v_addc_co_u32_e32 v13, vcc, v2, v1, vcc
	global_load_dwordx2 v[14:15], v[12:13], off offset:32
	v_mul_lo_u32 v16, v10, s39
	v_add_u32_e32 v0, s36, v16
	v_ashrrev_i32_e32 v1, 31, v0
	v_lshlrev_b64 v[18:19], 2, v[0:1]
	global_load_dwordx4 v[0:3], v[12:13], off offset:16
	global_load_dwordx4 v[4:7], v[12:13], off
	v_add_co_u32_e32 v18, vcc, s40, v18
	v_addc_co_u32_e32 v19, vcc, v17, v19, vcc
	s_mov_b32 s0, 0xbfb8aa3b
	s_mov_b32 s3, 0xc2b17218
	v_mov_b32_e32 v11, 0x7f800000
	s_cmp_gt_i32 s36, 0
	v_mov_b32_e32 v24, 0
	s_cselect_b64 s[44:45], -1, 0
	s_cmp_lt_i32 s36, 1
	s_waitcnt vmcnt(2)
	v_cvt_f32_u32_sdwa v12, v14 dst_sel:DWORD dst_unused:UNUSED_PAD src0_sel:WORD_1
	v_cvt_f32_u32_sdwa v14, v14 dst_sel:DWORD dst_unused:UNUSED_PAD src0_sel:WORD_0
	v_cvt_f32_u32_sdwa v17, v15 dst_sel:DWORD dst_unused:UNUSED_PAD src0_sel:WORD_1
	v_cvt_f32_u32_sdwa v20, v15 dst_sel:DWORD dst_unused:UNUSED_PAD src0_sel:WORD_0
	v_mul_f32_e32 v13, 0xbfb8aa3b, v12
	v_mul_f32_e32 v15, 0xbfb8aa3b, v14
	v_fma_f32 v23, v12, s0, -v13
	v_rndne_f32_e32 v25, v13
	v_mul_f32_e32 v21, 0xbfb8aa3b, v17
	v_fma_f32 v26, v14, s0, -v15
	v_rndne_f32_e32 v27, v15
	v_fmac_f32_e32 v23, 0xb2a5705f, v12
	v_sub_f32_e32 v13, v13, v25
	v_mul_f32_e32 v22, 0xbfb8aa3b, v20
	v_fma_f32 v28, v17, s0, -v21
	v_rndne_f32_e32 v29, v21
	v_fmac_f32_e32 v26, 0xb2a5705f, v14
	v_sub_f32_e32 v15, v15, v27
	v_add_f32_e32 v13, v13, v23
	v_fma_f32 v30, v20, s0, -v22
	v_rndne_f32_e32 v31, v22
	v_cvt_i32_f32_e32 v25, v25
	v_fmac_f32_e32 v28, 0xb2a5705f, v17
	v_sub_f32_e32 v21, v21, v29
	v_add_f32_e32 v15, v15, v26
	v_exp_f32_e32 v13, v13
	v_cvt_i32_f32_e32 v27, v27
	v_fmac_f32_e32 v30, 0xb2a5705f, v20
	v_sub_f32_e32 v22, v22, v31
	v_add_f32_e32 v21, v21, v28
	v_exp_f32_e32 v15, v15
	v_cvt_i32_f32_e32 v29, v29
	v_add_f32_e32 v22, v22, v30
	v_exp_f32_e32 v21, v21
	v_cvt_i32_f32_e32 v31, v31
	v_exp_f32_e32 v22, v22
	v_ldexp_f32 v13, v13, v25
	v_cmp_nlt_f32_e32 vcc, s1, v12
	v_ldexp_f32 v15, v15, v27
	v_cndmask_b32_e32 v13, 0, v13, vcc
	v_cmp_nlt_f32_e32 vcc, s1, v14
	v_ldexp_f32 v21, v21, v29
	v_cndmask_b32_e32 v15, 0, v15, vcc
	;; [unrolled: 3-line block ×3, first 2 shown]
	v_cmp_nlt_f32_e32 vcc, s1, v20
	v_cndmask_b32_e32 v22, 0, v22, vcc
	v_cmp_ngt_f32_e32 vcc, s3, v12
	v_cndmask_b32_e32 v13, v11, v13, vcc
	v_cmp_ngt_f32_e32 vcc, s3, v14
	;; [unrolled: 2-line block ×4, first 2 shown]
	v_pk_add_f32 v[12:13], v[12:13], 1.0 op_sel_hi:[1,0]
	v_cndmask_b32_e32 v14, v11, v22, vcc
	v_div_scale_f32 v17, s[0:1], v13, v13, 1.0
	v_pk_add_f32 v[14:15], v[14:15], 1.0 op_sel_hi:[1,0]
	v_div_scale_f32 v21, s[0:1], v12, v12, 1.0
	v_rcp_f32_e32 v23, v17
	v_div_scale_f32 v22, s[0:1], v15, v15, 1.0
	v_rcp_f32_e32 v25, v21
	v_rcp_f32_e32 v26, v22
	v_fma_f32 v28, -v17, v23, 1.0
	v_div_scale_f32 v20, vcc, 1.0, v13, 1.0
	v_fma_f32 v29, -v21, v25, 1.0
	v_fmac_f32_e32 v23, v28, v23
	v_div_scale_f32 v27, s[0:1], 1.0, v12, 1.0
	v_fma_f32 v30, -v22, v26, 1.0
	v_fmac_f32_e32 v25, v29, v25
	v_mul_f32_e32 v28, v20, v23
	v_fmac_f32_e32 v26, v30, v26
	v_mul_f32_e32 v29, v27, v25
	v_fma_f32 v30, -v17, v28, v20
	v_fma_f32 v31, -v21, v29, v27
	v_fmac_f32_e32 v28, v30, v23
	v_fmac_f32_e32 v29, v31, v25
	v_fma_f32 v17, -v17, v28, v20
	v_fma_f32 v20, -v21, v29, v27
	v_div_fmas_f32 v17, v17, v23, v28
	s_mov_b64 vcc, s[0:1]
	v_div_fixup_f32 v13, v17, v13, 1.0
	v_div_fmas_f32 v17, v20, v25, v29
	v_div_fixup_f32 v12, v17, v12, 1.0
	v_div_scale_f32 v17, vcc, 1.0, v15, 1.0
	v_mul_f32_e32 v20, v17, v26
	v_fma_f32 v21, -v22, v20, v17
	v_fmac_f32_e32 v20, v21, v26
	v_div_scale_f32 v21, s[0:1], v14, v14, 1.0
	v_fma_f32 v17, -v22, v20, v17
	v_rcp_f32_e32 v22, v21
	v_div_fmas_f32 v17, v17, v26, v20
	v_div_fixup_f32 v15, v17, v15, 1.0
	v_fma_f32 v17, -v21, v22, 1.0
	v_fmac_f32_e32 v22, v17, v22
	v_div_scale_f32 v17, vcc, 1.0, v14, 1.0
	v_mul_f32_e32 v20, v17, v22
	v_fma_f32 v23, -v21, v20, v17
	v_fmac_f32_e32 v20, v23, v22
	v_fma_f32 v17, -v21, v20, v17
	v_div_fmas_f32 v17, v17, v22, v20
	v_div_fixup_f32 v14, v17, v14, 1.0
	global_store_dwordx4 v[18:19], v[12:15], off
	s_cbranch_scc1 .LBB254_8
; %bb.5:
	s_waitcnt vmcnt(1)
	v_cvt_f32_u32_sdwa v26, v4 dst_sel:DWORD dst_unused:UNUSED_PAD src0_sel:WORD_1
	v_cvt_f32_u32_sdwa v27, v4 dst_sel:DWORD dst_unused:UNUSED_PAD src0_sel:WORD_0
	v_cvt_f32_u32_sdwa v31, v5 dst_sel:DWORD dst_unused:UNUSED_PAD src0_sel:WORD_0
	v_cvt_f32_u32_sdwa v30, v5 dst_sel:DWORD dst_unused:UNUSED_PAD src0_sel:WORD_1
	v_cvt_f32_u32_sdwa v38, v1 dst_sel:DWORD dst_unused:UNUSED_PAD src0_sel:WORD_1
	v_cmp_lt_f32_e32 vcc, v27, v26
	v_cvt_f32_u32_sdwa v39, v1 dst_sel:DWORD dst_unused:UNUSED_PAD src0_sel:WORD_0
	v_cndmask_b32_e32 v1, v27, v26, vcc
	v_cvt_f32_u32_sdwa v33, v6 dst_sel:DWORD dst_unused:UNUSED_PAD src0_sel:WORD_0
	v_cvt_f32_u32_sdwa v36, v0 dst_sel:DWORD dst_unused:UNUSED_PAD src0_sel:WORD_1
	v_cvt_f32_u32_sdwa v37, v0 dst_sel:DWORD dst_unused:UNUSED_PAD src0_sel:WORD_0
	v_cndmask_b32_e64 v0, 0, 1, vcc
	v_cmp_lt_f32_e32 vcc, v1, v31
	v_cndmask_b32_e32 v1, v1, v31, vcc
	v_cvt_f32_u32_sdwa v32, v6 dst_sel:DWORD dst_unused:UNUSED_PAD src0_sel:WORD_1
	v_cndmask_b32_e64 v0, v0, 2, vcc
	v_cmp_lt_f32_e32 vcc, v1, v30
	v_cndmask_b32_e32 v1, v1, v30, vcc
	v_cvt_f32_u32_sdwa v35, v7 dst_sel:DWORD dst_unused:UNUSED_PAD src0_sel:WORD_0
	v_cndmask_b32_e64 v0, v0, 3, vcc
	v_cmp_lt_f32_e32 vcc, v1, v33
	v_cndmask_b32_e32 v1, v1, v33, vcc
	v_cvt_f32_u32_sdwa v34, v7 dst_sel:DWORD dst_unused:UNUSED_PAD src0_sel:WORD_1
	v_cndmask_b32_e64 v0, v0, 4, vcc
	v_cmp_lt_f32_e32 vcc, v1, v32
	v_cndmask_b32_e32 v1, v1, v32, vcc
	v_cndmask_b32_e64 v0, v0, 5, vcc
	v_cmp_lt_f32_e32 vcc, v1, v35
	v_cndmask_b32_e32 v1, v1, v35, vcc
	v_cndmask_b32_e64 v0, v0, 6, vcc
	v_cmp_lt_f32_e32 vcc, v1, v34
	v_cndmask_b32_e32 v1, v1, v34, vcc
	v_cndmask_b32_e64 v0, v0, 7, vcc
	v_cmp_lt_f32_e32 vcc, v1, v37
	v_cndmask_b32_e32 v1, v1, v37, vcc
	v_cndmask_b32_e64 v0, v0, 8, vcc
	v_cmp_lt_f32_e32 vcc, v1, v36
	v_cndmask_b32_e32 v1, v1, v36, vcc
	v_cvt_f32_u32_sdwa v40, v2 dst_sel:DWORD dst_unused:UNUSED_PAD src0_sel:WORD_0
	v_cndmask_b32_e64 v0, v0, 9, vcc
	v_cmp_lt_f32_e32 vcc, v1, v39
	v_cndmask_b32_e32 v1, v1, v39, vcc
	v_cvt_f32_u32_sdwa v12, v2 dst_sel:DWORD dst_unused:UNUSED_PAD src0_sel:WORD_1
	v_cndmask_b32_e64 v0, v0, 10, vcc
	v_cmp_lt_f32_e32 vcc, v1, v38
	v_cndmask_b32_e32 v1, v1, v38, vcc
	v_cvt_f32_u32_sdwa v14, v3 dst_sel:DWORD dst_unused:UNUSED_PAD src0_sel:WORD_0
	v_cndmask_b32_e64 v0, v0, 11, vcc
	v_cmp_lt_f32_e32 vcc, v1, v40
	v_cndmask_b32_e32 v1, v1, v40, vcc
	v_cvt_f32_u32_sdwa v15, v3 dst_sel:DWORD dst_unused:UNUSED_PAD src0_sel:WORD_1
	v_cndmask_b32_e64 v0, v0, 12, vcc
	v_cmp_lt_f32_e32 vcc, v1, v12
	v_cndmask_b32_e32 v1, v1, v12, vcc
	v_cndmask_b32_e64 v0, v0, 13, vcc
	v_cmp_lt_f32_e32 vcc, v1, v14
	v_cndmask_b32_e32 v1, v1, v14, vcc
	;; [unrolled: 3-line block ×3, first 2 shown]
	v_cndmask_b32_e64 v13, v0, 15, vcc
	v_sub_f32_e32 v0, v25, v25
	s_mov_b32 s39, 0x3fb8aa3b
	v_mul_f32_e32 v1, 0x3fb8aa3b, v0
	v_fma_f32 v2, v0, s39, -v1
	v_rndne_f32_e32 v3, v1
	v_fmac_f32_e32 v2, 0x32a5705f, v0
	v_sub_f32_e32 v1, v1, v3
	v_add_f32_e32 v1, v1, v2
	v_exp_f32_e32 v1, v1
	v_cvt_i32_f32_e32 v2, v3
	v_cmp_le_i32_e32 vcc, s37, v13
	v_cmp_gt_i32_e64 s[0:1], s38, v13
	s_mov_b32 s46, 0xc2ce8ed0
	v_mul_lo_u32 v4, v10, s2
	s_and_b64 s[2:3], vcc, s[0:1]
	v_ldexp_f32 v1, v1, v2
	v_cmp_ngt_f32_e32 vcc, s46, v0
	s_mov_b32 s47, 0x42b17218
	s_load_dwordx4 s[28:31], s[4:5], 0x20
	v_cndmask_b32_e32 v1, 0, v1, vcc
	v_cmp_nlt_f32_e32 vcc, s47, v0
	v_ashrrev_i32_e32 v17, 31, v16
	v_cndmask_b32_e32 v24, v11, v1, vcc
	v_lshlrev_b64 v[0:1], 2, v[16:17]
	v_mov_b32_e32 v3, s41
	v_add_co_u32_e32 v2, vcc, s40, v0
	v_addc_co_u32_e64 v3, s[0:1], v3, v1, vcc
	v_ashrrev_i32_e32 v5, 31, v4
	v_mul_lo_u32 v6, v10, s36
	v_subrev_u32_e32 v0, s37, v13
	s_and_b64 s[0:1], s[42:43], s[2:3]
	v_lshlrev_b64 v[4:5], 2, v[4:5]
	global_store_dword v[2:3], v24, off
	v_cndmask_b32_e64 v0, 16, v0, s[0:1]
	s_waitcnt lgkmcnt(0)
	v_mov_b32_e32 v3, s29
	v_add_co_u32_e64 v18, s[0:1], s28, v4
	v_ashrrev_i32_e32 v7, 31, v6
	v_addc_co_u32_e64 v19, s[0:1], v3, v5, s[0:1]
	v_lshlrev_b64 v[6:7], 2, v[6:7]
	global_store_dword v[18:19], v0, off
	v_mov_b32_e32 v0, s31
	v_add_co_u32_e64 v18, s[0:1], s30, v6
	v_addc_co_u32_e64 v19, s[0:1], v0, v7, s[0:1]
	s_cmp_eq_u32 s36, 1
	global_store_dword v[18:19], v10, off
	s_cbranch_scc1 .LBB254_8
; %bb.6:
	v_mov_b32_e32 v0, s31
	v_add_co_u32_e64 v3, s[26:27], s30, v6
	v_addc_co_u32_e64 v0, s[26:27], v7, v0, s[26:27]
	v_add_co_u32_e64 v18, s[26:27], 4, v3
	v_addc_co_u32_e64 v19, s[26:27], 0, v0, s[26:27]
	v_mov_b32_e32 v0, s29
	v_add_co_u32_e64 v3, s[26:27], s28, v4
	v_addc_co_u32_e64 v0, s[26:27], v5, v0, s[26:27]
	v_add_co_u32_e64 v20, s[26:27], 4, v3
	v_addc_co_u32_e64 v21, s[26:27], 0, v0, s[26:27]
	v_mov_b32_e32 v0, s41
	v_addc_co_u32_e32 v0, vcc, v1, v0, vcc
	v_mov_b32_e32 v17, 0xff800000
	v_cmp_ne_u32_e64 s[0:1], 15, v13
	v_add_co_u32_e32 v22, vcc, 4, v2
	v_cndmask_b32_e64 v15, v17, v15, s[0:1]
	v_cmp_ne_u32_e64 s[0:1], 14, v13
	v_addc_co_u32_e32 v23, vcc, 0, v0, vcc
	v_cndmask_b32_e64 v14, v17, v14, s[0:1]
	v_cmp_ne_u32_e64 s[0:1], 12, v13
	v_cmp_ne_u32_e64 s[2:3], 11, v13
	;; [unrolled: 1-line block ×13, first 2 shown]
	s_add_i32 s34, s34, s33
	v_cmp_ne_u32_e32 vcc, 13, v13
	s_add_i32 s48, s36, -1
	v_add3_u32 v28, s34, v9, v8
	v_mov_b32_e32 v29, 0x7f800000
	v_cndmask_b32_e32 v13, v17, v12, vcc
	v_cndmask_b32_e64 v12, v17, v40, s[0:1]
	v_cndmask_b32_e64 v11, v17, v38, s[2:3]
	;; [unrolled: 1-line block ×13, first 2 shown]
.LBB254_7:                              ; =>This Inner Loop Header: Depth=1
	v_cmp_gt_f32_e32 vcc, v1, v0
	v_cndmask_b32_e32 v26, v0, v1, vcc
	v_cmp_gt_f32_e64 s[0:1], v2, v26
	v_cndmask_b32_e64 v26, v26, v2, s[0:1]
	v_cmp_gt_f32_e64 s[2:3], v3, v26
	v_cndmask_b32_e64 v26, v26, v3, s[2:3]
	;; [unrolled: 2-line block ×14, first 2 shown]
	v_sub_f32_e32 v26, v26, v25
	v_mul_f32_e32 v27, 0x3fb8aa3b, v26
	v_fma_f32 v30, v26, s39, -v27
	v_rndne_f32_e32 v31, v27
	v_fmac_f32_e32 v30, 0x32a5705f, v26
	v_sub_f32_e32 v27, v27, v31
	v_add_f32_e32 v27, v27, v30
	v_cndmask_b32_e64 v30, 0, 1, vcc
	v_cndmask_b32_e64 v30, v30, 2, s[0:1]
	v_cndmask_b32_e64 v30, v30, 3, s[2:3]
	;; [unrolled: 1-line block ×14, first 2 shown]
	v_cmp_le_i32_e32 vcc, s37, v30
	v_cmp_gt_i32_e64 s[0:1], s38, v30
	s_and_b64 s[0:1], vcc, s[0:1]
	v_cmp_ne_u32_e64 s[2:3], 15, v30
	v_cmp_ne_u32_e64 s[4:5], 14, v30
	v_cmp_ne_u32_e64 s[6:7], 13, v30
	v_cmp_ne_u32_e64 s[8:9], 12, v30
	v_cmp_ne_u32_e64 s[10:11], 11, v30
	v_cmp_ne_u32_e64 s[12:13], 10, v30
	v_cmp_ne_u32_e64 s[14:15], 9, v30
	v_cmp_ne_u32_e64 s[16:17], 8, v30
	v_cmp_ne_u32_e64 s[18:19], 7, v30
	v_cmp_ne_u32_e64 s[20:21], 6, v30
	v_cmp_ne_u32_e64 s[22:23], 5, v30
	v_cmp_ne_u32_e64 s[24:25], 4, v30
	v_cmp_ne_u32_e64 s[26:27], 3, v30
	v_cmp_ne_u32_e64 s[28:29], 2, v30
	v_cmp_ne_u32_e64 s[30:31], 1, v30
	v_cmp_ne_u32_e64 s[34:35], 0, v30
	v_subrev_u32_e32 v30, s37, v30
	s_and_b64 vcc, s[42:43], s[0:1]
	v_cndmask_b32_e32 v30, 16, v30, vcc
	global_store_dword v[20:21], v30, off
	v_cvt_i32_f32_e32 v30, v31
	v_exp_f32_e32 v27, v27
	v_cmp_ngt_f32_e32 vcc, s46, v26
	global_store_dword v[18:19], v28, off
	s_add_i32 s48, s48, -1
	v_ldexp_f32 v27, v27, v30
	v_cndmask_b32_e32 v27, 0, v27, vcc
	v_cmp_nlt_f32_e32 vcc, s47, v26
	v_cndmask_b32_e32 v26, v29, v27, vcc
	v_add_co_u32_e32 v18, vcc, 4, v18
	v_addc_co_u32_e32 v19, vcc, 0, v19, vcc
	v_add_co_u32_e32 v20, vcc, 4, v20
	v_addc_co_u32_e32 v21, vcc, 0, v21, vcc
	global_store_dword v[22:23], v26, off
	v_add_co_u32_e32 v22, vcc, 4, v22
	v_add_f32_e32 v24, v24, v26
	v_cndmask_b32_e64 v15, v17, v15, s[2:3]
	v_cndmask_b32_e64 v14, v17, v14, s[4:5]
	;; [unrolled: 1-line block ×16, first 2 shown]
	v_add_u32_e32 v28, s33, v28
	s_cmp_eq_u32 s48, 0
	v_addc_co_u32_e32 v23, vcc, 0, v23, vcc
	s_cbranch_scc0 .LBB254_7
.LBB254_8:
	v_cmp_neq_f32_e32 vcc, 0, v24
	s_and_b64 exec, exec, vcc
	s_cbranch_execz .LBB254_19
; %bb.9:
	s_andn2_b64 vcc, exec, s[44:45]
	s_cbranch_vccnz .LBB254_19
; %bb.10:
	s_waitcnt vmcnt(2)
	v_div_scale_f32 v0, s[0:1], v24, v24, 1.0
	v_rcp_f32_e32 v1, v0
	v_div_scale_f32 v2, vcc, 1.0, v24, 1.0
	s_cmp_gt_u32 s36, 3
	v_fma_f32 v3, -v0, v1, 1.0
	v_fmac_f32_e32 v1, v3, v1
	v_mul_f32_e32 v3, v2, v1
	s_waitcnt vmcnt(1)
	v_fma_f32 v4, -v0, v3, v2
	v_fmac_f32_e32 v3, v4, v1
	v_fma_f32 v0, -v0, v3, v2
	v_div_fmas_f32 v0, v0, v1, v3
	v_div_fixup_f32 v0, v0, v24, 1.0
	v_ashrrev_i32_e32 v17, 31, v16
	s_cbranch_scc0 .LBB254_14
; %bb.11:
	v_lshlrev_b64 v[2:3], 2, v[16:17]
	v_mov_b32_e32 v4, s41
	v_add_co_u32_e32 v2, vcc, s40, v2
	v_addc_co_u32_e32 v3, vcc, v3, v4, vcc
	s_and_b32 s4, s36, 0x7ffffffc
	v_add_co_u32_e32 v2, vcc, 8, v2
	v_mov_b32_e32 v1, v0
	v_addc_co_u32_e32 v3, vcc, 0, v3, vcc
	s_mov_b32 s0, s4
.LBB254_12:                             ; =>This Inner Loop Header: Depth=1
	global_load_dwordx4 v[4:7], v[2:3], off offset:-8
	s_add_i32 s0, s0, -4
	s_cmp_lg_u32 s0, 0
	s_waitcnt vmcnt(0)
	v_pk_mul_f32 v[4:5], v[0:1], v[4:5]
	v_pk_mul_f32 v[6:7], v[0:1], v[6:7]
	global_store_dwordx4 v[2:3], v[4:7], off offset:-8
	v_add_co_u32_e32 v2, vcc, 16, v2
	v_addc_co_u32_e32 v3, vcc, 0, v3, vcc
	s_cbranch_scc1 .LBB254_12
; %bb.13:
	s_cmp_lg_u32 s4, s36
	s_cselect_b64 s[0:1], -1, 0
	s_branch .LBB254_16
.LBB254_14:
	s_mov_b64 s[0:1], 0
                                        ; implicit-def: $sgpr4
	s_cbranch_execz .LBB254_16
; %bb.15:
	s_mov_b64 s[0:1], -1
	s_mov_b32 s4, 0
.LBB254_16:
	s_andn2_b64 vcc, exec, s[0:1]
	s_cbranch_vccnz .LBB254_19
; %bb.17:
	v_add_co_u32_e32 v2, vcc, s4, v16
	v_addc_co_u32_e32 v3, vcc, 0, v17, vcc
	v_lshlrev_b64 v[2:3], 2, v[2:3]
	v_mov_b32_e32 v1, s41
	v_add_co_u32_e32 v2, vcc, s40, v2
	s_sub_i32 s0, s36, s4
	v_addc_co_u32_e32 v3, vcc, v1, v3, vcc
.LBB254_18:                             ; =>This Inner Loop Header: Depth=1
	global_load_dword v1, v[2:3], off
	s_add_i32 s0, s0, -1
	s_cmp_lg_u32 s0, 0
	s_waitcnt vmcnt(0)
	v_mul_f32_e32 v1, v0, v1
	global_store_dword v[2:3], v1, off
	v_add_co_u32_e32 v2, vcc, 4, v2
	v_addc_co_u32_e32 v3, vcc, 0, v3, vcc
	s_cbranch_scc1 .LBB254_18
.LBB254_19:
	s_endpgm
	.section	.rodata,"a",@progbits
	.p2align	6, 0x0
	.amdhsa_kernel _ZN4vllm3moe17topkGatingSoftmaxItLi16ELi16ELi8ELi32ELb1ELi4ELNS0_23SharedExpertScoringFuncE1EEEvPKT_PKbPfiPiS9_iiiiii
		.amdhsa_group_segment_fixed_size 0
		.amdhsa_private_segment_fixed_size 0
		.amdhsa_kernarg_size 72
		.amdhsa_user_sgpr_count 6
		.amdhsa_user_sgpr_private_segment_buffer 1
		.amdhsa_user_sgpr_dispatch_ptr 0
		.amdhsa_user_sgpr_queue_ptr 0
		.amdhsa_user_sgpr_kernarg_segment_ptr 1
		.amdhsa_user_sgpr_dispatch_id 0
		.amdhsa_user_sgpr_flat_scratch_init 0
		.amdhsa_user_sgpr_kernarg_preload_length 0
		.amdhsa_user_sgpr_kernarg_preload_offset 0
		.amdhsa_user_sgpr_private_segment_size 0
		.amdhsa_uses_dynamic_stack 0
		.amdhsa_system_sgpr_private_segment_wavefront_offset 0
		.amdhsa_system_sgpr_workgroup_id_x 1
		.amdhsa_system_sgpr_workgroup_id_y 0
		.amdhsa_system_sgpr_workgroup_id_z 0
		.amdhsa_system_sgpr_workgroup_info 0
		.amdhsa_system_vgpr_workitem_id 1
		.amdhsa_next_free_vgpr 41
		.amdhsa_next_free_sgpr 49
		.amdhsa_accum_offset 44
		.amdhsa_reserve_vcc 1
		.amdhsa_reserve_flat_scratch 0
		.amdhsa_float_round_mode_32 0
		.amdhsa_float_round_mode_16_64 0
		.amdhsa_float_denorm_mode_32 3
		.amdhsa_float_denorm_mode_16_64 3
		.amdhsa_dx10_clamp 1
		.amdhsa_ieee_mode 1
		.amdhsa_fp16_overflow 0
		.amdhsa_tg_split 0
		.amdhsa_exception_fp_ieee_invalid_op 0
		.amdhsa_exception_fp_denorm_src 0
		.amdhsa_exception_fp_ieee_div_zero 0
		.amdhsa_exception_fp_ieee_overflow 0
		.amdhsa_exception_fp_ieee_underflow 0
		.amdhsa_exception_fp_ieee_inexact 0
		.amdhsa_exception_int_div_zero 0
	.end_amdhsa_kernel
	.section	.text._ZN4vllm3moe17topkGatingSoftmaxItLi16ELi16ELi8ELi32ELb1ELi4ELNS0_23SharedExpertScoringFuncE1EEEvPKT_PKbPfiPiS9_iiiiii,"axG",@progbits,_ZN4vllm3moe17topkGatingSoftmaxItLi16ELi16ELi8ELi32ELb1ELi4ELNS0_23SharedExpertScoringFuncE1EEEvPKT_PKbPfiPiS9_iiiiii,comdat
.Lfunc_end254:
	.size	_ZN4vllm3moe17topkGatingSoftmaxItLi16ELi16ELi8ELi32ELb1ELi4ELNS0_23SharedExpertScoringFuncE1EEEvPKT_PKbPfiPiS9_iiiiii, .Lfunc_end254-_ZN4vllm3moe17topkGatingSoftmaxItLi16ELi16ELi8ELi32ELb1ELi4ELNS0_23SharedExpertScoringFuncE1EEEvPKT_PKbPfiPiS9_iiiiii
                                        ; -- End function
	.section	.AMDGPU.csdata,"",@progbits
; Kernel info:
; codeLenInByte = 3048
; NumSgprs: 53
; NumVgprs: 41
; NumAgprs: 0
; TotalNumVgprs: 41
; ScratchSize: 0
; MemoryBound: 0
; FloatMode: 240
; IeeeMode: 1
; LDSByteSize: 0 bytes/workgroup (compile time only)
; SGPRBlocks: 6
; VGPRBlocks: 5
; NumSGPRsForWavesPerEU: 53
; NumVGPRsForWavesPerEU: 41
; AccumOffset: 44
; Occupancy: 8
; WaveLimiterHint : 0
; COMPUTE_PGM_RSRC2:SCRATCH_EN: 0
; COMPUTE_PGM_RSRC2:USER_SGPR: 6
; COMPUTE_PGM_RSRC2:TRAP_HANDLER: 0
; COMPUTE_PGM_RSRC2:TGID_X_EN: 1
; COMPUTE_PGM_RSRC2:TGID_Y_EN: 0
; COMPUTE_PGM_RSRC2:TGID_Z_EN: 0
; COMPUTE_PGM_RSRC2:TIDIG_COMP_CNT: 1
; COMPUTE_PGM_RSRC3_GFX90A:ACCUM_OFFSET: 10
; COMPUTE_PGM_RSRC3_GFX90A:TG_SPLIT: 0
	.section	.text._ZN4vllm3moe17topkGatingSoftmaxItLi16ELi16ELi8ELi32ELb0ELi4ELNS0_23SharedExpertScoringFuncE1EEEvPKT_PKbPfiPiS9_iiiiii,"axG",@progbits,_ZN4vllm3moe17topkGatingSoftmaxItLi16ELi16ELi8ELi32ELb0ELi4ELNS0_23SharedExpertScoringFuncE1EEEvPKT_PKbPfiPiS9_iiiiii,comdat
	.protected	_ZN4vllm3moe17topkGatingSoftmaxItLi16ELi16ELi8ELi32ELb0ELi4ELNS0_23SharedExpertScoringFuncE1EEEvPKT_PKbPfiPiS9_iiiiii ; -- Begin function _ZN4vllm3moe17topkGatingSoftmaxItLi16ELi16ELi8ELi32ELb0ELi4ELNS0_23SharedExpertScoringFuncE1EEEvPKT_PKbPfiPiS9_iiiiii
	.globl	_ZN4vllm3moe17topkGatingSoftmaxItLi16ELi16ELi8ELi32ELb0ELi4ELNS0_23SharedExpertScoringFuncE1EEEvPKT_PKbPfiPiS9_iiiiii
	.p2align	8
	.type	_ZN4vllm3moe17topkGatingSoftmaxItLi16ELi16ELi8ELi32ELb0ELi4ELNS0_23SharedExpertScoringFuncE1EEEvPKT_PKbPfiPiS9_iiiiii,@function
_ZN4vllm3moe17topkGatingSoftmaxItLi16ELi16ELi8ELi32ELb0ELi4ELNS0_23SharedExpertScoringFuncE1EEEvPKT_PKbPfiPiS9_iiiiii: ; @_ZN4vllm3moe17topkGatingSoftmaxItLi16ELi16ELi8ELi32ELb0ELi4ELNS0_23SharedExpertScoringFuncE1EEEvPKT_PKbPfiPiS9_iiiiii
; %bb.0:
	s_load_dword s33, s[4:5], 0x18
	v_bfe_u32 v1, v0, 10, 10
	s_lshl_b32 s50, s6, 9
	v_lshlrev_b32_e32 v28, 6, v1
	v_and_b32_e32 v29, 0x3ff, v0
	v_add3_u32 v22, v28, v29, s50
	s_waitcnt lgkmcnt(0)
	v_cmp_gt_i32_e32 vcc, s33, v22
	s_and_saveexec_b64 s[0:1], vcc
	s_cbranch_execz .LBB255_19
; %bb.1:
	s_load_dwordx4 s[0:3], s[4:5], 0x0
	s_load_dwordx2 s[44:45], s[4:5], 0x10
	s_waitcnt lgkmcnt(0)
	s_cmp_eq_u64 s[2:3], 0
	s_cbranch_scc1 .LBB255_3
; %bb.2:
	v_ashrrev_i32_e32 v1, 31, v22
	v_mov_b32_e32 v2, s3
	v_add_co_u32_e32 v0, vcc, s2, v22
	v_addc_co_u32_e32 v1, vcc, v2, v1, vcc
	global_load_ubyte v0, v[0:1], off
	s_waitcnt vmcnt(0)
	v_and_b32_e32 v0, 1, v0
	v_cmp_eq_u32_e32 vcc, 1, v0
	s_xor_b64 s[2:3], vcc, -1
	s_orn2_b64 s[48:49], s[2:3], exec
	s_branch .LBB255_4
.LBB255_3:
	s_mov_b64 s[48:49], -1
.LBB255_4:
	s_load_dwordx2 s[30:31], s[4:5], 0x40
	s_load_dwordx4 s[36:39], s[4:5], 0x30
	v_mov_b32_e32 v2, s1
	v_mov_b32_e32 v8, s45
	s_mov_b32 s1, 0x42ce8ed0
	s_waitcnt lgkmcnt(0)
	v_mul_lo_u32 v0, v22, s31
	v_ashrrev_i32_e32 v1, 31, v0
	v_lshlrev_b64 v[0:1], 1, v[0:1]
	v_add_co_u32_e32 v0, vcc, s0, v0
	v_addc_co_u32_e32 v1, vcc, v2, v1, vcc
	global_load_dwordx4 v[4:7], v[0:1], off
	global_load_dwordx2 v[2:3], v[0:1], off offset:32
	global_load_dwordx4 v[12:15], v[0:1], off offset:16
	v_mul_lo_u32 v16, v22, s39
	v_add_u32_e32 v0, s36, v16
	v_ashrrev_i32_e32 v1, 31, v0
	v_lshlrev_b64 v[0:1], 2, v[0:1]
	v_add_co_u32_e32 v18, vcc, s44, v0
	v_addc_co_u32_e32 v19, vcc, v8, v1, vcc
	s_mov_b32 s0, 0xbfb8aa3b
	s_mov_b32 s2, 0xc2b17218
	v_mov_b32_e32 v26, 0x7f800000
	s_cmp_gt_i32 s36, 0
	s_cselect_b64 s[46:47], -1, 0
	s_cmp_lt_i32 s36, 1
	s_waitcnt vmcnt(2)
	v_cvt_f32_u32_sdwa v1, v4 dst_sel:DWORD dst_unused:UNUSED_PAD src0_sel:WORD_1
	s_waitcnt vmcnt(1)
	v_cvt_f32_u32_sdwa v0, v2 dst_sel:DWORD dst_unused:UNUSED_PAD src0_sel:WORD_1
	v_cvt_f32_u32_sdwa v2, v2 dst_sel:DWORD dst_unused:UNUSED_PAD src0_sel:WORD_0
	v_cvt_f32_u32_sdwa v8, v3 dst_sel:DWORD dst_unused:UNUSED_PAD src0_sel:WORD_1
	v_cvt_f32_u32_sdwa v10, v3 dst_sel:DWORD dst_unused:UNUSED_PAD src0_sel:WORD_0
	v_mul_f32_e32 v3, 0xbfb8aa3b, v0
	v_mul_f32_e32 v9, 0xbfb8aa3b, v2
	v_fma_f32 v20, v0, s0, -v3
	v_rndne_f32_e32 v21, v3
	v_mul_f32_e32 v11, 0xbfb8aa3b, v8
	v_fma_f32 v23, v2, s0, -v9
	v_rndne_f32_e32 v24, v9
	v_fmac_f32_e32 v20, 0xb2a5705f, v0
	v_sub_f32_e32 v3, v3, v21
	v_mul_f32_e32 v17, 0xbfb8aa3b, v10
	v_fma_f32 v25, v8, s0, -v11
	v_rndne_f32_e32 v27, v11
	v_fmac_f32_e32 v23, 0xb2a5705f, v2
	v_sub_f32_e32 v9, v9, v24
	v_add_f32_e32 v3, v3, v20
	v_fma_f32 v30, v10, s0, -v17
	v_rndne_f32_e32 v31, v17
	v_cvt_i32_f32_e32 v21, v21
	v_fmac_f32_e32 v25, 0xb2a5705f, v8
	v_sub_f32_e32 v11, v11, v27
	v_add_f32_e32 v9, v9, v23
	v_exp_f32_e32 v3, v3
	v_cvt_i32_f32_e32 v24, v24
	v_fmac_f32_e32 v30, 0xb2a5705f, v10
	v_sub_f32_e32 v17, v17, v31
	v_add_f32_e32 v11, v11, v25
	v_exp_f32_e32 v9, v9
	v_cvt_i32_f32_e32 v27, v27
	v_add_f32_e32 v17, v17, v30
	v_exp_f32_e32 v11, v11
	v_cvt_i32_f32_e32 v31, v31
	v_exp_f32_e32 v17, v17
	v_ldexp_f32 v3, v3, v21
	v_cmp_nlt_f32_e32 vcc, s1, v0
	v_ldexp_f32 v9, v9, v24
	v_cndmask_b32_e32 v3, 0, v3, vcc
	v_cmp_nlt_f32_e32 vcc, s1, v2
	v_ldexp_f32 v11, v11, v27
	v_cndmask_b32_e32 v9, 0, v9, vcc
	;; [unrolled: 3-line block ×3, first 2 shown]
	v_cmp_nlt_f32_e32 vcc, s1, v10
	v_cndmask_b32_e32 v17, 0, v17, vcc
	v_cmp_ngt_f32_e32 vcc, s2, v0
	v_cndmask_b32_e32 v3, v26, v3, vcc
	v_cmp_ngt_f32_e32 vcc, s2, v2
	;; [unrolled: 2-line block ×4, first 2 shown]
	v_cndmask_b32_e32 v8, v26, v17, vcc
	v_pk_add_f32 v[2:3], v[2:3], 1.0 op_sel_hi:[1,0]
	v_pk_add_f32 v[10:11], v[8:9], 1.0 op_sel_hi:[1,0]
	v_div_scale_f32 v8, s[0:1], v3, v3, 1.0
	v_div_scale_f32 v17, s[0:1], v2, v2, 1.0
	v_rcp_f32_e32 v21, v8
	v_div_scale_f32 v20, s[0:1], v11, v11, 1.0
	v_rcp_f32_e32 v23, v17
	v_rcp_f32_e32 v24, v20
	v_fma_f32 v0, -v8, v21, 1.0
	v_div_scale_f32 v9, vcc, 1.0, v3, 1.0
	v_fma_f32 v27, -v17, v23, 1.0
	v_fmac_f32_e32 v21, v0, v21
	v_div_scale_f32 v25, s[0:1], 1.0, v2, 1.0
	v_fma_f32 v30, -v20, v24, 1.0
	v_fmac_f32_e32 v23, v27, v23
	v_mul_f32_e32 v27, v9, v21
	v_fmac_f32_e32 v24, v30, v24
	v_mul_f32_e32 v30, v25, v23
	v_fma_f32 v0, -v8, v27, v9
	v_fma_f32 v31, -v17, v30, v25
	v_fmac_f32_e32 v27, v0, v21
	v_fmac_f32_e32 v30, v31, v23
	v_cvt_f32_u32_sdwa v0, v4 dst_sel:DWORD dst_unused:UNUSED_PAD src0_sel:WORD_0
	v_fma_f32 v4, -v8, v27, v9
	v_fma_f32 v8, -v17, v30, v25
	v_div_fmas_f32 v4, v4, v21, v27
	s_mov_b64 vcc, s[0:1]
	v_div_fixup_f32 v9, v4, v3, 1.0
	v_div_fmas_f32 v3, v8, v23, v30
	v_div_fixup_f32 v8, v3, v2, 1.0
	v_div_scale_f32 v2, vcc, 1.0, v11, 1.0
	v_mul_f32_e32 v3, v2, v24
	v_fma_f32 v4, -v20, v3, v2
	v_fmac_f32_e32 v3, v4, v24
	v_div_scale_f32 v4, s[0:1], v10, v10, 1.0
	v_rcp_f32_e32 v17, v4
	v_fma_f32 v2, -v20, v3, v2
	v_div_fmas_f32 v2, v2, v24, v3
	v_div_fixup_f32 v11, v2, v11, 1.0
	v_fma_f32 v2, -v4, v17, 1.0
	v_fmac_f32_e32 v17, v2, v17
	v_div_scale_f32 v2, vcc, 1.0, v10, 1.0
	v_mul_f32_e32 v3, v2, v17
	v_fma_f32 v20, -v4, v3, v2
	v_fmac_f32_e32 v3, v20, v17
	v_fma_f32 v2, -v4, v3, v2
	v_div_fmas_f32 v2, v2, v17, v3
	v_div_fixup_f32 v10, v2, v10, 1.0
	v_cvt_f32_u32_sdwa v2, v5 dst_sel:DWORD dst_unused:UNUSED_PAD src0_sel:WORD_0
	v_cmp_lt_f32_e32 vcc, v0, v1
	v_cndmask_b32_e32 v3, v0, v1, vcc
	global_store_dwordx4 v[18:19], v[8:11], off
	v_cmp_lt_f32_e64 s[0:1], v3, v2
	v_cndmask_b32_e64 v4, v3, v2, s[0:1]
	v_cvt_f32_u32_sdwa v3, v5 dst_sel:DWORD dst_unused:UNUSED_PAD src0_sel:WORD_1
	v_cmp_lt_f32_e64 s[2:3], v4, v3
	v_cndmask_b32_e64 v5, v4, v3, s[2:3]
	v_cvt_f32_u32_sdwa v4, v6 dst_sel:DWORD dst_unused:UNUSED_PAD src0_sel:WORD_0
	v_cmp_lt_f32_e64 s[6:7], v5, v4
	v_cndmask_b32_e64 v8, v5, v4, s[6:7]
	v_cvt_f32_u32_sdwa v5, v6 dst_sel:DWORD dst_unused:UNUSED_PAD src0_sel:WORD_1
	v_cvt_f32_u32_sdwa v6, v7 dst_sel:DWORD dst_unused:UNUSED_PAD src0_sel:WORD_0
	v_cvt_f32_u32_sdwa v7, v7 dst_sel:DWORD dst_unused:UNUSED_PAD src0_sel:WORD_1
	v_cmp_lt_f32_e64 s[8:9], v8, v5
	v_cndmask_b32_e64 v8, v8, v5, s[8:9]
	v_cmp_lt_f32_e64 s[10:11], v8, v6
	v_cndmask_b32_e64 v8, v8, v6, s[10:11]
	;; [unrolled: 2-line block ×3, first 2 shown]
	s_waitcnt vmcnt(1)
	v_cvt_f32_u32_sdwa v8, v12 dst_sel:DWORD dst_unused:UNUSED_PAD src0_sel:WORD_0
	v_cmp_lt_f32_e64 s[14:15], v9, v8
	v_cndmask_b32_e64 v10, v9, v8, s[14:15]
	v_cvt_f32_u32_sdwa v9, v12 dst_sel:DWORD dst_unused:UNUSED_PAD src0_sel:WORD_1
	v_cmp_lt_f32_e64 s[16:17], v10, v9
	v_cndmask_b32_e64 v11, v10, v9, s[16:17]
	v_cvt_f32_u32_sdwa v10, v13 dst_sel:DWORD dst_unused:UNUSED_PAD src0_sel:WORD_0
	v_cmp_lt_f32_e64 s[18:19], v11, v10
	v_cndmask_b32_e64 v12, v11, v10, s[18:19]
	v_cvt_f32_u32_sdwa v11, v13 dst_sel:DWORD dst_unused:UNUSED_PAD src0_sel:WORD_1
	v_cmp_lt_f32_e64 s[20:21], v12, v11
	v_cndmask_b32_e64 v13, v12, v11, s[20:21]
	v_cvt_f32_u32_sdwa v12, v14 dst_sel:DWORD dst_unused:UNUSED_PAD src0_sel:WORD_0
	v_cmp_lt_f32_e64 s[22:23], v13, v12
	v_cndmask_b32_e64 v17, v13, v12, s[22:23]
	v_cvt_f32_u32_sdwa v13, v14 dst_sel:DWORD dst_unused:UNUSED_PAD src0_sel:WORD_1
	v_cvt_f32_u32_sdwa v14, v15 dst_sel:DWORD dst_unused:UNUSED_PAD src0_sel:WORD_0
	v_cvt_f32_u32_sdwa v15, v15 dst_sel:DWORD dst_unused:UNUSED_PAD src0_sel:WORD_1
	v_cmp_lt_f32_e64 s[24:25], v17, v13
	v_cndmask_b32_e64 v17, v17, v13, s[24:25]
	v_cmp_lt_f32_e64 s[26:27], v17, v14
	v_cndmask_b32_e64 v17, v17, v14, s[26:27]
	;; [unrolled: 2-line block ×3, first 2 shown]
	v_mov_b32_e32 v17, 0
	s_cbranch_scc1 .LBB255_8
; %bb.5:
	s_load_dwordx4 s[40:43], s[4:5], 0x20
	v_mul_lo_u32 v18, v22, s30
	v_ashrrev_i32_e32 v19, 31, v18
	v_lshlrev_b64 v[20:21], 2, v[18:19]
	v_sub_f32_e32 v32, v27, v27
	s_waitcnt lgkmcnt(0)
	v_mov_b32_e32 v17, s41
	v_add_co_u32_e64 v18, s[4:5], s40, v20
	v_addc_co_u32_e64 v19, s[4:5], v17, v21, s[4:5]
	v_cndmask_b32_e64 v17, 0, 1, vcc
	v_cndmask_b32_e64 v17, v17, 2, s[0:1]
	v_cndmask_b32_e64 v17, v17, 3, s[2:3]
	;; [unrolled: 1-line block ×14, first 2 shown]
	v_cmp_le_i32_e32 vcc, s37, v31
	v_cmp_gt_i32_e64 s[0:1], s38, v31
	s_and_b64 s[0:1], vcc, s[0:1]
	v_subrev_u32_e32 v17, s37, v31
	s_and_b64 vcc, s[48:49], s[0:1]
	v_cndmask_b32_e32 v17, 16, v17, vcc
	global_store_dword v[18:19], v17, off
	v_mul_lo_u32 v18, v22, s36
	v_ashrrev_i32_e32 v19, 31, v18
	v_lshlrev_b64 v[18:19], 2, v[18:19]
	v_mov_b32_e32 v17, s43
	v_add_co_u32_e32 v24, vcc, s42, v18
	v_addc_co_u32_e32 v25, vcc, v17, v19, vcc
	v_mul_f32_e32 v17, 0x3fb8aa3b, v32
	global_store_dword v[24:25], v22, off
	s_mov_b32 s39, 0x3fb8aa3b
	v_rndne_f32_e32 v22, v17
	v_sub_f32_e32 v23, v17, v22
	v_fma_f32 v17, v32, s39, -v17
	v_fmac_f32_e32 v17, 0x32a5705f, v32
	v_add_f32_e32 v17, v23, v17
	v_exp_f32_e32 v17, v17
	v_cvt_i32_f32_e32 v22, v22
	v_mov_b32_e32 v25, s45
	s_mov_b32 s51, 0xc2ce8ed0
	v_cmp_ngt_f32_e64 s[34:35], s51, v32
	v_ldexp_f32 v33, v17, v22
	v_ashrrev_i32_e32 v17, 31, v16
	v_lshlrev_b64 v[22:23], 2, v[16:17]
	v_add_co_u32_e32 v24, vcc, s44, v22
	v_addc_co_u32_e64 v25, s[0:1], v25, v23, vcc
	s_mov_b32 s52, 0x42b17218
	v_mov_b32_e32 v30, 0xff800000
	v_cmp_ne_u32_e64 s[0:1], 15, v31
	v_cmp_ne_u32_e64 s[2:3], 14, v31
	v_cmp_ne_u32_e64 s[4:5], 13, v31
	v_cmp_ne_u32_e64 s[6:7], 12, v31
	v_cmp_ne_u32_e64 s[8:9], 11, v31
	v_cmp_ne_u32_e64 s[10:11], 10, v31
	v_cmp_ne_u32_e64 s[12:13], 9, v31
	v_cmp_ne_u32_e64 s[14:15], 8, v31
	v_cmp_ne_u32_e64 s[16:17], 7, v31
	v_cmp_ne_u32_e64 s[18:19], 6, v31
	v_cmp_ne_u32_e64 s[20:21], 5, v31
	v_cmp_ne_u32_e64 s[22:23], 4, v31
	v_cmp_ne_u32_e64 s[24:25], 3, v31
	v_cmp_ne_u32_e64 s[26:27], 2, v31
	v_cmp_ne_u32_e64 s[28:29], 1, v31
	v_cmp_ne_u32_e64 s[30:31], 0, v31
	v_cndmask_b32_e64 v17, 0, v33, s[34:35]
	v_cmp_nlt_f32_e64 s[34:35], s52, v32
	v_cndmask_b32_e64 v17, v26, v17, s[34:35]
	v_cndmask_b32_e64 v15, v30, v15, s[0:1]
	;; [unrolled: 1-line block ×16, first 2 shown]
	s_cmp_eq_u32 s36, 1
	v_cndmask_b32_e64 v0, v30, v0, s[30:31]
	global_store_dword v[24:25], v17, off
	s_cbranch_scc1 .LBB255_8
; %bb.6:
	v_mov_b32_e32 v22, s43
	v_add_co_u32_e64 v18, s[0:1], s42, v18
	v_addc_co_u32_e64 v19, s[0:1], v19, v22, s[0:1]
	v_add_co_u32_e64 v18, s[0:1], 4, v18
	v_addc_co_u32_e64 v19, s[0:1], 0, v19, s[0:1]
	v_mov_b32_e32 v22, s41
	v_add_co_u32_e64 v20, s[0:1], s40, v20
	v_addc_co_u32_e64 v21, s[0:1], v21, v22, s[0:1]
	v_mov_b32_e32 v22, s45
	v_addc_co_u32_e32 v23, vcc, v23, v22, vcc
	v_add_co_u32_e64 v20, s[0:1], 4, v20
	v_add_co_u32_e32 v22, vcc, 4, v24
	s_add_i32 s50, s50, s33
	v_addc_co_u32_e64 v21, s[0:1], 0, v21, s[0:1]
	v_addc_co_u32_e32 v23, vcc, 0, v23, vcc
	s_add_i32 s40, s36, -1
	v_add3_u32 v24, s50, v29, v28
	v_mov_b32_e32 v25, 0x7f800000
.LBB255_7:                              ; =>This Inner Loop Header: Depth=1
	v_cmp_gt_f32_e32 vcc, v1, v0
	v_cndmask_b32_e32 v28, v0, v1, vcc
	v_cmp_gt_f32_e64 s[0:1], v2, v28
	v_cndmask_b32_e64 v28, v28, v2, s[0:1]
	v_cmp_gt_f32_e64 s[2:3], v3, v28
	v_cndmask_b32_e64 v28, v28, v3, s[2:3]
	;; [unrolled: 2-line block ×14, first 2 shown]
	v_sub_f32_e32 v28, v28, v27
	v_mul_f32_e32 v29, 0x3fb8aa3b, v28
	v_fma_f32 v31, v28, s39, -v29
	v_rndne_f32_e32 v32, v29
	v_fmac_f32_e32 v31, 0x32a5705f, v28
	v_sub_f32_e32 v29, v29, v32
	v_add_f32_e32 v29, v29, v31
	v_cndmask_b32_e64 v31, 0, 1, vcc
	v_cndmask_b32_e64 v31, v31, 2, s[0:1]
	v_cndmask_b32_e64 v31, v31, 3, s[2:3]
	;; [unrolled: 1-line block ×14, first 2 shown]
	v_cmp_le_i32_e32 vcc, s37, v31
	v_cmp_gt_i32_e64 s[0:1], s38, v31
	s_and_b64 s[0:1], vcc, s[0:1]
	v_cmp_ne_u32_e64 s[2:3], 15, v31
	v_cmp_ne_u32_e64 s[4:5], 14, v31
	;; [unrolled: 1-line block ×16, first 2 shown]
	v_subrev_u32_e32 v31, s37, v31
	s_and_b64 vcc, s[48:49], s[0:1]
	v_cndmask_b32_e32 v31, 16, v31, vcc
	global_store_dword v[20:21], v31, off
	v_cvt_i32_f32_e32 v31, v32
	v_exp_f32_e32 v29, v29
	v_cmp_ngt_f32_e32 vcc, s51, v28
	global_store_dword v[18:19], v24, off
	s_add_i32 s40, s40, -1
	v_ldexp_f32 v29, v29, v31
	v_cndmask_b32_e32 v29, 0, v29, vcc
	v_cmp_nlt_f32_e32 vcc, s52, v28
	v_cndmask_b32_e32 v28, v25, v29, vcc
	v_add_co_u32_e32 v18, vcc, 4, v18
	v_addc_co_u32_e32 v19, vcc, 0, v19, vcc
	v_add_co_u32_e32 v20, vcc, 4, v20
	v_addc_co_u32_e32 v21, vcc, 0, v21, vcc
	global_store_dword v[22:23], v28, off
	v_add_co_u32_e32 v22, vcc, 4, v22
	v_add_f32_e32 v17, v17, v28
	v_cndmask_b32_e64 v15, v30, v15, s[2:3]
	v_cndmask_b32_e64 v14, v30, v14, s[4:5]
	;; [unrolled: 1-line block ×16, first 2 shown]
	v_add_u32_e32 v24, s33, v24
	s_cmp_eq_u32 s40, 0
	v_addc_co_u32_e32 v23, vcc, 0, v23, vcc
	s_cbranch_scc0 .LBB255_7
.LBB255_8:
	v_sub_f32_e32 v0, v0, v27
	s_mov_b32 s2, 0x3fb8aa3b
	v_mul_f32_e32 v18, 0x3fb8aa3b, v0
	v_fma_f32 v19, v0, s2, -v18
	v_rndne_f32_e32 v20, v18
	v_fmac_f32_e32 v19, 0x32a5705f, v0
	v_sub_f32_e32 v18, v18, v20
	v_add_f32_e32 v18, v18, v19
	v_exp_f32_e32 v18, v18
	v_cvt_i32_f32_e32 v19, v20
	v_sub_f32_e32 v1, v1, v27
	s_mov_b32 s4, 0xc2ce8ed0
	s_mov_b32 s3, 0x42b17218
	v_ldexp_f32 v18, v18, v19
	v_mul_f32_e32 v19, 0x3fb8aa3b, v1
	v_fma_f32 v20, v1, s2, -v19
	v_rndne_f32_e32 v21, v19
	v_fmac_f32_e32 v20, 0x32a5705f, v1
	v_sub_f32_e32 v19, v19, v21
	v_add_f32_e32 v19, v19, v20
	v_exp_f32_e32 v19, v19
	v_cvt_i32_f32_e32 v20, v21
	v_cmp_ngt_f32_e32 vcc, s4, v1
	v_cmp_ngt_f32_e64 s[0:1], s4, v0
	v_sub_f32_e32 v2, v2, v27
	v_ldexp_f32 v19, v19, v20
	v_cndmask_b32_e32 v19, 0, v19, vcc
	v_cmp_nlt_f32_e32 vcc, s3, v1
	v_cndmask_b32_e64 v1, 0, v18, s[0:1]
	v_cmp_nlt_f32_e64 s[0:1], s3, v0
	v_cndmask_b32_e64 v0, v26, v1, s[0:1]
	v_cndmask_b32_e32 v1, v26, v19, vcc
	v_add_f32_e32 v0, v0, v1
	v_mul_f32_e32 v1, 0x3fb8aa3b, v2
	v_fma_f32 v18, v2, s2, -v1
	v_rndne_f32_e32 v19, v1
	v_fmac_f32_e32 v18, 0x32a5705f, v2
	v_sub_f32_e32 v1, v1, v19
	v_add_f32_e32 v1, v1, v18
	v_exp_f32_e32 v1, v1
	v_cvt_i32_f32_e32 v18, v19
	v_cmp_ngt_f32_e32 vcc, s4, v2
	v_sub_f32_e32 v3, v3, v27
	v_sub_f32_e32 v4, v4, v27
	v_ldexp_f32 v1, v1, v18
	v_cndmask_b32_e32 v1, 0, v1, vcc
	v_cmp_nlt_f32_e32 vcc, s3, v2
	v_cndmask_b32_e32 v1, v26, v1, vcc
	v_add_f32_e32 v0, v0, v1
	v_mul_f32_e32 v1, 0x3fb8aa3b, v3
	v_fma_f32 v2, v3, s2, -v1
	v_rndne_f32_e32 v18, v1
	v_fmac_f32_e32 v2, 0x32a5705f, v3
	v_sub_f32_e32 v1, v1, v18
	v_add_f32_e32 v1, v1, v2
	v_exp_f32_e32 v1, v1
	v_cvt_i32_f32_e32 v2, v18
	v_cmp_ngt_f32_e32 vcc, s4, v3
	v_sub_f32_e32 v5, v5, v27
	v_sub_f32_e32 v6, v6, v27
	v_ldexp_f32 v1, v1, v2
	v_cndmask_b32_e32 v1, 0, v1, vcc
	v_cmp_nlt_f32_e32 vcc, s3, v3
	;; [unrolled: 16-line block ×5, first 2 shown]
	v_cndmask_b32_e32 v1, v26, v1, vcc
	v_add_f32_e32 v0, v0, v1
	v_mul_f32_e32 v1, 0x3fb8aa3b, v7
	v_fma_f32 v2, v7, s2, -v1
	v_rndne_f32_e32 v3, v1
	v_fmac_f32_e32 v2, 0x32a5705f, v7
	v_sub_f32_e32 v1, v1, v3
	v_add_f32_e32 v1, v1, v2
	v_exp_f32_e32 v1, v1
	v_cvt_i32_f32_e32 v2, v3
	v_cmp_ngt_f32_e32 vcc, s4, v7
	v_ldexp_f32 v1, v1, v2
	v_mul_f32_e32 v2, 0x3fb8aa3b, v8
	v_fma_f32 v3, v8, s2, -v2
	v_rndne_f32_e32 v4, v2
	v_fmac_f32_e32 v3, 0x32a5705f, v8
	v_sub_f32_e32 v2, v2, v4
	v_add_f32_e32 v2, v2, v3
	v_exp_f32_e32 v2, v2
	v_cvt_i32_f32_e32 v3, v4
	v_cndmask_b32_e32 v1, 0, v1, vcc
	v_cmp_nlt_f32_e32 vcc, s3, v7
	v_cndmask_b32_e32 v1, v26, v1, vcc
	v_add_f32_e32 v0, v0, v1
	v_ldexp_f32 v1, v2, v3
	v_mul_f32_e32 v2, 0x3fb8aa3b, v9
	v_fma_f32 v3, v9, s2, -v2
	v_rndne_f32_e32 v4, v2
	v_fmac_f32_e32 v3, 0x32a5705f, v9
	v_sub_f32_e32 v2, v2, v4
	v_add_f32_e32 v2, v2, v3
	v_exp_f32_e32 v2, v2
	v_cvt_i32_f32_e32 v3, v4
	v_cmp_ngt_f32_e32 vcc, s4, v8
	v_cndmask_b32_e32 v1, 0, v1, vcc
	v_cmp_nlt_f32_e32 vcc, s3, v8
	v_cndmask_b32_e32 v1, v26, v1, vcc
	v_add_f32_e32 v0, v0, v1
	v_ldexp_f32 v1, v2, v3
	v_mul_f32_e32 v2, 0x3fb8aa3b, v10
	v_fma_f32 v3, v10, s2, -v2
	v_rndne_f32_e32 v4, v2
	v_fmac_f32_e32 v3, 0x32a5705f, v10
	v_sub_f32_e32 v2, v2, v4
	v_add_f32_e32 v2, v2, v3
	v_exp_f32_e32 v2, v2
	v_cvt_i32_f32_e32 v3, v4
	v_cmp_ngt_f32_e32 vcc, s4, v9
	;; [unrolled: 14-line block ×4, first 2 shown]
	v_cndmask_b32_e32 v1, 0, v1, vcc
	v_cmp_nlt_f32_e32 vcc, s3, v11
	v_cndmask_b32_e32 v1, v26, v1, vcc
	v_add_f32_e32 v0, v0, v1
	v_ldexp_f32 v1, v2, v3
	v_sub_f32_e32 v2, v13, v27
	v_mul_f32_e32 v3, 0x3fb8aa3b, v2
	v_fma_f32 v4, v2, s2, -v3
	v_rndne_f32_e32 v5, v3
	v_fmac_f32_e32 v4, 0x32a5705f, v2
	v_sub_f32_e32 v3, v3, v5
	v_add_f32_e32 v3, v3, v4
	v_exp_f32_e32 v3, v3
	v_cvt_i32_f32_e32 v4, v5
	v_cmp_ngt_f32_e32 vcc, s4, v12
	v_cndmask_b32_e32 v1, 0, v1, vcc
	v_cmp_nlt_f32_e32 vcc, s3, v12
	v_cndmask_b32_e32 v1, v26, v1, vcc
	v_add_f32_e32 v0, v0, v1
	v_ldexp_f32 v1, v3, v4
	v_sub_f32_e32 v3, v14, v27
	v_mul_f32_e32 v4, 0x3fb8aa3b, v3
	v_fma_f32 v5, v3, s2, -v4
	v_rndne_f32_e32 v6, v4
	v_fmac_f32_e32 v5, 0x32a5705f, v3
	v_sub_f32_e32 v4, v4, v6
	v_add_f32_e32 v4, v4, v5
	v_exp_f32_e32 v4, v4
	v_cvt_i32_f32_e32 v5, v6
	v_cmp_ngt_f32_e32 vcc, s4, v2
	v_cndmask_b32_e32 v1, 0, v1, vcc
	v_cmp_nlt_f32_e32 vcc, s3, v2
	v_cndmask_b32_e32 v1, v26, v1, vcc
	v_sub_f32_e32 v2, v15, v27
	v_add_f32_e32 v0, v0, v1
	v_ldexp_f32 v1, v4, v5
	v_mul_f32_e32 v4, 0x3fb8aa3b, v2
	v_fma_f32 v5, v2, s2, -v4
	v_rndne_f32_e32 v6, v4
	v_fmac_f32_e32 v5, 0x32a5705f, v2
	v_sub_f32_e32 v4, v4, v6
	v_add_f32_e32 v4, v4, v5
	v_exp_f32_e32 v4, v4
	v_cvt_i32_f32_e32 v5, v6
	v_cmp_ngt_f32_e32 vcc, s4, v3
	v_cndmask_b32_e32 v1, 0, v1, vcc
	v_cmp_nlt_f32_e32 vcc, s3, v3
	v_cndmask_b32_e32 v1, v26, v1, vcc
	v_add_f32_e32 v0, v0, v1
	v_ldexp_f32 v1, v4, v5
	v_cmp_ngt_f32_e32 vcc, s4, v2
	v_cndmask_b32_e32 v1, 0, v1, vcc
	v_cmp_nlt_f32_e32 vcc, s3, v2
	v_cndmask_b32_e32 v1, v26, v1, vcc
	v_add_f32_e32 v0, v0, v1
	v_add_f32_e32 v0, v17, v0
	v_cmp_neq_f32_e32 vcc, 0, v0
	s_and_b64 exec, exec, vcc
	s_cbranch_execz .LBB255_19
; %bb.9:
	s_andn2_b64 vcc, exec, s[46:47]
	s_cbranch_vccnz .LBB255_19
; %bb.10:
	v_div_scale_f32 v1, s[0:1], v0, v0, 1.0
	v_rcp_f32_e32 v2, v1
	v_div_scale_f32 v3, vcc, 1.0, v0, 1.0
	s_cmp_gt_u32 s36, 3
	v_fma_f32 v4, -v1, v2, 1.0
	v_fmac_f32_e32 v2, v4, v2
	v_mul_f32_e32 v4, v3, v2
	v_fma_f32 v5, -v1, v4, v3
	v_fmac_f32_e32 v4, v5, v2
	v_fma_f32 v1, -v1, v4, v3
	v_div_fmas_f32 v1, v1, v2, v4
	v_div_fixup_f32 v0, v1, v0, 1.0
	v_ashrrev_i32_e32 v17, 31, v16
	s_cbranch_scc0 .LBB255_14
; %bb.11:
	v_lshlrev_b64 v[2:3], 2, v[16:17]
	v_mov_b32_e32 v4, s45
	v_add_co_u32_e32 v2, vcc, s44, v2
	v_addc_co_u32_e32 v3, vcc, v3, v4, vcc
	s_and_b32 s4, s36, 0x7ffffffc
	v_add_co_u32_e32 v2, vcc, 8, v2
	v_mov_b32_e32 v1, v0
	v_addc_co_u32_e32 v3, vcc, 0, v3, vcc
	s_mov_b32 s0, s4
.LBB255_12:                             ; =>This Inner Loop Header: Depth=1
	global_load_dwordx4 v[4:7], v[2:3], off offset:-8
	s_add_i32 s0, s0, -4
	s_cmp_lg_u32 s0, 0
	s_waitcnt vmcnt(0)
	v_pk_mul_f32 v[4:5], v[0:1], v[4:5]
	v_pk_mul_f32 v[6:7], v[0:1], v[6:7]
	global_store_dwordx4 v[2:3], v[4:7], off offset:-8
	v_add_co_u32_e32 v2, vcc, 16, v2
	v_addc_co_u32_e32 v3, vcc, 0, v3, vcc
	s_cbranch_scc1 .LBB255_12
; %bb.13:
	s_cmp_lg_u32 s4, s36
	s_cselect_b64 s[0:1], -1, 0
	s_branch .LBB255_16
.LBB255_14:
	s_mov_b64 s[0:1], 0
                                        ; implicit-def: $sgpr4
	s_cbranch_execz .LBB255_16
; %bb.15:
	s_mov_b64 s[0:1], -1
	s_mov_b32 s4, 0
.LBB255_16:
	s_andn2_b64 vcc, exec, s[0:1]
	s_cbranch_vccnz .LBB255_19
; %bb.17:
	v_add_co_u32_e32 v2, vcc, s4, v16
	v_addc_co_u32_e32 v3, vcc, 0, v17, vcc
	v_lshlrev_b64 v[2:3], 2, v[2:3]
	v_mov_b32_e32 v1, s45
	v_add_co_u32_e32 v2, vcc, s44, v2
	s_sub_i32 s0, s36, s4
	v_addc_co_u32_e32 v3, vcc, v1, v3, vcc
.LBB255_18:                             ; =>This Inner Loop Header: Depth=1
	global_load_dword v1, v[2:3], off
	s_add_i32 s0, s0, -1
	s_cmp_lg_u32 s0, 0
	s_waitcnt vmcnt(0)
	v_mul_f32_e32 v1, v0, v1
	global_store_dword v[2:3], v1, off
	v_add_co_u32_e32 v2, vcc, 4, v2
	v_addc_co_u32_e32 v3, vcc, 0, v3, vcc
	s_cbranch_scc1 .LBB255_18
.LBB255_19:
	s_endpgm
	.section	.rodata,"a",@progbits
	.p2align	6, 0x0
	.amdhsa_kernel _ZN4vllm3moe17topkGatingSoftmaxItLi16ELi16ELi8ELi32ELb0ELi4ELNS0_23SharedExpertScoringFuncE1EEEvPKT_PKbPfiPiS9_iiiiii
		.amdhsa_group_segment_fixed_size 0
		.amdhsa_private_segment_fixed_size 0
		.amdhsa_kernarg_size 72
		.amdhsa_user_sgpr_count 6
		.amdhsa_user_sgpr_private_segment_buffer 1
		.amdhsa_user_sgpr_dispatch_ptr 0
		.amdhsa_user_sgpr_queue_ptr 0
		.amdhsa_user_sgpr_kernarg_segment_ptr 1
		.amdhsa_user_sgpr_dispatch_id 0
		.amdhsa_user_sgpr_flat_scratch_init 0
		.amdhsa_user_sgpr_kernarg_preload_length 0
		.amdhsa_user_sgpr_kernarg_preload_offset 0
		.amdhsa_user_sgpr_private_segment_size 0
		.amdhsa_uses_dynamic_stack 0
		.amdhsa_system_sgpr_private_segment_wavefront_offset 0
		.amdhsa_system_sgpr_workgroup_id_x 1
		.amdhsa_system_sgpr_workgroup_id_y 0
		.amdhsa_system_sgpr_workgroup_id_z 0
		.amdhsa_system_sgpr_workgroup_info 0
		.amdhsa_system_vgpr_workitem_id 1
		.amdhsa_next_free_vgpr 34
		.amdhsa_next_free_sgpr 53
		.amdhsa_accum_offset 36
		.amdhsa_reserve_vcc 1
		.amdhsa_reserve_flat_scratch 0
		.amdhsa_float_round_mode_32 0
		.amdhsa_float_round_mode_16_64 0
		.amdhsa_float_denorm_mode_32 3
		.amdhsa_float_denorm_mode_16_64 3
		.amdhsa_dx10_clamp 1
		.amdhsa_ieee_mode 1
		.amdhsa_fp16_overflow 0
		.amdhsa_tg_split 0
		.amdhsa_exception_fp_ieee_invalid_op 0
		.amdhsa_exception_fp_denorm_src 0
		.amdhsa_exception_fp_ieee_div_zero 0
		.amdhsa_exception_fp_ieee_overflow 0
		.amdhsa_exception_fp_ieee_underflow 0
		.amdhsa_exception_fp_ieee_inexact 0
		.amdhsa_exception_int_div_zero 0
	.end_amdhsa_kernel
	.section	.text._ZN4vllm3moe17topkGatingSoftmaxItLi16ELi16ELi8ELi32ELb0ELi4ELNS0_23SharedExpertScoringFuncE1EEEvPKT_PKbPfiPiS9_iiiiii,"axG",@progbits,_ZN4vllm3moe17topkGatingSoftmaxItLi16ELi16ELi8ELi32ELb0ELi4ELNS0_23SharedExpertScoringFuncE1EEEvPKT_PKbPfiPiS9_iiiiii,comdat
.Lfunc_end255:
	.size	_ZN4vllm3moe17topkGatingSoftmaxItLi16ELi16ELi8ELi32ELb0ELi4ELNS0_23SharedExpertScoringFuncE1EEEvPKT_PKbPfiPiS9_iiiiii, .Lfunc_end255-_ZN4vllm3moe17topkGatingSoftmaxItLi16ELi16ELi8ELi32ELb0ELi4ELNS0_23SharedExpertScoringFuncE1EEEvPKT_PKbPfiPiS9_iiiiii
                                        ; -- End function
	.section	.AMDGPU.csdata,"",@progbits
; Kernel info:
; codeLenInByte = 4424
; NumSgprs: 57
; NumVgprs: 34
; NumAgprs: 0
; TotalNumVgprs: 34
; ScratchSize: 0
; MemoryBound: 0
; FloatMode: 240
; IeeeMode: 1
; LDSByteSize: 0 bytes/workgroup (compile time only)
; SGPRBlocks: 7
; VGPRBlocks: 4
; NumSGPRsForWavesPerEU: 57
; NumVGPRsForWavesPerEU: 34
; AccumOffset: 36
; Occupancy: 8
; WaveLimiterHint : 0
; COMPUTE_PGM_RSRC2:SCRATCH_EN: 0
; COMPUTE_PGM_RSRC2:USER_SGPR: 6
; COMPUTE_PGM_RSRC2:TRAP_HANDLER: 0
; COMPUTE_PGM_RSRC2:TGID_X_EN: 1
; COMPUTE_PGM_RSRC2:TGID_Y_EN: 0
; COMPUTE_PGM_RSRC2:TGID_Z_EN: 0
; COMPUTE_PGM_RSRC2:TIDIG_COMP_CNT: 1
; COMPUTE_PGM_RSRC3_GFX90A:ACCUM_OFFSET: 8
; COMPUTE_PGM_RSRC3_GFX90A:TG_SPLIT: 0
	.section	.text._ZN4vllm3moe17topkGatingSoftmaxItLi16ELi16ELi8ELi32ELb1ELi8ELNS0_23SharedExpertScoringFuncE1EEEvPKT_PKbPfiPiS9_iiiiii,"axG",@progbits,_ZN4vllm3moe17topkGatingSoftmaxItLi16ELi16ELi8ELi32ELb1ELi8ELNS0_23SharedExpertScoringFuncE1EEEvPKT_PKbPfiPiS9_iiiiii,comdat
	.protected	_ZN4vllm3moe17topkGatingSoftmaxItLi16ELi16ELi8ELi32ELb1ELi8ELNS0_23SharedExpertScoringFuncE1EEEvPKT_PKbPfiPiS9_iiiiii ; -- Begin function _ZN4vllm3moe17topkGatingSoftmaxItLi16ELi16ELi8ELi32ELb1ELi8ELNS0_23SharedExpertScoringFuncE1EEEvPKT_PKbPfiPiS9_iiiiii
	.globl	_ZN4vllm3moe17topkGatingSoftmaxItLi16ELi16ELi8ELi32ELb1ELi8ELNS0_23SharedExpertScoringFuncE1EEEvPKT_PKbPfiPiS9_iiiiii
	.p2align	8
	.type	_ZN4vllm3moe17topkGatingSoftmaxItLi16ELi16ELi8ELi32ELb1ELi8ELNS0_23SharedExpertScoringFuncE1EEEvPKT_PKbPfiPiS9_iiiiii,@function
_ZN4vllm3moe17topkGatingSoftmaxItLi16ELi16ELi8ELi32ELb1ELi8ELNS0_23SharedExpertScoringFuncE1EEEvPKT_PKbPfiPiS9_iiiiii: ; @_ZN4vllm3moe17topkGatingSoftmaxItLi16ELi16ELi8ELi32ELb1ELi8ELNS0_23SharedExpertScoringFuncE1EEEvPKT_PKbPfiPiS9_iiiiii
; %bb.0:
	s_load_dword s33, s[4:5], 0x18
	v_bfe_u32 v1, v0, 10, 10
	s_lshl_b32 s34, s6, 9
	v_lshlrev_b32_e32 v25, 6, v1
	v_and_b32_e32 v26, 0x3ff, v0
	v_add3_u32 v14, v25, v26, s34
	s_waitcnt lgkmcnt(0)
	v_cmp_gt_i32_e32 vcc, s33, v14
	s_and_saveexec_b64 s[0:1], vcc
	s_cbranch_execz .LBB256_19
; %bb.1:
	s_load_dwordx4 s[0:3], s[4:5], 0x0
	s_load_dwordx2 s[40:41], s[4:5], 0x10
	s_waitcnt lgkmcnt(0)
	s_cmp_eq_u64 s[2:3], 0
	s_cbranch_scc1 .LBB256_3
; %bb.2:
	v_ashrrev_i32_e32 v1, 31, v14
	v_mov_b32_e32 v2, s3
	v_add_co_u32_e32 v0, vcc, s2, v14
	v_addc_co_u32_e32 v1, vcc, v2, v1, vcc
	global_load_ubyte v0, v[0:1], off
	s_waitcnt vmcnt(0)
	v_and_b32_e32 v0, 1, v0
	v_cmp_eq_u32_e32 vcc, 1, v0
	s_xor_b64 s[2:3], vcc, -1
	s_orn2_b64 s[42:43], s[2:3], exec
	s_branch .LBB256_4
.LBB256_3:
	s_mov_b64 s[42:43], -1
.LBB256_4:
	s_load_dwordx2 s[2:3], s[4:5], 0x40
	s_load_dwordx4 s[36:39], s[4:5], 0x30
	v_mov_b32_e32 v2, s1
	v_mov_b32_e32 v17, s41
	s_mov_b32 s6, 0xbfb8aa3b
	s_waitcnt lgkmcnt(0)
	v_mul_lo_u32 v0, v14, s3
	v_ashrrev_i32_e32 v1, 31, v0
	v_lshlrev_b64 v[0:1], 1, v[0:1]
	v_add_co_u32_e32 v12, vcc, s0, v0
	v_addc_co_u32_e32 v13, vcc, v2, v1, vcc
	global_load_dwordx4 v[8:11], v[12:13], off offset:32
	v_mul_lo_u32 v16, v14, s39
	v_add_u32_e32 v0, s36, v16
	v_ashrrev_i32_e32 v1, 31, v0
	v_lshlrev_b64 v[18:19], 2, v[0:1]
	global_load_dwordx4 v[0:3], v[12:13], off offset:16
	global_load_dwordx4 v[4:7], v[12:13], off
	v_add_co_u32_e32 v12, vcc, s40, v18
	v_addc_co_u32_e32 v13, vcc, v17, v19, vcc
	s_mov_b32 s3, 0x42ce8ed0
	s_mov_b32 s7, 0xc2b17218
	v_mov_b32_e32 v15, 0x7f800000
	s_cmp_gt_i32 s36, 0
	v_mov_b32_e32 v24, 0
	s_cselect_b64 s[44:45], -1, 0
	s_cmp_lt_i32 s36, 1
	s_waitcnt vmcnt(2)
	v_cvt_f32_u32_sdwa v17, v8 dst_sel:DWORD dst_unused:UNUSED_PAD src0_sel:WORD_1
	v_cvt_f32_u32_sdwa v8, v8 dst_sel:DWORD dst_unused:UNUSED_PAD src0_sel:WORD_0
	v_cvt_f32_u32_sdwa v18, v9 dst_sel:DWORD dst_unused:UNUSED_PAD src0_sel:WORD_1
	v_cvt_f32_u32_sdwa v20, v9 dst_sel:DWORD dst_unused:UNUSED_PAD src0_sel:WORD_0
	v_mul_f32_e32 v9, 0xbfb8aa3b, v17
	v_mul_f32_e32 v19, 0xbfb8aa3b, v8
	v_fma_f32 v23, v17, s6, -v9
	v_rndne_f32_e32 v27, v9
	v_mul_f32_e32 v21, 0xbfb8aa3b, v18
	v_fma_f32 v28, v8, s6, -v19
	v_rndne_f32_e32 v29, v19
	v_fmac_f32_e32 v23, 0xb2a5705f, v17
	v_sub_f32_e32 v9, v9, v27
	v_mul_f32_e32 v22, 0xbfb8aa3b, v20
	v_fma_f32 v30, v18, s6, -v21
	v_rndne_f32_e32 v31, v21
	v_fmac_f32_e32 v28, 0xb2a5705f, v8
	v_sub_f32_e32 v19, v19, v29
	v_add_f32_e32 v9, v9, v23
	v_fma_f32 v32, v20, s6, -v22
	v_rndne_f32_e32 v33, v22
	v_cvt_i32_f32_e32 v27, v27
	v_fmac_f32_e32 v30, 0xb2a5705f, v18
	v_sub_f32_e32 v21, v21, v31
	v_add_f32_e32 v19, v19, v28
	v_exp_f32_e32 v9, v9
	v_cvt_i32_f32_e32 v29, v29
	v_fmac_f32_e32 v32, 0xb2a5705f, v20
	v_sub_f32_e32 v22, v22, v33
	v_add_f32_e32 v21, v21, v30
	v_exp_f32_e32 v19, v19
	v_cvt_i32_f32_e32 v31, v31
	v_add_f32_e32 v22, v22, v32
	v_exp_f32_e32 v21, v21
	v_cvt_i32_f32_e32 v33, v33
	v_exp_f32_e32 v22, v22
	v_ldexp_f32 v9, v9, v27
	v_cmp_nlt_f32_e32 vcc, s3, v17
	v_ldexp_f32 v19, v19, v29
	v_cndmask_b32_e32 v9, 0, v9, vcc
	v_cmp_nlt_f32_e32 vcc, s3, v8
	v_ldexp_f32 v21, v21, v31
	v_cndmask_b32_e32 v19, 0, v19, vcc
	;; [unrolled: 3-line block ×3, first 2 shown]
	v_cmp_nlt_f32_e32 vcc, s3, v20
	v_cndmask_b32_e32 v22, 0, v22, vcc
	v_cmp_ngt_f32_e32 vcc, s7, v17
	v_cndmask_b32_e32 v9, v15, v9, vcc
	v_cmp_ngt_f32_e32 vcc, s7, v8
	;; [unrolled: 2-line block ×4, first 2 shown]
	v_pk_add_f32 v[8:9], v[8:9], 1.0 op_sel_hi:[1,0]
	v_cndmask_b32_e32 v18, v15, v22, vcc
	v_div_scale_f32 v17, s[0:1], v9, v9, 1.0
	v_pk_add_f32 v[20:21], v[18:19], 1.0 op_sel_hi:[1,0]
	v_div_scale_f32 v19, s[0:1], v8, v8, 1.0
	v_rcp_f32_e32 v23, v17
	v_div_scale_f32 v22, s[0:1], v21, v21, 1.0
	v_rcp_f32_e32 v27, v19
	v_rcp_f32_e32 v28, v22
	v_fma_f32 v30, -v17, v23, 1.0
	v_div_scale_f32 v18, vcc, 1.0, v9, 1.0
	v_fma_f32 v31, -v19, v27, 1.0
	v_fmac_f32_e32 v23, v30, v23
	v_div_scale_f32 v29, s[0:1], 1.0, v8, 1.0
	v_fma_f32 v32, -v22, v28, 1.0
	v_fmac_f32_e32 v27, v31, v27
	v_mul_f32_e32 v30, v18, v23
	v_fmac_f32_e32 v28, v32, v28
	v_mul_f32_e32 v31, v29, v27
	v_fma_f32 v32, -v17, v30, v18
	v_fma_f32 v33, -v19, v31, v29
	v_fmac_f32_e32 v30, v32, v23
	v_fmac_f32_e32 v31, v33, v27
	v_fma_f32 v17, -v17, v30, v18
	v_fma_f32 v18, -v19, v31, v29
	v_div_fmas_f32 v17, v17, v23, v30
	s_mov_b64 vcc, s[0:1]
	v_div_fixup_f32 v19, v17, v9, 1.0
	v_div_fmas_f32 v9, v18, v27, v31
	v_div_fixup_f32 v18, v9, v8, 1.0
	v_div_scale_f32 v8, vcc, 1.0, v21, 1.0
	v_mul_f32_e32 v9, v8, v28
	v_fma_f32 v17, -v22, v9, v8
	v_fmac_f32_e32 v9, v17, v28
	v_div_scale_f32 v17, s[0:1], v20, v20, 1.0
	v_fma_f32 v8, -v22, v9, v8
	v_rcp_f32_e32 v22, v17
	v_div_fmas_f32 v8, v8, v28, v9
	v_div_fixup_f32 v21, v8, v21, 1.0
	v_div_scale_f32 v9, vcc, 1.0, v20, 1.0
	v_fma_f32 v8, -v17, v22, 1.0
	v_fmac_f32_e32 v22, v8, v22
	v_cvt_f32_u32_sdwa v8, v10 dst_sel:DWORD dst_unused:UNUSED_PAD src0_sel:WORD_1
	v_cvt_f32_u32_sdwa v10, v10 dst_sel:DWORD dst_unused:UNUSED_PAD src0_sel:WORD_0
	v_mul_f32_e32 v23, v9, v22
	v_fma_f32 v27, -v17, v23, v9
	v_mul_f32_e32 v28, 0xbfb8aa3b, v8
	v_fma_f32 v29, v8, s6, -v28
	v_rndne_f32_e32 v30, v28
	v_fmac_f32_e32 v29, 0xb2a5705f, v8
	v_sub_f32_e32 v28, v28, v30
	v_add_f32_e32 v28, v28, v29
	v_exp_f32_e32 v28, v28
	v_cvt_i32_f32_e32 v29, v30
	v_fmac_f32_e32 v23, v27, v22
	v_mul_f32_e32 v27, 0xbfb8aa3b, v10
	v_fma_f32 v17, -v17, v23, v9
	v_ldexp_f32 v9, v28, v29
	v_fma_f32 v28, v10, s6, -v27
	v_rndne_f32_e32 v29, v27
	v_fmac_f32_e32 v28, 0xb2a5705f, v10
	v_sub_f32_e32 v27, v27, v29
	v_add_f32_e32 v27, v27, v28
	v_exp_f32_e32 v27, v27
	v_cvt_i32_f32_e32 v28, v29
	v_cmp_nlt_f32_e64 s[0:1], s3, v8
	v_cndmask_b32_e64 v9, 0, v9, s[0:1]
	v_cmp_ngt_f32_e64 s[0:1], s7, v8
	v_cndmask_b32_e64 v9, v15, v9, s[0:1]
	v_ldexp_f32 v8, v27, v28
	v_cmp_nlt_f32_e64 s[0:1], s3, v10
	v_cndmask_b32_e64 v8, 0, v8, s[0:1]
	v_cmp_ngt_f32_e64 s[0:1], s7, v10
	v_cndmask_b32_e64 v8, v15, v8, s[0:1]
	v_pk_add_f32 v[8:9], v[8:9], 1.0 op_sel_hi:[1,0]
	v_div_scale_f32 v10, s[0:1], v9, v9, 1.0
	v_rcp_f32_e32 v27, v10
	v_div_fmas_f32 v17, v17, v22, v23
	v_div_fixup_f32 v20, v17, v20, 1.0
	global_store_dwordx4 v[12:13], v[18:21], off
	v_fma_f32 v17, -v10, v27, 1.0
	v_fmac_f32_e32 v27, v17, v27
	v_div_scale_f32 v17, vcc, 1.0, v9, 1.0
	v_mul_f32_e32 v18, v17, v27
	v_fma_f32 v19, -v10, v18, v17
	v_fmac_f32_e32 v18, v19, v27
	v_fma_f32 v10, -v10, v18, v17
	v_div_scale_f32 v17, s[0:1], v8, v8, 1.0
	v_rcp_f32_e32 v19, v17
	v_div_fmas_f32 v10, v10, v27, v18
	v_div_fixup_f32 v9, v10, v9, 1.0
	v_div_scale_f32 v18, vcc, 1.0, v8, 1.0
	v_fma_f32 v10, -v17, v19, 1.0
	v_fmac_f32_e32 v19, v10, v19
	v_cvt_f32_u32_sdwa v10, v11 dst_sel:DWORD dst_unused:UNUSED_PAD src0_sel:WORD_1
	v_mul_f32_e32 v20, v18, v19
	v_fma_f32 v21, -v17, v20, v18
	v_fmac_f32_e32 v20, v21, v19
	v_mul_f32_e32 v22, 0xbfb8aa3b, v10
	v_fma_f32 v23, v10, s6, -v22
	v_rndne_f32_e32 v27, v22
	v_fmac_f32_e32 v23, 0xb2a5705f, v10
	v_sub_f32_e32 v22, v22, v27
	v_add_f32_e32 v22, v22, v23
	v_cvt_i32_f32_e32 v23, v27
	v_cvt_f32_u32_sdwa v27, v11 dst_sel:DWORD dst_unused:UNUSED_PAD src0_sel:WORD_0
	v_exp_f32_e32 v22, v22
	v_fma_f32 v17, -v17, v20, v18
	v_cmp_nlt_f32_e64 s[0:1], s3, v10
	v_mul_f32_e32 v18, 0xbfb8aa3b, v27
	v_ldexp_f32 v11, v22, v23
	v_fma_f32 v21, v27, s6, -v18
	v_rndne_f32_e32 v22, v18
	v_fmac_f32_e32 v21, 0xb2a5705f, v27
	v_sub_f32_e32 v18, v18, v22
	v_add_f32_e32 v18, v18, v21
	v_exp_f32_e32 v18, v18
	v_cvt_i32_f32_e32 v21, v22
	v_cndmask_b32_e64 v11, 0, v11, s[0:1]
	v_cmp_ngt_f32_e64 s[0:1], s7, v10
	v_cndmask_b32_e64 v11, v15, v11, s[0:1]
	v_ldexp_f32 v10, v18, v21
	v_cmp_nlt_f32_e64 s[0:1], s3, v27
	v_cndmask_b32_e64 v10, 0, v10, s[0:1]
	v_cmp_ngt_f32_e64 s[0:1], s7, v27
	v_cndmask_b32_e64 v10, v15, v10, s[0:1]
	v_pk_add_f32 v[10:11], v[10:11], 1.0 op_sel_hi:[1,0]
	v_div_scale_f32 v18, s[0:1], v11, v11, 1.0
	v_rcp_f32_e32 v21, v18
	v_div_fmas_f32 v17, v17, v19, v20
	v_div_fixup_f32 v8, v17, v8, 1.0
	v_fma_f32 v17, -v18, v21, 1.0
	v_fmac_f32_e32 v21, v17, v21
	v_div_scale_f32 v17, vcc, 1.0, v11, 1.0
	v_mul_f32_e32 v19, v17, v21
	v_fma_f32 v20, -v18, v19, v17
	v_fmac_f32_e32 v19, v20, v21
	v_fma_f32 v17, -v18, v19, v17
	v_div_scale_f32 v18, s[0:1], v10, v10, 1.0
	v_rcp_f32_e32 v20, v18
	v_div_fmas_f32 v17, v17, v21, v19
	v_div_fixup_f32 v11, v17, v11, 1.0
	v_fma_f32 v17, -v18, v20, 1.0
	v_fmac_f32_e32 v20, v17, v20
	v_div_scale_f32 v17, vcc, 1.0, v10, 1.0
	v_mul_f32_e32 v19, v17, v20
	v_fma_f32 v21, -v18, v19, v17
	v_fmac_f32_e32 v19, v21, v20
	v_fma_f32 v17, -v18, v19, v17
	v_div_fmas_f32 v17, v17, v20, v19
	v_div_fixup_f32 v10, v17, v10, 1.0
	global_store_dwordx4 v[12:13], v[8:11], off offset:16
	s_cbranch_scc1 .LBB256_8
; %bb.5:
	s_waitcnt vmcnt(2)
	v_cvt_f32_u32_sdwa v28, v4 dst_sel:DWORD dst_unused:UNUSED_PAD src0_sel:WORD_1
	v_cvt_f32_u32_sdwa v29, v4 dst_sel:DWORD dst_unused:UNUSED_PAD src0_sel:WORD_0
	v_cvt_f32_u32_sdwa v31, v5 dst_sel:DWORD dst_unused:UNUSED_PAD src0_sel:WORD_0
	v_cvt_f32_u32_sdwa v30, v5 dst_sel:DWORD dst_unused:UNUSED_PAD src0_sel:WORD_1
	v_cvt_f32_u32_sdwa v9, v1 dst_sel:DWORD dst_unused:UNUSED_PAD src0_sel:WORD_1
	v_cmp_lt_f32_e32 vcc, v29, v28
	v_cvt_f32_u32_sdwa v10, v1 dst_sel:DWORD dst_unused:UNUSED_PAD src0_sel:WORD_0
	v_cndmask_b32_e32 v1, v29, v28, vcc
	v_cvt_f32_u32_sdwa v33, v6 dst_sel:DWORD dst_unused:UNUSED_PAD src0_sel:WORD_0
	v_cvt_f32_u32_sdwa v8, v0 dst_sel:DWORD dst_unused:UNUSED_PAD src0_sel:WORD_1
	v_cvt_f32_u32_sdwa v36, v0 dst_sel:DWORD dst_unused:UNUSED_PAD src0_sel:WORD_0
	v_cndmask_b32_e64 v0, 0, 1, vcc
	v_cmp_lt_f32_e32 vcc, v1, v31
	v_cndmask_b32_e32 v1, v1, v31, vcc
	v_cvt_f32_u32_sdwa v32, v6 dst_sel:DWORD dst_unused:UNUSED_PAD src0_sel:WORD_1
	v_cndmask_b32_e64 v0, v0, 2, vcc
	v_cmp_lt_f32_e32 vcc, v1, v30
	v_cndmask_b32_e32 v1, v1, v30, vcc
	v_cvt_f32_u32_sdwa v35, v7 dst_sel:DWORD dst_unused:UNUSED_PAD src0_sel:WORD_0
	v_cndmask_b32_e64 v0, v0, 3, vcc
	v_cmp_lt_f32_e32 vcc, v1, v33
	v_cndmask_b32_e32 v1, v1, v33, vcc
	v_cvt_f32_u32_sdwa v34, v7 dst_sel:DWORD dst_unused:UNUSED_PAD src0_sel:WORD_1
	v_cndmask_b32_e64 v0, v0, 4, vcc
	v_cmp_lt_f32_e32 vcc, v1, v32
	v_cndmask_b32_e32 v1, v1, v32, vcc
	v_cndmask_b32_e64 v0, v0, 5, vcc
	v_cmp_lt_f32_e32 vcc, v1, v35
	v_cndmask_b32_e32 v1, v1, v35, vcc
	;; [unrolled: 3-line block ×5, first 2 shown]
	v_cvt_f32_u32_sdwa v12, v2 dst_sel:DWORD dst_unused:UNUSED_PAD src0_sel:WORD_0
	v_cndmask_b32_e64 v0, v0, 9, vcc
	v_cmp_lt_f32_e32 vcc, v1, v10
	v_cndmask_b32_e32 v1, v1, v10, vcc
	v_cvt_f32_u32_sdwa v11, v2 dst_sel:DWORD dst_unused:UNUSED_PAD src0_sel:WORD_1
	v_cndmask_b32_e64 v0, v0, 10, vcc
	v_cmp_lt_f32_e32 vcc, v1, v9
	v_cndmask_b32_e32 v1, v1, v9, vcc
	v_cvt_f32_u32_sdwa v18, v3 dst_sel:DWORD dst_unused:UNUSED_PAD src0_sel:WORD_0
	v_cndmask_b32_e64 v0, v0, 11, vcc
	v_cmp_lt_f32_e32 vcc, v1, v12
	v_cndmask_b32_e32 v1, v1, v12, vcc
	v_cvt_f32_u32_sdwa v19, v3 dst_sel:DWORD dst_unused:UNUSED_PAD src0_sel:WORD_1
	v_cndmask_b32_e64 v0, v0, 12, vcc
	v_cmp_lt_f32_e32 vcc, v1, v11
	v_cndmask_b32_e32 v1, v1, v11, vcc
	v_cndmask_b32_e64 v0, v0, 13, vcc
	v_cmp_lt_f32_e32 vcc, v1, v18
	v_cndmask_b32_e32 v1, v1, v18, vcc
	;; [unrolled: 3-line block ×3, first 2 shown]
	v_cndmask_b32_e64 v13, v0, 15, vcc
	v_sub_f32_e32 v0, v27, v27
	s_mov_b32 s39, 0x3fb8aa3b
	v_mul_f32_e32 v1, 0x3fb8aa3b, v0
	v_fma_f32 v2, v0, s39, -v1
	v_rndne_f32_e32 v3, v1
	v_fmac_f32_e32 v2, 0x32a5705f, v0
	v_sub_f32_e32 v1, v1, v3
	v_add_f32_e32 v1, v1, v2
	v_exp_f32_e32 v1, v1
	v_cvt_i32_f32_e32 v2, v3
	v_cmp_le_i32_e32 vcc, s37, v13
	v_cmp_gt_i32_e64 s[0:1], s38, v13
	s_mov_b32 s46, 0xc2ce8ed0
	v_mul_lo_u32 v4, v14, s2
	s_and_b64 s[2:3], vcc, s[0:1]
	v_ldexp_f32 v1, v1, v2
	v_cmp_ngt_f32_e32 vcc, s46, v0
	s_mov_b32 s47, 0x42b17218
	s_load_dwordx4 s[28:31], s[4:5], 0x20
	v_cndmask_b32_e32 v1, 0, v1, vcc
	v_cmp_nlt_f32_e32 vcc, s47, v0
	v_ashrrev_i32_e32 v17, 31, v16
	v_cndmask_b32_e32 v24, v15, v1, vcc
	v_lshlrev_b64 v[0:1], 2, v[16:17]
	v_mov_b32_e32 v3, s41
	v_add_co_u32_e32 v2, vcc, s40, v0
	v_addc_co_u32_e64 v3, s[0:1], v3, v1, vcc
	v_ashrrev_i32_e32 v5, 31, v4
	v_mul_lo_u32 v6, v14, s36
	v_subrev_u32_e32 v0, s37, v13
	s_and_b64 s[0:1], s[42:43], s[2:3]
	v_lshlrev_b64 v[4:5], 2, v[4:5]
	global_store_dword v[2:3], v24, off
	v_cndmask_b32_e64 v0, 16, v0, s[0:1]
	s_waitcnt lgkmcnt(0)
	v_mov_b32_e32 v3, s29
	v_add_co_u32_e64 v20, s[0:1], s28, v4
	v_ashrrev_i32_e32 v7, 31, v6
	v_addc_co_u32_e64 v21, s[0:1], v3, v5, s[0:1]
	v_lshlrev_b64 v[6:7], 2, v[6:7]
	global_store_dword v[20:21], v0, off
	v_mov_b32_e32 v0, s31
	v_add_co_u32_e64 v20, s[0:1], s30, v6
	v_addc_co_u32_e64 v21, s[0:1], v0, v7, s[0:1]
	s_cmp_eq_u32 s36, 1
	global_store_dword v[20:21], v14, off
	s_cbranch_scc1 .LBB256_8
; %bb.6:
	v_mov_b32_e32 v17, 0xff800000
	v_cmp_ne_u32_e64 s[0:1], 15, v13
	v_mov_b32_e32 v0, s31
	v_add_co_u32_e64 v3, s[26:27], s30, v6
	v_cndmask_b32_e64 v15, v17, v19, s[0:1]
	v_cmp_ne_u32_e64 s[0:1], 14, v13
	v_addc_co_u32_e64 v0, s[26:27], v7, v0, s[26:27]
	v_cndmask_b32_e64 v14, v17, v18, s[0:1]
	v_add_co_u32_e64 v18, s[26:27], 4, v3
	v_addc_co_u32_e64 v19, s[26:27], 0, v0, s[26:27]
	v_mov_b32_e32 v0, s29
	v_add_co_u32_e64 v3, s[26:27], s28, v4
	v_addc_co_u32_e64 v0, s[26:27], v5, v0, s[26:27]
	v_add_co_u32_e64 v20, s[26:27], 4, v3
	v_addc_co_u32_e64 v21, s[26:27], 0, v0, s[26:27]
	v_mov_b32_e32 v0, s41
	v_addc_co_u32_e32 v0, vcc, v1, v0, vcc
	v_add_co_u32_e32 v22, vcc, 4, v2
	v_addc_co_u32_e32 v23, vcc, 0, v0, vcc
	v_cmp_ne_u32_e64 s[0:1], 12, v13
	v_cmp_ne_u32_e64 s[2:3], 11, v13
	;; [unrolled: 1-line block ×13, first 2 shown]
	s_add_i32 s34, s34, s33
	v_cmp_ne_u32_e32 vcc, 13, v13
	s_add_i32 s48, s36, -1
	v_add3_u32 v25, s34, v26, v25
	v_mov_b32_e32 v26, 0x7f800000
	v_cndmask_b32_e32 v13, v17, v11, vcc
	v_cndmask_b32_e64 v12, v17, v12, s[0:1]
	v_cndmask_b32_e64 v11, v17, v9, s[2:3]
	;; [unrolled: 1-line block ×13, first 2 shown]
.LBB256_7:                              ; =>This Inner Loop Header: Depth=1
	v_cmp_gt_f32_e32 vcc, v1, v0
	v_cndmask_b32_e32 v28, v0, v1, vcc
	v_cmp_gt_f32_e64 s[0:1], v2, v28
	v_cndmask_b32_e64 v28, v28, v2, s[0:1]
	v_cmp_gt_f32_e64 s[2:3], v3, v28
	v_cndmask_b32_e64 v28, v28, v3, s[2:3]
	;; [unrolled: 2-line block ×14, first 2 shown]
	v_sub_f32_e32 v28, v28, v27
	v_mul_f32_e32 v29, 0x3fb8aa3b, v28
	v_fma_f32 v30, v28, s39, -v29
	v_rndne_f32_e32 v31, v29
	v_fmac_f32_e32 v30, 0x32a5705f, v28
	v_sub_f32_e32 v29, v29, v31
	v_add_f32_e32 v29, v29, v30
	v_cndmask_b32_e64 v30, 0, 1, vcc
	v_cndmask_b32_e64 v30, v30, 2, s[0:1]
	v_cndmask_b32_e64 v30, v30, 3, s[2:3]
	;; [unrolled: 1-line block ×14, first 2 shown]
	v_cmp_le_i32_e32 vcc, s37, v30
	v_cmp_gt_i32_e64 s[0:1], s38, v30
	s_and_b64 s[0:1], vcc, s[0:1]
	v_cmp_ne_u32_e64 s[2:3], 15, v30
	v_cmp_ne_u32_e64 s[4:5], 14, v30
	;; [unrolled: 1-line block ×16, first 2 shown]
	v_subrev_u32_e32 v30, s37, v30
	s_and_b64 vcc, s[42:43], s[0:1]
	v_cndmask_b32_e32 v30, 16, v30, vcc
	global_store_dword v[20:21], v30, off
	v_cvt_i32_f32_e32 v30, v31
	v_exp_f32_e32 v29, v29
	v_cmp_ngt_f32_e32 vcc, s46, v28
	global_store_dword v[18:19], v25, off
	s_add_i32 s48, s48, -1
	v_ldexp_f32 v29, v29, v30
	v_cndmask_b32_e32 v29, 0, v29, vcc
	v_cmp_nlt_f32_e32 vcc, s47, v28
	v_cndmask_b32_e32 v28, v26, v29, vcc
	v_add_co_u32_e32 v18, vcc, 4, v18
	v_addc_co_u32_e32 v19, vcc, 0, v19, vcc
	v_add_co_u32_e32 v20, vcc, 4, v20
	v_addc_co_u32_e32 v21, vcc, 0, v21, vcc
	global_store_dword v[22:23], v28, off
	v_add_co_u32_e32 v22, vcc, 4, v22
	v_add_f32_e32 v24, v24, v28
	v_cndmask_b32_e64 v15, v17, v15, s[2:3]
	v_cndmask_b32_e64 v14, v17, v14, s[4:5]
	;; [unrolled: 1-line block ×16, first 2 shown]
	v_add_u32_e32 v25, s33, v25
	s_cmp_eq_u32 s48, 0
	v_addc_co_u32_e32 v23, vcc, 0, v23, vcc
	s_cbranch_scc0 .LBB256_7
.LBB256_8:
	v_cmp_neq_f32_e32 vcc, 0, v24
	s_and_b64 exec, exec, vcc
	s_cbranch_execz .LBB256_19
; %bb.9:
	s_andn2_b64 vcc, exec, s[44:45]
	s_cbranch_vccnz .LBB256_19
; %bb.10:
	s_waitcnt vmcnt(3)
	v_div_scale_f32 v0, s[0:1], v24, v24, 1.0
	v_rcp_f32_e32 v1, v0
	v_div_scale_f32 v2, vcc, 1.0, v24, 1.0
	s_cmp_gt_u32 s36, 3
	v_fma_f32 v3, -v0, v1, 1.0
	v_fmac_f32_e32 v1, v3, v1
	v_mul_f32_e32 v3, v2, v1
	s_waitcnt vmcnt(2)
	v_fma_f32 v4, -v0, v3, v2
	v_fmac_f32_e32 v3, v4, v1
	v_fma_f32 v0, -v0, v3, v2
	v_div_fmas_f32 v0, v0, v1, v3
	v_div_fixup_f32 v0, v0, v24, 1.0
	v_ashrrev_i32_e32 v17, 31, v16
	s_cbranch_scc0 .LBB256_14
; %bb.11:
	v_lshlrev_b64 v[2:3], 2, v[16:17]
	v_mov_b32_e32 v4, s41
	v_add_co_u32_e32 v2, vcc, s40, v2
	v_addc_co_u32_e32 v3, vcc, v3, v4, vcc
	s_and_b32 s4, s36, 0x7ffffffc
	v_add_co_u32_e32 v2, vcc, 8, v2
	v_mov_b32_e32 v1, v0
	v_addc_co_u32_e32 v3, vcc, 0, v3, vcc
	s_mov_b32 s0, s4
.LBB256_12:                             ; =>This Inner Loop Header: Depth=1
	global_load_dwordx4 v[4:7], v[2:3], off offset:-8
	s_add_i32 s0, s0, -4
	s_cmp_lg_u32 s0, 0
	s_waitcnt vmcnt(0)
	v_pk_mul_f32 v[4:5], v[0:1], v[4:5]
	v_pk_mul_f32 v[6:7], v[0:1], v[6:7]
	global_store_dwordx4 v[2:3], v[4:7], off offset:-8
	v_add_co_u32_e32 v2, vcc, 16, v2
	v_addc_co_u32_e32 v3, vcc, 0, v3, vcc
	s_cbranch_scc1 .LBB256_12
; %bb.13:
	s_cmp_lg_u32 s4, s36
	s_cselect_b64 s[0:1], -1, 0
	s_branch .LBB256_16
.LBB256_14:
	s_mov_b64 s[0:1], 0
                                        ; implicit-def: $sgpr4
	s_cbranch_execz .LBB256_16
; %bb.15:
	s_mov_b64 s[0:1], -1
	s_mov_b32 s4, 0
.LBB256_16:
	s_andn2_b64 vcc, exec, s[0:1]
	s_cbranch_vccnz .LBB256_19
; %bb.17:
	v_add_co_u32_e32 v2, vcc, s4, v16
	v_addc_co_u32_e32 v3, vcc, 0, v17, vcc
	v_lshlrev_b64 v[2:3], 2, v[2:3]
	v_mov_b32_e32 v1, s41
	v_add_co_u32_e32 v2, vcc, s40, v2
	s_sub_i32 s0, s36, s4
	v_addc_co_u32_e32 v3, vcc, v1, v3, vcc
.LBB256_18:                             ; =>This Inner Loop Header: Depth=1
	global_load_dword v1, v[2:3], off
	s_add_i32 s0, s0, -1
	s_cmp_lg_u32 s0, 0
	s_waitcnt vmcnt(0)
	v_mul_f32_e32 v1, v0, v1
	global_store_dword v[2:3], v1, off
	v_add_co_u32_e32 v2, vcc, 4, v2
	v_addc_co_u32_e32 v3, vcc, 0, v3, vcc
	s_cbranch_scc1 .LBB256_18
.LBB256_19:
	s_endpgm
	.section	.rodata,"a",@progbits
	.p2align	6, 0x0
	.amdhsa_kernel _ZN4vllm3moe17topkGatingSoftmaxItLi16ELi16ELi8ELi32ELb1ELi8ELNS0_23SharedExpertScoringFuncE1EEEvPKT_PKbPfiPiS9_iiiiii
		.amdhsa_group_segment_fixed_size 0
		.amdhsa_private_segment_fixed_size 0
		.amdhsa_kernarg_size 72
		.amdhsa_user_sgpr_count 6
		.amdhsa_user_sgpr_private_segment_buffer 1
		.amdhsa_user_sgpr_dispatch_ptr 0
		.amdhsa_user_sgpr_queue_ptr 0
		.amdhsa_user_sgpr_kernarg_segment_ptr 1
		.amdhsa_user_sgpr_dispatch_id 0
		.amdhsa_user_sgpr_flat_scratch_init 0
		.amdhsa_user_sgpr_kernarg_preload_length 0
		.amdhsa_user_sgpr_kernarg_preload_offset 0
		.amdhsa_user_sgpr_private_segment_size 0
		.amdhsa_uses_dynamic_stack 0
		.amdhsa_system_sgpr_private_segment_wavefront_offset 0
		.amdhsa_system_sgpr_workgroup_id_x 1
		.amdhsa_system_sgpr_workgroup_id_y 0
		.amdhsa_system_sgpr_workgroup_id_z 0
		.amdhsa_system_sgpr_workgroup_info 0
		.amdhsa_system_vgpr_workitem_id 1
		.amdhsa_next_free_vgpr 37
		.amdhsa_next_free_sgpr 49
		.amdhsa_accum_offset 40
		.amdhsa_reserve_vcc 1
		.amdhsa_reserve_flat_scratch 0
		.amdhsa_float_round_mode_32 0
		.amdhsa_float_round_mode_16_64 0
		.amdhsa_float_denorm_mode_32 3
		.amdhsa_float_denorm_mode_16_64 3
		.amdhsa_dx10_clamp 1
		.amdhsa_ieee_mode 1
		.amdhsa_fp16_overflow 0
		.amdhsa_tg_split 0
		.amdhsa_exception_fp_ieee_invalid_op 0
		.amdhsa_exception_fp_denorm_src 0
		.amdhsa_exception_fp_ieee_div_zero 0
		.amdhsa_exception_fp_ieee_overflow 0
		.amdhsa_exception_fp_ieee_underflow 0
		.amdhsa_exception_fp_ieee_inexact 0
		.amdhsa_exception_int_div_zero 0
	.end_amdhsa_kernel
	.section	.text._ZN4vllm3moe17topkGatingSoftmaxItLi16ELi16ELi8ELi32ELb1ELi8ELNS0_23SharedExpertScoringFuncE1EEEvPKT_PKbPfiPiS9_iiiiii,"axG",@progbits,_ZN4vllm3moe17topkGatingSoftmaxItLi16ELi16ELi8ELi32ELb1ELi8ELNS0_23SharedExpertScoringFuncE1EEEvPKT_PKbPfiPiS9_iiiiii,comdat
.Lfunc_end256:
	.size	_ZN4vllm3moe17topkGatingSoftmaxItLi16ELi16ELi8ELi32ELb1ELi8ELNS0_23SharedExpertScoringFuncE1EEEvPKT_PKbPfiPiS9_iiiiii, .Lfunc_end256-_ZN4vllm3moe17topkGatingSoftmaxItLi16ELi16ELi8ELi32ELb1ELi8ELNS0_23SharedExpertScoringFuncE1EEEvPKT_PKbPfiPiS9_iiiiii
                                        ; -- End function
	.section	.AMDGPU.csdata,"",@progbits
; Kernel info:
; codeLenInByte = 3728
; NumSgprs: 53
; NumVgprs: 37
; NumAgprs: 0
; TotalNumVgprs: 37
; ScratchSize: 0
; MemoryBound: 0
; FloatMode: 240
; IeeeMode: 1
; LDSByteSize: 0 bytes/workgroup (compile time only)
; SGPRBlocks: 6
; VGPRBlocks: 4
; NumSGPRsForWavesPerEU: 53
; NumVGPRsForWavesPerEU: 37
; AccumOffset: 40
; Occupancy: 8
; WaveLimiterHint : 0
; COMPUTE_PGM_RSRC2:SCRATCH_EN: 0
; COMPUTE_PGM_RSRC2:USER_SGPR: 6
; COMPUTE_PGM_RSRC2:TRAP_HANDLER: 0
; COMPUTE_PGM_RSRC2:TGID_X_EN: 1
; COMPUTE_PGM_RSRC2:TGID_Y_EN: 0
; COMPUTE_PGM_RSRC2:TGID_Z_EN: 0
; COMPUTE_PGM_RSRC2:TIDIG_COMP_CNT: 1
; COMPUTE_PGM_RSRC3_GFX90A:ACCUM_OFFSET: 9
; COMPUTE_PGM_RSRC3_GFX90A:TG_SPLIT: 0
	.section	.text._ZN4vllm3moe17topkGatingSoftmaxItLi16ELi16ELi8ELi32ELb0ELi8ELNS0_23SharedExpertScoringFuncE1EEEvPKT_PKbPfiPiS9_iiiiii,"axG",@progbits,_ZN4vllm3moe17topkGatingSoftmaxItLi16ELi16ELi8ELi32ELb0ELi8ELNS0_23SharedExpertScoringFuncE1EEEvPKT_PKbPfiPiS9_iiiiii,comdat
	.protected	_ZN4vllm3moe17topkGatingSoftmaxItLi16ELi16ELi8ELi32ELb0ELi8ELNS0_23SharedExpertScoringFuncE1EEEvPKT_PKbPfiPiS9_iiiiii ; -- Begin function _ZN4vllm3moe17topkGatingSoftmaxItLi16ELi16ELi8ELi32ELb0ELi8ELNS0_23SharedExpertScoringFuncE1EEEvPKT_PKbPfiPiS9_iiiiii
	.globl	_ZN4vllm3moe17topkGatingSoftmaxItLi16ELi16ELi8ELi32ELb0ELi8ELNS0_23SharedExpertScoringFuncE1EEEvPKT_PKbPfiPiS9_iiiiii
	.p2align	8
	.type	_ZN4vllm3moe17topkGatingSoftmaxItLi16ELi16ELi8ELi32ELb0ELi8ELNS0_23SharedExpertScoringFuncE1EEEvPKT_PKbPfiPiS9_iiiiii,@function
_ZN4vllm3moe17topkGatingSoftmaxItLi16ELi16ELi8ELi32ELb0ELi8ELNS0_23SharedExpertScoringFuncE1EEEvPKT_PKbPfiPiS9_iiiiii: ; @_ZN4vllm3moe17topkGatingSoftmaxItLi16ELi16ELi8ELi32ELb0ELi8ELNS0_23SharedExpertScoringFuncE1EEEvPKT_PKbPfiPiS9_iiiiii
; %bb.0:
	s_load_dword s33, s[4:5], 0x18
	v_bfe_u32 v1, v0, 10, 10
	s_lshl_b32 s50, s6, 9
	v_lshlrev_b32_e32 v28, 6, v1
	v_and_b32_e32 v29, 0x3ff, v0
	v_add3_u32 v22, v28, v29, s50
	s_waitcnt lgkmcnt(0)
	v_cmp_gt_i32_e32 vcc, s33, v22
	s_and_saveexec_b64 s[0:1], vcc
	s_cbranch_execz .LBB257_19
; %bb.1:
	s_load_dwordx4 s[0:3], s[4:5], 0x0
	s_load_dwordx2 s[44:45], s[4:5], 0x10
	s_waitcnt lgkmcnt(0)
	s_cmp_eq_u64 s[2:3], 0
	s_cbranch_scc1 .LBB257_3
; %bb.2:
	v_ashrrev_i32_e32 v1, 31, v22
	v_mov_b32_e32 v2, s3
	v_add_co_u32_e32 v0, vcc, s2, v22
	v_addc_co_u32_e32 v1, vcc, v2, v1, vcc
	global_load_ubyte v0, v[0:1], off
	s_waitcnt vmcnt(0)
	v_and_b32_e32 v0, 1, v0
	v_cmp_eq_u32_e32 vcc, 1, v0
	s_xor_b64 s[2:3], vcc, -1
	s_orn2_b64 s[48:49], s[2:3], exec
	s_branch .LBB257_4
.LBB257_3:
	s_mov_b64 s[48:49], -1
.LBB257_4:
	s_load_dwordx2 s[30:31], s[4:5], 0x40
	s_load_dwordx4 s[36:39], s[4:5], 0x30
	v_mov_b32_e32 v2, s1
	s_mov_b32 s6, 0xbfb8aa3b
	v_mov_b32_e32 v3, s45
	s_waitcnt lgkmcnt(0)
	v_mul_lo_u32 v0, v22, s31
	v_ashrrev_i32_e32 v1, 31, v0
	v_lshlrev_b64 v[0:1], 1, v[0:1]
	v_add_co_u32_e32 v0, vcc, s0, v0
	v_addc_co_u32_e32 v1, vcc, v2, v1, vcc
	global_load_dwordx4 v[4:7], v[0:1], off
	global_load_dwordx4 v[8:11], v[0:1], off offset:32
	v_mul_lo_u32 v16, v22, s39
	global_load_dwordx4 v[12:15], v[0:1], off offset:16
	v_add_u32_e32 v0, s36, v16
	v_ashrrev_i32_e32 v1, 31, v0
	v_lshlrev_b64 v[0:1], 2, v[0:1]
	v_add_co_u32_e32 v2, vcc, s44, v0
	s_mov_b32 s2, 0x42ce8ed0
	v_addc_co_u32_e32 v3, vcc, v3, v1, vcc
	s_mov_b32 s3, 0xc2b17218
	v_mov_b32_e32 v26, 0x7f800000
	s_cmp_gt_i32 s36, 0
	s_cselect_b64 s[46:47], -1, 0
	s_cmp_lt_i32 s36, 1
	s_waitcnt vmcnt(2)
	v_cvt_f32_u32_sdwa v1, v4 dst_sel:DWORD dst_unused:UNUSED_PAD src0_sel:WORD_1
	s_waitcnt vmcnt(1)
	v_cvt_f32_u32_sdwa v0, v8 dst_sel:DWORD dst_unused:UNUSED_PAD src0_sel:WORD_1
	v_cvt_f32_u32_sdwa v8, v8 dst_sel:DWORD dst_unused:UNUSED_PAD src0_sel:WORD_0
	v_cvt_f32_u32_sdwa v17, v9 dst_sel:DWORD dst_unused:UNUSED_PAD src0_sel:WORD_1
	v_cvt_f32_u32_sdwa v18, v9 dst_sel:DWORD dst_unused:UNUSED_PAD src0_sel:WORD_0
	v_mul_f32_e32 v9, 0xbfb8aa3b, v0
	v_mul_f32_e32 v19, 0xbfb8aa3b, v8
	v_fma_f32 v23, v0, s6, -v9
	v_rndne_f32_e32 v24, v9
	v_mul_f32_e32 v20, 0xbfb8aa3b, v17
	v_fma_f32 v25, v8, s6, -v19
	v_rndne_f32_e32 v27, v19
	v_fmac_f32_e32 v23, 0xb2a5705f, v0
	v_sub_f32_e32 v9, v9, v24
	v_mul_f32_e32 v21, 0xbfb8aa3b, v18
	v_fma_f32 v30, v17, s6, -v20
	v_rndne_f32_e32 v31, v20
	v_fmac_f32_e32 v25, 0xb2a5705f, v8
	v_sub_f32_e32 v19, v19, v27
	v_add_f32_e32 v9, v9, v23
	v_fma_f32 v32, v18, s6, -v21
	v_rndne_f32_e32 v33, v21
	v_cvt_i32_f32_e32 v24, v24
	v_fmac_f32_e32 v30, 0xb2a5705f, v17
	v_sub_f32_e32 v20, v20, v31
	v_add_f32_e32 v19, v19, v25
	v_exp_f32_e32 v9, v9
	v_cvt_i32_f32_e32 v27, v27
	v_fmac_f32_e32 v32, 0xb2a5705f, v18
	v_sub_f32_e32 v21, v21, v33
	v_add_f32_e32 v20, v20, v30
	v_exp_f32_e32 v19, v19
	v_cvt_i32_f32_e32 v31, v31
	v_add_f32_e32 v21, v21, v32
	v_exp_f32_e32 v20, v20
	v_cvt_i32_f32_e32 v33, v33
	v_exp_f32_e32 v21, v21
	v_ldexp_f32 v9, v9, v24
	v_cmp_nlt_f32_e32 vcc, s2, v0
	v_ldexp_f32 v19, v19, v27
	v_cndmask_b32_e32 v9, 0, v9, vcc
	v_cmp_nlt_f32_e32 vcc, s2, v8
	v_ldexp_f32 v20, v20, v31
	v_cndmask_b32_e32 v19, 0, v19, vcc
	;; [unrolled: 3-line block ×3, first 2 shown]
	v_cmp_nlt_f32_e32 vcc, s2, v18
	v_cndmask_b32_e32 v21, 0, v21, vcc
	v_cmp_ngt_f32_e32 vcc, s3, v0
	v_cndmask_b32_e32 v9, v26, v9, vcc
	v_cmp_ngt_f32_e32 vcc, s3, v8
	;; [unrolled: 2-line block ×4, first 2 shown]
	v_pk_add_f32 v[8:9], v[8:9], 1.0 op_sel_hi:[1,0]
	v_cndmask_b32_e32 v18, v26, v21, vcc
	v_div_scale_f32 v0, s[0:1], v9, v9, 1.0
	v_pk_add_f32 v[20:21], v[18:19], 1.0 op_sel_hi:[1,0]
	v_div_scale_f32 v18, s[0:1], v8, v8, 1.0
	v_rcp_f32_e32 v19, v0
	v_div_scale_f32 v23, s[0:1], v21, v21, 1.0
	v_rcp_f32_e32 v24, v18
	v_rcp_f32_e32 v25, v23
	v_fma_f32 v30, -v0, v19, 1.0
	v_div_scale_f32 v17, vcc, 1.0, v9, 1.0
	v_fma_f32 v31, -v18, v24, 1.0
	v_fmac_f32_e32 v19, v30, v19
	v_div_scale_f32 v27, s[0:1], 1.0, v8, 1.0
	v_fma_f32 v32, -v23, v25, 1.0
	v_fmac_f32_e32 v24, v31, v24
	v_mul_f32_e32 v30, v17, v19
	v_fmac_f32_e32 v25, v32, v25
	v_mul_f32_e32 v31, v27, v24
	v_fma_f32 v32, -v0, v30, v17
	v_fma_f32 v33, -v18, v31, v27
	v_fmac_f32_e32 v30, v32, v19
	v_fmac_f32_e32 v31, v33, v24
	v_fma_f32 v0, -v0, v30, v17
	v_fma_f32 v17, -v18, v31, v27
	v_div_fmas_f32 v0, v0, v19, v30
	s_mov_b64 vcc, s[0:1]
	v_div_fixup_f32 v19, v0, v9, 1.0
	v_div_fmas_f32 v0, v17, v24, v31
	v_div_fixup_f32 v18, v0, v8, 1.0
	v_div_scale_f32 v0, vcc, 1.0, v21, 1.0
	v_mul_f32_e32 v8, v0, v25
	v_fma_f32 v9, -v23, v8, v0
	v_fmac_f32_e32 v8, v9, v25
	v_div_scale_f32 v9, s[0:1], v20, v20, 1.0
	v_rcp_f32_e32 v17, v9
	v_fma_f32 v0, -v23, v8, v0
	v_div_fmas_f32 v0, v0, v25, v8
	v_div_fixup_f32 v21, v0, v21, 1.0
	v_fma_f32 v0, -v9, v17, 1.0
	v_fmac_f32_e32 v17, v0, v17
	v_div_scale_f32 v0, vcc, 1.0, v20, 1.0
	v_cvt_f32_u32_sdwa v23, v10 dst_sel:DWORD dst_unused:UNUSED_PAD src0_sel:WORD_1
	v_mul_f32_e32 v8, v0, v17
	v_fma_f32 v24, -v9, v8, v0
	v_fmac_f32_e32 v8, v24, v17
	v_fma_f32 v0, -v9, v8, v0
	v_mul_f32_e32 v9, 0xbfb8aa3b, v23
	v_fma_f32 v24, v23, s6, -v9
	v_rndne_f32_e32 v25, v9
	v_fmac_f32_e32 v24, 0xb2a5705f, v23
	v_sub_f32_e32 v9, v9, v25
	v_add_f32_e32 v9, v9, v24
	v_exp_f32_e32 v9, v9
	v_cvt_i32_f32_e32 v24, v25
	v_cvt_f32_u32_sdwa v10, v10 dst_sel:DWORD dst_unused:UNUSED_PAD src0_sel:WORD_0
	v_div_fmas_f32 v0, v0, v17, v8
	v_cmp_nlt_f32_e32 vcc, s2, v23
	v_ldexp_f32 v8, v9, v24
	v_mul_f32_e32 v9, 0xbfb8aa3b, v10
	v_fma_f32 v17, v10, s6, -v9
	v_rndne_f32_e32 v24, v9
	v_fmac_f32_e32 v17, 0xb2a5705f, v10
	v_sub_f32_e32 v9, v9, v24
	v_add_f32_e32 v9, v9, v17
	v_exp_f32_e32 v17, v9
	v_cvt_i32_f32_e32 v24, v24
	v_cndmask_b32_e32 v8, 0, v8, vcc
	v_cmp_ngt_f32_e32 vcc, s3, v23
	v_cndmask_b32_e32 v9, v26, v8, vcc
	v_ldexp_f32 v8, v17, v24
	v_cmp_nlt_f32_e32 vcc, s2, v10
	v_cndmask_b32_e32 v8, 0, v8, vcc
	v_cmp_ngt_f32_e32 vcc, s3, v10
	v_cndmask_b32_e32 v8, v26, v8, vcc
	v_pk_add_f32 v[8:9], v[8:9], 1.0 op_sel_hi:[1,0]
	v_div_scale_f32 v10, s[0:1], v9, v9, 1.0
	v_rcp_f32_e32 v17, v10
	v_div_fixup_f32 v20, v0, v20, 1.0
	v_cvt_f32_u32_sdwa v0, v4 dst_sel:DWORD dst_unused:UNUSED_PAD src0_sel:WORD_0
	global_store_dwordx4 v[2:3], v[18:21], off
	v_fma_f32 v4, -v10, v17, 1.0
	v_fmac_f32_e32 v17, v4, v17
	v_div_scale_f32 v4, vcc, 1.0, v9, 1.0
	v_mul_f32_e32 v18, v4, v17
	v_fma_f32 v19, -v10, v18, v4
	v_fmac_f32_e32 v18, v19, v17
	v_div_scale_f32 v19, s[0:1], v8, v8, 1.0
	v_rcp_f32_e32 v20, v19
	v_fma_f32 v4, -v10, v18, v4
	v_cvt_f32_u32_sdwa v21, v11 dst_sel:DWORD dst_unused:UNUSED_PAD src0_sel:WORD_0
	v_div_fmas_f32 v4, v4, v17, v18
	v_fma_f32 v10, -v19, v20, 1.0
	v_fmac_f32_e32 v20, v10, v20
	v_cvt_f32_u32_sdwa v10, v11 dst_sel:DWORD dst_unused:UNUSED_PAD src0_sel:WORD_1
	v_div_scale_f32 v17, vcc, 1.0, v8, 1.0
	v_mul_f32_e32 v18, v17, v20
	v_mul_f32_e32 v11, 0xbfb8aa3b, v10
	v_fma_f32 v23, v10, s6, -v11
	v_rndne_f32_e32 v24, v11
	v_fmac_f32_e32 v23, 0xb2a5705f, v10
	v_sub_f32_e32 v11, v11, v24
	v_add_f32_e32 v11, v11, v23
	v_exp_f32_e32 v11, v11
	v_cvt_i32_f32_e32 v23, v24
	v_fma_f32 v24, -v19, v18, v17
	v_fmac_f32_e32 v18, v24, v20
	v_fma_f32 v17, -v19, v18, v17
	v_mul_f32_e32 v19, 0xbfb8aa3b, v21
	v_ldexp_f32 v11, v11, v23
	v_fma_f32 v23, v21, s6, -v19
	v_rndne_f32_e32 v24, v19
	v_fmac_f32_e32 v23, 0xb2a5705f, v21
	v_sub_f32_e32 v19, v19, v24
	v_add_f32_e32 v19, v19, v23
	v_div_fixup_f32 v9, v4, v9, 1.0
	v_exp_f32_e32 v4, v19
	v_cvt_i32_f32_e32 v19, v24
	v_cmp_nlt_f32_e64 s[0:1], s2, v10
	v_cndmask_b32_e64 v11, 0, v11, s[0:1]
	v_cmp_ngt_f32_e64 s[0:1], s3, v10
	v_cndmask_b32_e64 v11, v26, v11, s[0:1]
	v_ldexp_f32 v4, v4, v19
	v_cmp_nlt_f32_e64 s[0:1], s2, v21
	v_cndmask_b32_e64 v4, 0, v4, s[0:1]
	v_cmp_ngt_f32_e64 s[0:1], s3, v21
	v_cndmask_b32_e64 v10, v26, v4, s[0:1]
	v_pk_add_f32 v[10:11], v[10:11], 1.0 op_sel_hi:[1,0]
	v_div_scale_f32 v4, s[0:1], v11, v11, 1.0
	v_rcp_f32_e32 v19, v4
	v_div_fmas_f32 v17, v17, v20, v18
	v_div_fixup_f32 v8, v17, v8, 1.0
	v_fma_f32 v17, -v4, v19, 1.0
	v_fmac_f32_e32 v19, v17, v19
	v_div_scale_f32 v17, vcc, 1.0, v11, 1.0
	v_mul_f32_e32 v18, v17, v19
	v_fma_f32 v20, -v4, v18, v17
	v_fmac_f32_e32 v18, v20, v19
	v_fma_f32 v4, -v4, v18, v17
	v_div_scale_f32 v17, s[0:1], v10, v10, 1.0
	v_rcp_f32_e32 v20, v17
	v_div_fmas_f32 v4, v4, v19, v18
	v_div_fixup_f32 v11, v4, v11, 1.0
	v_fma_f32 v4, -v17, v20, 1.0
	v_fmac_f32_e32 v20, v4, v20
	v_div_scale_f32 v4, vcc, 1.0, v10, 1.0
	v_mul_f32_e32 v18, v4, v20
	v_fma_f32 v19, -v17, v18, v4
	v_fmac_f32_e32 v18, v19, v20
	v_fma_f32 v4, -v17, v18, v4
	v_div_fmas_f32 v4, v4, v20, v18
	v_div_fixup_f32 v10, v4, v10, 1.0
	global_store_dwordx4 v[2:3], v[8:11], off offset:16
	v_cvt_f32_u32_sdwa v2, v5 dst_sel:DWORD dst_unused:UNUSED_PAD src0_sel:WORD_0
	v_cmp_lt_f32_e32 vcc, v0, v1
	v_cndmask_b32_e32 v3, v0, v1, vcc
	v_cmp_lt_f32_e64 s[0:1], v3, v2
	v_cndmask_b32_e64 v4, v3, v2, s[0:1]
	v_cvt_f32_u32_sdwa v3, v5 dst_sel:DWORD dst_unused:UNUSED_PAD src0_sel:WORD_1
	v_cmp_lt_f32_e64 s[2:3], v4, v3
	v_cndmask_b32_e64 v5, v4, v3, s[2:3]
	v_cvt_f32_u32_sdwa v4, v6 dst_sel:DWORD dst_unused:UNUSED_PAD src0_sel:WORD_0
	v_cmp_lt_f32_e64 s[6:7], v5, v4
	v_cndmask_b32_e64 v8, v5, v4, s[6:7]
	v_cvt_f32_u32_sdwa v5, v6 dst_sel:DWORD dst_unused:UNUSED_PAD src0_sel:WORD_1
	v_cvt_f32_u32_sdwa v6, v7 dst_sel:DWORD dst_unused:UNUSED_PAD src0_sel:WORD_0
	v_cvt_f32_u32_sdwa v7, v7 dst_sel:DWORD dst_unused:UNUSED_PAD src0_sel:WORD_1
	v_cmp_lt_f32_e64 s[8:9], v8, v5
	v_cndmask_b32_e64 v8, v8, v5, s[8:9]
	v_cmp_lt_f32_e64 s[10:11], v8, v6
	v_cndmask_b32_e64 v8, v8, v6, s[10:11]
	;; [unrolled: 2-line block ×3, first 2 shown]
	s_waitcnt vmcnt(2)
	v_cvt_f32_u32_sdwa v8, v12 dst_sel:DWORD dst_unused:UNUSED_PAD src0_sel:WORD_0
	v_cmp_lt_f32_e64 s[14:15], v9, v8
	v_cndmask_b32_e64 v10, v9, v8, s[14:15]
	v_cvt_f32_u32_sdwa v9, v12 dst_sel:DWORD dst_unused:UNUSED_PAD src0_sel:WORD_1
	v_cmp_lt_f32_e64 s[16:17], v10, v9
	v_cndmask_b32_e64 v11, v10, v9, s[16:17]
	v_cvt_f32_u32_sdwa v10, v13 dst_sel:DWORD dst_unused:UNUSED_PAD src0_sel:WORD_0
	v_cmp_lt_f32_e64 s[18:19], v11, v10
	v_cndmask_b32_e64 v12, v11, v10, s[18:19]
	v_cvt_f32_u32_sdwa v11, v13 dst_sel:DWORD dst_unused:UNUSED_PAD src0_sel:WORD_1
	v_cmp_lt_f32_e64 s[20:21], v12, v11
	v_cndmask_b32_e64 v13, v12, v11, s[20:21]
	v_cvt_f32_u32_sdwa v12, v14 dst_sel:DWORD dst_unused:UNUSED_PAD src0_sel:WORD_0
	v_cmp_lt_f32_e64 s[22:23], v13, v12
	v_cndmask_b32_e64 v17, v13, v12, s[22:23]
	v_cvt_f32_u32_sdwa v13, v14 dst_sel:DWORD dst_unused:UNUSED_PAD src0_sel:WORD_1
	v_cvt_f32_u32_sdwa v14, v15 dst_sel:DWORD dst_unused:UNUSED_PAD src0_sel:WORD_0
	v_cvt_f32_u32_sdwa v15, v15 dst_sel:DWORD dst_unused:UNUSED_PAD src0_sel:WORD_1
	v_cmp_lt_f32_e64 s[24:25], v17, v13
	v_cndmask_b32_e64 v17, v17, v13, s[24:25]
	v_cmp_lt_f32_e64 s[26:27], v17, v14
	v_cndmask_b32_e64 v17, v17, v14, s[26:27]
	v_cmp_lt_f32_e64 s[28:29], v17, v15
	v_cndmask_b32_e64 v27, v17, v15, s[28:29]
	v_mov_b32_e32 v17, 0
	s_cbranch_scc1 .LBB257_8
; %bb.5:
	s_load_dwordx4 s[40:43], s[4:5], 0x20
	v_mul_lo_u32 v18, v22, s30
	v_ashrrev_i32_e32 v19, 31, v18
	v_lshlrev_b64 v[20:21], 2, v[18:19]
	v_sub_f32_e32 v32, v27, v27
	s_waitcnt lgkmcnt(0)
	v_mov_b32_e32 v17, s41
	v_add_co_u32_e64 v18, s[4:5], s40, v20
	v_addc_co_u32_e64 v19, s[4:5], v17, v21, s[4:5]
	v_cndmask_b32_e64 v17, 0, 1, vcc
	v_cndmask_b32_e64 v17, v17, 2, s[0:1]
	v_cndmask_b32_e64 v17, v17, 3, s[2:3]
	;; [unrolled: 1-line block ×14, first 2 shown]
	v_cmp_le_i32_e32 vcc, s37, v31
	v_cmp_gt_i32_e64 s[0:1], s38, v31
	s_and_b64 s[0:1], vcc, s[0:1]
	v_subrev_u32_e32 v17, s37, v31
	s_and_b64 vcc, s[48:49], s[0:1]
	v_cndmask_b32_e32 v17, 16, v17, vcc
	global_store_dword v[18:19], v17, off
	v_mul_lo_u32 v18, v22, s36
	v_ashrrev_i32_e32 v19, 31, v18
	v_lshlrev_b64 v[18:19], 2, v[18:19]
	v_mov_b32_e32 v17, s43
	v_add_co_u32_e32 v24, vcc, s42, v18
	v_addc_co_u32_e32 v25, vcc, v17, v19, vcc
	v_mul_f32_e32 v17, 0x3fb8aa3b, v32
	global_store_dword v[24:25], v22, off
	s_mov_b32 s39, 0x3fb8aa3b
	v_rndne_f32_e32 v22, v17
	v_sub_f32_e32 v23, v17, v22
	v_fma_f32 v17, v32, s39, -v17
	v_fmac_f32_e32 v17, 0x32a5705f, v32
	v_add_f32_e32 v17, v23, v17
	v_exp_f32_e32 v17, v17
	v_cvt_i32_f32_e32 v22, v22
	v_mov_b32_e32 v25, s45
	s_mov_b32 s51, 0xc2ce8ed0
	v_cmp_ngt_f32_e64 s[34:35], s51, v32
	v_ldexp_f32 v33, v17, v22
	v_ashrrev_i32_e32 v17, 31, v16
	v_lshlrev_b64 v[22:23], 2, v[16:17]
	v_add_co_u32_e32 v24, vcc, s44, v22
	v_addc_co_u32_e64 v25, s[0:1], v25, v23, vcc
	s_mov_b32 s52, 0x42b17218
	v_mov_b32_e32 v30, 0xff800000
	v_cmp_ne_u32_e64 s[0:1], 15, v31
	v_cmp_ne_u32_e64 s[2:3], 14, v31
	;; [unrolled: 1-line block ×16, first 2 shown]
	v_cndmask_b32_e64 v17, 0, v33, s[34:35]
	v_cmp_nlt_f32_e64 s[34:35], s52, v32
	v_cndmask_b32_e64 v17, v26, v17, s[34:35]
	v_cndmask_b32_e64 v15, v30, v15, s[0:1]
	;; [unrolled: 1-line block ×16, first 2 shown]
	s_cmp_eq_u32 s36, 1
	v_cndmask_b32_e64 v0, v30, v0, s[30:31]
	global_store_dword v[24:25], v17, off
	s_cbranch_scc1 .LBB257_8
; %bb.6:
	v_mov_b32_e32 v22, s43
	v_add_co_u32_e64 v18, s[0:1], s42, v18
	v_addc_co_u32_e64 v19, s[0:1], v19, v22, s[0:1]
	v_add_co_u32_e64 v18, s[0:1], 4, v18
	v_addc_co_u32_e64 v19, s[0:1], 0, v19, s[0:1]
	v_mov_b32_e32 v22, s41
	v_add_co_u32_e64 v20, s[0:1], s40, v20
	v_addc_co_u32_e64 v21, s[0:1], v21, v22, s[0:1]
	v_mov_b32_e32 v22, s45
	v_addc_co_u32_e32 v23, vcc, v23, v22, vcc
	v_add_co_u32_e64 v20, s[0:1], 4, v20
	v_add_co_u32_e32 v22, vcc, 4, v24
	s_add_i32 s50, s50, s33
	v_addc_co_u32_e64 v21, s[0:1], 0, v21, s[0:1]
	v_addc_co_u32_e32 v23, vcc, 0, v23, vcc
	s_add_i32 s40, s36, -1
	v_add3_u32 v24, s50, v29, v28
	v_mov_b32_e32 v25, 0x7f800000
.LBB257_7:                              ; =>This Inner Loop Header: Depth=1
	v_cmp_gt_f32_e32 vcc, v1, v0
	v_cndmask_b32_e32 v28, v0, v1, vcc
	v_cmp_gt_f32_e64 s[0:1], v2, v28
	v_cndmask_b32_e64 v28, v28, v2, s[0:1]
	v_cmp_gt_f32_e64 s[2:3], v3, v28
	v_cndmask_b32_e64 v28, v28, v3, s[2:3]
	;; [unrolled: 2-line block ×14, first 2 shown]
	v_sub_f32_e32 v28, v28, v27
	v_mul_f32_e32 v29, 0x3fb8aa3b, v28
	v_fma_f32 v31, v28, s39, -v29
	v_rndne_f32_e32 v32, v29
	v_fmac_f32_e32 v31, 0x32a5705f, v28
	v_sub_f32_e32 v29, v29, v32
	v_add_f32_e32 v29, v29, v31
	v_cndmask_b32_e64 v31, 0, 1, vcc
	v_cndmask_b32_e64 v31, v31, 2, s[0:1]
	v_cndmask_b32_e64 v31, v31, 3, s[2:3]
	;; [unrolled: 1-line block ×14, first 2 shown]
	v_cmp_le_i32_e32 vcc, s37, v31
	v_cmp_gt_i32_e64 s[0:1], s38, v31
	s_and_b64 s[0:1], vcc, s[0:1]
	v_cmp_ne_u32_e64 s[2:3], 15, v31
	v_cmp_ne_u32_e64 s[4:5], 14, v31
	;; [unrolled: 1-line block ×16, first 2 shown]
	v_subrev_u32_e32 v31, s37, v31
	s_and_b64 vcc, s[48:49], s[0:1]
	v_cndmask_b32_e32 v31, 16, v31, vcc
	global_store_dword v[20:21], v31, off
	v_cvt_i32_f32_e32 v31, v32
	v_exp_f32_e32 v29, v29
	v_cmp_ngt_f32_e32 vcc, s51, v28
	global_store_dword v[18:19], v24, off
	s_add_i32 s40, s40, -1
	v_ldexp_f32 v29, v29, v31
	v_cndmask_b32_e32 v29, 0, v29, vcc
	v_cmp_nlt_f32_e32 vcc, s52, v28
	v_cndmask_b32_e32 v28, v25, v29, vcc
	v_add_co_u32_e32 v18, vcc, 4, v18
	v_addc_co_u32_e32 v19, vcc, 0, v19, vcc
	v_add_co_u32_e32 v20, vcc, 4, v20
	v_addc_co_u32_e32 v21, vcc, 0, v21, vcc
	global_store_dword v[22:23], v28, off
	v_add_co_u32_e32 v22, vcc, 4, v22
	v_add_f32_e32 v17, v17, v28
	v_cndmask_b32_e64 v15, v30, v15, s[2:3]
	v_cndmask_b32_e64 v14, v30, v14, s[4:5]
	;; [unrolled: 1-line block ×16, first 2 shown]
	v_add_u32_e32 v24, s33, v24
	s_cmp_eq_u32 s40, 0
	v_addc_co_u32_e32 v23, vcc, 0, v23, vcc
	s_cbranch_scc0 .LBB257_7
.LBB257_8:
	v_sub_f32_e32 v0, v0, v27
	s_mov_b32 s2, 0x3fb8aa3b
	v_mul_f32_e32 v18, 0x3fb8aa3b, v0
	v_fma_f32 v19, v0, s2, -v18
	v_rndne_f32_e32 v20, v18
	v_fmac_f32_e32 v19, 0x32a5705f, v0
	v_sub_f32_e32 v18, v18, v20
	v_add_f32_e32 v18, v18, v19
	v_exp_f32_e32 v18, v18
	v_cvt_i32_f32_e32 v19, v20
	v_sub_f32_e32 v1, v1, v27
	s_mov_b32 s4, 0xc2ce8ed0
	s_mov_b32 s3, 0x42b17218
	v_ldexp_f32 v18, v18, v19
	v_mul_f32_e32 v19, 0x3fb8aa3b, v1
	v_fma_f32 v20, v1, s2, -v19
	v_rndne_f32_e32 v21, v19
	v_fmac_f32_e32 v20, 0x32a5705f, v1
	v_sub_f32_e32 v19, v19, v21
	v_add_f32_e32 v19, v19, v20
	v_exp_f32_e32 v19, v19
	v_cvt_i32_f32_e32 v20, v21
	v_cmp_ngt_f32_e32 vcc, s4, v1
	v_cmp_ngt_f32_e64 s[0:1], s4, v0
	v_sub_f32_e32 v2, v2, v27
	v_ldexp_f32 v19, v19, v20
	v_cndmask_b32_e32 v19, 0, v19, vcc
	v_cmp_nlt_f32_e32 vcc, s3, v1
	v_cndmask_b32_e64 v1, 0, v18, s[0:1]
	v_cmp_nlt_f32_e64 s[0:1], s3, v0
	v_cndmask_b32_e64 v0, v26, v1, s[0:1]
	v_cndmask_b32_e32 v1, v26, v19, vcc
	v_add_f32_e32 v0, v0, v1
	v_mul_f32_e32 v1, 0x3fb8aa3b, v2
	v_fma_f32 v18, v2, s2, -v1
	v_rndne_f32_e32 v19, v1
	v_fmac_f32_e32 v18, 0x32a5705f, v2
	v_sub_f32_e32 v1, v1, v19
	v_add_f32_e32 v1, v1, v18
	v_exp_f32_e32 v1, v1
	v_cvt_i32_f32_e32 v18, v19
	v_cmp_ngt_f32_e32 vcc, s4, v2
	v_sub_f32_e32 v3, v3, v27
	v_sub_f32_e32 v4, v4, v27
	v_ldexp_f32 v1, v1, v18
	v_cndmask_b32_e32 v1, 0, v1, vcc
	v_cmp_nlt_f32_e32 vcc, s3, v2
	v_cndmask_b32_e32 v1, v26, v1, vcc
	v_add_f32_e32 v0, v0, v1
	v_mul_f32_e32 v1, 0x3fb8aa3b, v3
	v_fma_f32 v2, v3, s2, -v1
	v_rndne_f32_e32 v18, v1
	v_fmac_f32_e32 v2, 0x32a5705f, v3
	v_sub_f32_e32 v1, v1, v18
	v_add_f32_e32 v1, v1, v2
	v_exp_f32_e32 v1, v1
	v_cvt_i32_f32_e32 v2, v18
	v_cmp_ngt_f32_e32 vcc, s4, v3
	v_sub_f32_e32 v5, v5, v27
	v_sub_f32_e32 v6, v6, v27
	v_ldexp_f32 v1, v1, v2
	v_cndmask_b32_e32 v1, 0, v1, vcc
	v_cmp_nlt_f32_e32 vcc, s3, v3
	;; [unrolled: 16-line block ×5, first 2 shown]
	v_cndmask_b32_e32 v1, v26, v1, vcc
	v_add_f32_e32 v0, v0, v1
	v_mul_f32_e32 v1, 0x3fb8aa3b, v7
	v_fma_f32 v2, v7, s2, -v1
	v_rndne_f32_e32 v3, v1
	v_fmac_f32_e32 v2, 0x32a5705f, v7
	v_sub_f32_e32 v1, v1, v3
	v_add_f32_e32 v1, v1, v2
	v_exp_f32_e32 v1, v1
	v_cvt_i32_f32_e32 v2, v3
	v_cmp_ngt_f32_e32 vcc, s4, v7
	v_ldexp_f32 v1, v1, v2
	v_mul_f32_e32 v2, 0x3fb8aa3b, v8
	v_fma_f32 v3, v8, s2, -v2
	v_rndne_f32_e32 v4, v2
	v_fmac_f32_e32 v3, 0x32a5705f, v8
	v_sub_f32_e32 v2, v2, v4
	v_add_f32_e32 v2, v2, v3
	v_exp_f32_e32 v2, v2
	v_cvt_i32_f32_e32 v3, v4
	v_cndmask_b32_e32 v1, 0, v1, vcc
	v_cmp_nlt_f32_e32 vcc, s3, v7
	v_cndmask_b32_e32 v1, v26, v1, vcc
	v_add_f32_e32 v0, v0, v1
	v_ldexp_f32 v1, v2, v3
	v_mul_f32_e32 v2, 0x3fb8aa3b, v9
	v_fma_f32 v3, v9, s2, -v2
	v_rndne_f32_e32 v4, v2
	v_fmac_f32_e32 v3, 0x32a5705f, v9
	v_sub_f32_e32 v2, v2, v4
	v_add_f32_e32 v2, v2, v3
	v_exp_f32_e32 v2, v2
	v_cvt_i32_f32_e32 v3, v4
	v_cmp_ngt_f32_e32 vcc, s4, v8
	v_cndmask_b32_e32 v1, 0, v1, vcc
	v_cmp_nlt_f32_e32 vcc, s3, v8
	v_cndmask_b32_e32 v1, v26, v1, vcc
	v_add_f32_e32 v0, v0, v1
	v_ldexp_f32 v1, v2, v3
	v_mul_f32_e32 v2, 0x3fb8aa3b, v10
	v_fma_f32 v3, v10, s2, -v2
	v_rndne_f32_e32 v4, v2
	v_fmac_f32_e32 v3, 0x32a5705f, v10
	v_sub_f32_e32 v2, v2, v4
	v_add_f32_e32 v2, v2, v3
	v_exp_f32_e32 v2, v2
	v_cvt_i32_f32_e32 v3, v4
	v_cmp_ngt_f32_e32 vcc, s4, v9
	;; [unrolled: 14-line block ×4, first 2 shown]
	v_cndmask_b32_e32 v1, 0, v1, vcc
	v_cmp_nlt_f32_e32 vcc, s3, v11
	v_cndmask_b32_e32 v1, v26, v1, vcc
	v_add_f32_e32 v0, v0, v1
	v_ldexp_f32 v1, v2, v3
	v_sub_f32_e32 v2, v13, v27
	v_mul_f32_e32 v3, 0x3fb8aa3b, v2
	v_fma_f32 v4, v2, s2, -v3
	v_rndne_f32_e32 v5, v3
	v_fmac_f32_e32 v4, 0x32a5705f, v2
	v_sub_f32_e32 v3, v3, v5
	v_add_f32_e32 v3, v3, v4
	v_exp_f32_e32 v3, v3
	v_cvt_i32_f32_e32 v4, v5
	v_cmp_ngt_f32_e32 vcc, s4, v12
	v_cndmask_b32_e32 v1, 0, v1, vcc
	v_cmp_nlt_f32_e32 vcc, s3, v12
	v_cndmask_b32_e32 v1, v26, v1, vcc
	v_add_f32_e32 v0, v0, v1
	v_ldexp_f32 v1, v3, v4
	v_sub_f32_e32 v3, v14, v27
	v_mul_f32_e32 v4, 0x3fb8aa3b, v3
	v_fma_f32 v5, v3, s2, -v4
	v_rndne_f32_e32 v6, v4
	v_fmac_f32_e32 v5, 0x32a5705f, v3
	v_sub_f32_e32 v4, v4, v6
	v_add_f32_e32 v4, v4, v5
	v_exp_f32_e32 v4, v4
	v_cvt_i32_f32_e32 v5, v6
	v_cmp_ngt_f32_e32 vcc, s4, v2
	v_cndmask_b32_e32 v1, 0, v1, vcc
	v_cmp_nlt_f32_e32 vcc, s3, v2
	v_cndmask_b32_e32 v1, v26, v1, vcc
	v_sub_f32_e32 v2, v15, v27
	v_add_f32_e32 v0, v0, v1
	v_ldexp_f32 v1, v4, v5
	v_mul_f32_e32 v4, 0x3fb8aa3b, v2
	v_fma_f32 v5, v2, s2, -v4
	v_rndne_f32_e32 v6, v4
	v_fmac_f32_e32 v5, 0x32a5705f, v2
	v_sub_f32_e32 v4, v4, v6
	v_add_f32_e32 v4, v4, v5
	v_exp_f32_e32 v4, v4
	v_cvt_i32_f32_e32 v5, v6
	v_cmp_ngt_f32_e32 vcc, s4, v3
	v_cndmask_b32_e32 v1, 0, v1, vcc
	v_cmp_nlt_f32_e32 vcc, s3, v3
	v_cndmask_b32_e32 v1, v26, v1, vcc
	v_add_f32_e32 v0, v0, v1
	v_ldexp_f32 v1, v4, v5
	v_cmp_ngt_f32_e32 vcc, s4, v2
	v_cndmask_b32_e32 v1, 0, v1, vcc
	v_cmp_nlt_f32_e32 vcc, s3, v2
	v_cndmask_b32_e32 v1, v26, v1, vcc
	v_add_f32_e32 v0, v0, v1
	v_add_f32_e32 v0, v17, v0
	v_cmp_neq_f32_e32 vcc, 0, v0
	s_and_b64 exec, exec, vcc
	s_cbranch_execz .LBB257_19
; %bb.9:
	s_andn2_b64 vcc, exec, s[46:47]
	s_cbranch_vccnz .LBB257_19
; %bb.10:
	v_div_scale_f32 v1, s[0:1], v0, v0, 1.0
	v_rcp_f32_e32 v2, v1
	v_div_scale_f32 v3, vcc, 1.0, v0, 1.0
	s_cmp_gt_u32 s36, 3
	v_fma_f32 v4, -v1, v2, 1.0
	v_fmac_f32_e32 v2, v4, v2
	v_mul_f32_e32 v4, v3, v2
	v_fma_f32 v5, -v1, v4, v3
	v_fmac_f32_e32 v4, v5, v2
	v_fma_f32 v1, -v1, v4, v3
	v_div_fmas_f32 v1, v1, v2, v4
	v_div_fixup_f32 v0, v1, v0, 1.0
	v_ashrrev_i32_e32 v17, 31, v16
	s_cbranch_scc0 .LBB257_14
; %bb.11:
	v_lshlrev_b64 v[2:3], 2, v[16:17]
	v_mov_b32_e32 v4, s45
	v_add_co_u32_e32 v2, vcc, s44, v2
	v_addc_co_u32_e32 v3, vcc, v3, v4, vcc
	s_and_b32 s4, s36, 0x7ffffffc
	v_add_co_u32_e32 v2, vcc, 8, v2
	v_mov_b32_e32 v1, v0
	v_addc_co_u32_e32 v3, vcc, 0, v3, vcc
	s_mov_b32 s0, s4
.LBB257_12:                             ; =>This Inner Loop Header: Depth=1
	global_load_dwordx4 v[4:7], v[2:3], off offset:-8
	s_add_i32 s0, s0, -4
	s_cmp_lg_u32 s0, 0
	s_waitcnt vmcnt(0)
	v_pk_mul_f32 v[4:5], v[0:1], v[4:5]
	v_pk_mul_f32 v[6:7], v[0:1], v[6:7]
	global_store_dwordx4 v[2:3], v[4:7], off offset:-8
	v_add_co_u32_e32 v2, vcc, 16, v2
	v_addc_co_u32_e32 v3, vcc, 0, v3, vcc
	s_cbranch_scc1 .LBB257_12
; %bb.13:
	s_cmp_lg_u32 s4, s36
	s_cselect_b64 s[0:1], -1, 0
	s_branch .LBB257_16
.LBB257_14:
	s_mov_b64 s[0:1], 0
                                        ; implicit-def: $sgpr4
	s_cbranch_execz .LBB257_16
; %bb.15:
	s_mov_b64 s[0:1], -1
	s_mov_b32 s4, 0
.LBB257_16:
	s_andn2_b64 vcc, exec, s[0:1]
	s_cbranch_vccnz .LBB257_19
; %bb.17:
	v_add_co_u32_e32 v2, vcc, s4, v16
	v_addc_co_u32_e32 v3, vcc, 0, v17, vcc
	v_lshlrev_b64 v[2:3], 2, v[2:3]
	v_mov_b32_e32 v1, s45
	v_add_co_u32_e32 v2, vcc, s44, v2
	s_sub_i32 s0, s36, s4
	v_addc_co_u32_e32 v3, vcc, v1, v3, vcc
.LBB257_18:                             ; =>This Inner Loop Header: Depth=1
	global_load_dword v1, v[2:3], off
	s_add_i32 s0, s0, -1
	s_cmp_lg_u32 s0, 0
	s_waitcnt vmcnt(0)
	v_mul_f32_e32 v1, v0, v1
	global_store_dword v[2:3], v1, off
	v_add_co_u32_e32 v2, vcc, 4, v2
	v_addc_co_u32_e32 v3, vcc, 0, v3, vcc
	s_cbranch_scc1 .LBB257_18
.LBB257_19:
	s_endpgm
	.section	.rodata,"a",@progbits
	.p2align	6, 0x0
	.amdhsa_kernel _ZN4vllm3moe17topkGatingSoftmaxItLi16ELi16ELi8ELi32ELb0ELi8ELNS0_23SharedExpertScoringFuncE1EEEvPKT_PKbPfiPiS9_iiiiii
		.amdhsa_group_segment_fixed_size 0
		.amdhsa_private_segment_fixed_size 0
		.amdhsa_kernarg_size 72
		.amdhsa_user_sgpr_count 6
		.amdhsa_user_sgpr_private_segment_buffer 1
		.amdhsa_user_sgpr_dispatch_ptr 0
		.amdhsa_user_sgpr_queue_ptr 0
		.amdhsa_user_sgpr_kernarg_segment_ptr 1
		.amdhsa_user_sgpr_dispatch_id 0
		.amdhsa_user_sgpr_flat_scratch_init 0
		.amdhsa_user_sgpr_kernarg_preload_length 0
		.amdhsa_user_sgpr_kernarg_preload_offset 0
		.amdhsa_user_sgpr_private_segment_size 0
		.amdhsa_uses_dynamic_stack 0
		.amdhsa_system_sgpr_private_segment_wavefront_offset 0
		.amdhsa_system_sgpr_workgroup_id_x 1
		.amdhsa_system_sgpr_workgroup_id_y 0
		.amdhsa_system_sgpr_workgroup_id_z 0
		.amdhsa_system_sgpr_workgroup_info 0
		.amdhsa_system_vgpr_workitem_id 1
		.amdhsa_next_free_vgpr 34
		.amdhsa_next_free_sgpr 53
		.amdhsa_accum_offset 36
		.amdhsa_reserve_vcc 1
		.amdhsa_reserve_flat_scratch 0
		.amdhsa_float_round_mode_32 0
		.amdhsa_float_round_mode_16_64 0
		.amdhsa_float_denorm_mode_32 3
		.amdhsa_float_denorm_mode_16_64 3
		.amdhsa_dx10_clamp 1
		.amdhsa_ieee_mode 1
		.amdhsa_fp16_overflow 0
		.amdhsa_tg_split 0
		.amdhsa_exception_fp_ieee_invalid_op 0
		.amdhsa_exception_fp_denorm_src 0
		.amdhsa_exception_fp_ieee_div_zero 0
		.amdhsa_exception_fp_ieee_overflow 0
		.amdhsa_exception_fp_ieee_underflow 0
		.amdhsa_exception_fp_ieee_inexact 0
		.amdhsa_exception_int_div_zero 0
	.end_amdhsa_kernel
	.section	.text._ZN4vllm3moe17topkGatingSoftmaxItLi16ELi16ELi8ELi32ELb0ELi8ELNS0_23SharedExpertScoringFuncE1EEEvPKT_PKbPfiPiS9_iiiiii,"axG",@progbits,_ZN4vllm3moe17topkGatingSoftmaxItLi16ELi16ELi8ELi32ELb0ELi8ELNS0_23SharedExpertScoringFuncE1EEEvPKT_PKbPfiPiS9_iiiiii,comdat
.Lfunc_end257:
	.size	_ZN4vllm3moe17topkGatingSoftmaxItLi16ELi16ELi8ELi32ELb0ELi8ELNS0_23SharedExpertScoringFuncE1EEEvPKT_PKbPfiPiS9_iiiiii, .Lfunc_end257-_ZN4vllm3moe17topkGatingSoftmaxItLi16ELi16ELi8ELi32ELb0ELi8ELNS0_23SharedExpertScoringFuncE1EEEvPKT_PKbPfiPiS9_iiiiii
                                        ; -- End function
	.section	.AMDGPU.csdata,"",@progbits
; Kernel info:
; codeLenInByte = 5072
; NumSgprs: 57
; NumVgprs: 34
; NumAgprs: 0
; TotalNumVgprs: 34
; ScratchSize: 0
; MemoryBound: 0
; FloatMode: 240
; IeeeMode: 1
; LDSByteSize: 0 bytes/workgroup (compile time only)
; SGPRBlocks: 7
; VGPRBlocks: 4
; NumSGPRsForWavesPerEU: 57
; NumVGPRsForWavesPerEU: 34
; AccumOffset: 36
; Occupancy: 8
; WaveLimiterHint : 0
; COMPUTE_PGM_RSRC2:SCRATCH_EN: 0
; COMPUTE_PGM_RSRC2:USER_SGPR: 6
; COMPUTE_PGM_RSRC2:TRAP_HANDLER: 0
; COMPUTE_PGM_RSRC2:TGID_X_EN: 1
; COMPUTE_PGM_RSRC2:TGID_Y_EN: 0
; COMPUTE_PGM_RSRC2:TGID_Z_EN: 0
; COMPUTE_PGM_RSRC2:TIDIG_COMP_CNT: 1
; COMPUTE_PGM_RSRC3_GFX90A:ACCUM_OFFSET: 8
; COMPUTE_PGM_RSRC3_GFX90A:TG_SPLIT: 0
	.section	.text._ZN4vllm3moe17topkGatingSoftmaxItLi16ELi32ELi8ELi32ELb1ELi0ELNS0_23SharedExpertScoringFuncE0EEEvPKT_PKbPfiPiS9_iiiiii,"axG",@progbits,_ZN4vllm3moe17topkGatingSoftmaxItLi16ELi32ELi8ELi32ELb1ELi0ELNS0_23SharedExpertScoringFuncE0EEEvPKT_PKbPfiPiS9_iiiiii,comdat
	.protected	_ZN4vllm3moe17topkGatingSoftmaxItLi16ELi32ELi8ELi32ELb1ELi0ELNS0_23SharedExpertScoringFuncE0EEEvPKT_PKbPfiPiS9_iiiiii ; -- Begin function _ZN4vllm3moe17topkGatingSoftmaxItLi16ELi32ELi8ELi32ELb1ELi0ELNS0_23SharedExpertScoringFuncE0EEEvPKT_PKbPfiPiS9_iiiiii
	.globl	_ZN4vllm3moe17topkGatingSoftmaxItLi16ELi32ELi8ELi32ELb1ELi0ELNS0_23SharedExpertScoringFuncE0EEEvPKT_PKbPfiPiS9_iiiiii
	.p2align	8
	.type	_ZN4vllm3moe17topkGatingSoftmaxItLi16ELi32ELi8ELi32ELb1ELi0ELNS0_23SharedExpertScoringFuncE0EEEvPKT_PKbPfiPiS9_iiiiii,@function
_ZN4vllm3moe17topkGatingSoftmaxItLi16ELi32ELi8ELi32ELb1ELi0ELNS0_23SharedExpertScoringFuncE0EEEvPKT_PKbPfiPiS9_iiiiii: ; @_ZN4vllm3moe17topkGatingSoftmaxItLi16ELi32ELi8ELi32ELb1ELi0ELNS0_23SharedExpertScoringFuncE0EEEvPKT_PKbPfiPiS9_iiiiii
; %bb.0:
	s_load_dword s33, s[4:5], 0x18
	v_bfe_u32 v1, v0, 10, 10
	v_and_b32_e32 v0, 0x3ff, v0
	s_lshl_b32 s50, s6, 8
	v_lshlrev_b32_e32 v42, 5, v1
	v_lshrrev_b32_e32 v43, 1, v0
	v_add3_u32 v22, s50, v42, v43
	s_waitcnt lgkmcnt(0)
	v_cmp_gt_i32_e32 vcc, s33, v22
	s_and_saveexec_b64 s[0:1], vcc
	s_cbranch_execz .LBB258_27
; %bb.1:
	s_load_dwordx4 s[0:3], s[4:5], 0x0
	s_load_dwordx2 s[34:35], s[4:5], 0x10
	s_waitcnt lgkmcnt(0)
	s_cmp_eq_u64 s[2:3], 0
	s_cbranch_scc1 .LBB258_3
; %bb.2:
	v_ashrrev_i32_e32 v1, 31, v22
	v_mov_b32_e32 v3, s3
	v_add_co_u32_e32 v2, vcc, s2, v22
	v_addc_co_u32_e32 v3, vcc, v3, v1, vcc
	global_load_ubyte v1, v[2:3], off
	s_waitcnt vmcnt(0)
	v_and_b32_e32 v1, 1, v1
	v_cmp_eq_u32_e32 vcc, 1, v1
	s_xor_b64 s[2:3], vcc, -1
	s_orn2_b64 s[44:45], s[2:3], exec
	s_branch .LBB258_4
.LBB258_3:
	s_mov_b64 s[44:45], -1
.LBB258_4:
	s_load_dwordx2 s[8:9], s[4:5], 0x40
	s_load_dwordx4 s[36:39], s[4:5], 0x30
	v_mov_b32_e32 v1, s1
	v_and_b32_e32 v23, 1, v0
	v_lshlrev_b32_e32 v0, 5, v23
	s_waitcnt lgkmcnt(0)
	v_mul_lo_u32 v2, v22, s9
	v_ashrrev_i32_e32 v3, 31, v2
	v_lshlrev_b64 v[2:3], 1, v[2:3]
	v_add_co_u32_e32 v2, vcc, s0, v2
	v_addc_co_u32_e32 v1, vcc, v1, v3, vcc
	v_add_co_u32_e32 v8, vcc, v2, v0
	v_addc_co_u32_e32 v9, vcc, 0, v1, vcc
	global_load_dwordx4 v[4:7], v[8:9], off
	global_load_dwordx4 v[12:15], v[8:9], off offset:16
	v_lshlrev_b32_e32 v24, 4, v23
	v_or_b32_e32 v25, 1, v24
	v_or_b32_e32 v26, 2, v24
	;; [unrolled: 1-line block ×15, first 2 shown]
	s_cmp_gt_i32 s36, 0
	v_cmp_eq_u32_e32 vcc, 0, v23
	s_cselect_b64 s[46:47], -1, 0
	s_cmp_lt_i32 s36, 1
	v_mov_b32_e32 v40, 0
	s_waitcnt vmcnt(1)
	v_cvt_f32_u32_sdwa v1, v4 dst_sel:DWORD dst_unused:UNUSED_PAD src0_sel:WORD_1
	v_cvt_f32_u32_sdwa v0, v4 dst_sel:DWORD dst_unused:UNUSED_PAD src0_sel:WORD_0
	v_cvt_f32_u32_sdwa v2, v5 dst_sel:DWORD dst_unused:UNUSED_PAD src0_sel:WORD_0
	s_waitcnt vmcnt(0)
	v_cvt_f32_u32_sdwa v8, v12 dst_sel:DWORD dst_unused:UNUSED_PAD src0_sel:WORD_0
	v_cvt_f32_u32_sdwa v9, v12 dst_sel:DWORD dst_unused:UNUSED_PAD src0_sel:WORD_1
	v_cmp_lt_f32_e64 s[0:1], v0, v1
	v_cndmask_b32_e64 v4, v0, v1, s[0:1]
	v_cndmask_b32_e64 v3, v24, v25, s[0:1]
	v_cmp_lt_f32_e64 s[0:1], v4, v2
	v_cndmask_b32_e64 v10, v3, v26, s[0:1]
	v_cvt_f32_u32_sdwa v3, v5 dst_sel:DWORD dst_unused:UNUSED_PAD src0_sel:WORD_1
	v_cndmask_b32_e64 v4, v4, v2, s[0:1]
	v_cmp_lt_f32_e64 s[0:1], v4, v3
	v_cndmask_b32_e64 v5, v10, v27, s[0:1]
	v_cndmask_b32_e64 v10, v4, v3, s[0:1]
	v_cvt_f32_u32_sdwa v4, v6 dst_sel:DWORD dst_unused:UNUSED_PAD src0_sel:WORD_0
	v_cmp_lt_f32_e64 s[0:1], v10, v4
	v_cndmask_b32_e64 v11, v5, v28, s[0:1]
	v_cvt_f32_u32_sdwa v5, v6 dst_sel:DWORD dst_unused:UNUSED_PAD src0_sel:WORD_1
	v_cvt_f32_u32_sdwa v6, v7 dst_sel:DWORD dst_unused:UNUSED_PAD src0_sel:WORD_0
	v_cndmask_b32_e64 v10, v10, v4, s[0:1]
	v_cvt_f32_u32_sdwa v7, v7 dst_sel:DWORD dst_unused:UNUSED_PAD src0_sel:WORD_1
	v_cmp_lt_f32_e64 s[0:1], v10, v5
	v_cndmask_b32_e64 v10, v10, v5, s[0:1]
	v_cndmask_b32_e64 v11, v11, v29, s[0:1]
	v_cmp_lt_f32_e64 s[0:1], v10, v6
	v_cndmask_b32_e64 v10, v10, v6, s[0:1]
	v_cndmask_b32_e64 v11, v11, v30, s[0:1]
	;; [unrolled: 3-line block ×4, first 2 shown]
	v_cmp_lt_f32_e64 s[0:1], v10, v9
	v_cndmask_b32_e64 v12, v10, v9, s[0:1]
	v_cvt_f32_u32_sdwa v10, v13 dst_sel:DWORD dst_unused:UNUSED_PAD src0_sel:WORD_0
	v_cndmask_b32_e64 v11, v11, v33, s[0:1]
	v_cmp_lt_f32_e64 s[0:1], v12, v10
	v_cndmask_b32_e64 v16, v11, v34, s[0:1]
	v_cvt_f32_u32_sdwa v11, v13 dst_sel:DWORD dst_unused:UNUSED_PAD src0_sel:WORD_1
	v_cndmask_b32_e64 v12, v12, v10, s[0:1]
	v_cmp_lt_f32_e64 s[0:1], v12, v11
	v_cndmask_b32_e64 v13, v16, v35, s[0:1]
	v_cndmask_b32_e64 v16, v12, v11, s[0:1]
	v_cvt_f32_u32_sdwa v12, v14 dst_sel:DWORD dst_unused:UNUSED_PAD src0_sel:WORD_0
	v_cmp_lt_f32_e64 s[0:1], v16, v12
	v_cndmask_b32_e64 v17, v13, v36, s[0:1]
	v_cvt_f32_u32_sdwa v13, v14 dst_sel:DWORD dst_unused:UNUSED_PAD src0_sel:WORD_1
	v_cvt_f32_u32_sdwa v14, v15 dst_sel:DWORD dst_unused:UNUSED_PAD src0_sel:WORD_0
	v_cndmask_b32_e64 v16, v16, v12, s[0:1]
	v_cvt_f32_u32_sdwa v15, v15 dst_sel:DWORD dst_unused:UNUSED_PAD src0_sel:WORD_1
	v_cmp_lt_f32_e64 s[0:1], v16, v13
	v_cndmask_b32_e64 v16, v16, v13, s[0:1]
	v_cndmask_b32_e64 v17, v17, v37, s[0:1]
	v_cmp_lt_f32_e64 s[0:1], v16, v14
	v_cndmask_b32_e64 v18, v16, v14, s[0:1]
	v_cndmask_b32_e64 v17, v17, v38, s[0:1]
	v_cmp_lt_f32_e64 s[0:1], v18, v15
	v_cndmask_b32_e64 v16, v17, v39, s[0:1]
	v_cndmask_b32_e64 v17, v18, v15, s[0:1]
	s_nop 0
	v_mov_b32_dpp v18, v16 quad_perm:[1,0,3,2] row_mask:0xf bank_mask:0xf
	v_mov_b32_dpp v19, v17 quad_perm:[1,0,3,2] row_mask:0xf bank_mask:0xf
	s_cbranch_scc1 .LBB258_16
; %bb.5:
	s_load_dwordx4 s[40:43], s[4:5], 0x20
	v_cmp_eq_f32_e64 s[2:3], v17, v19
	v_cmp_lt_i32_e64 s[6:7], v18, v16
	v_cmp_lt_f32_e64 s[0:1], v17, v19
	s_and_b64 s[2:3], s[2:3], s[6:7]
	s_or_b64 s[0:1], s[0:1], s[2:3]
	v_cndmask_b32_e64 v44, v16, v18, s[0:1]
	v_cndmask_b32_e64 v41, v17, v19, s[0:1]
	v_mul_lo_u32 v20, v22, s39
	v_mul_lo_u32 v18, v22, s8
	;; [unrolled: 1-line block ×3, first 2 shown]
	v_mov_b32_e32 v40, 0
	s_and_saveexec_b64 s[4:5], vcc
	s_cbranch_execz .LBB258_7
; %bb.6:
	v_sub_f32_e32 v17, v41, v41
	v_mul_f32_e32 v19, 0x3fb8aa3b, v17
	s_mov_b32 s0, 0x3fb8aa3b
	v_rndne_f32_e32 v21, v19
	v_sub_f32_e32 v40, v19, v21
	v_fma_f32 v19, v17, s0, -v19
	v_fmac_f32_e32 v19, 0x32a5705f, v17
	v_add_f32_e32 v19, v40, v19
	v_exp_f32_e32 v19, v19
	v_cvt_i32_f32_e32 v21, v21
	v_cmp_le_i32_e64 s[0:1], s37, v44
	v_cmp_gt_i32_e64 s[2:3], s38, v44
	s_and_b64 s[2:3], s[0:1], s[2:3]
	s_mov_b32 s0, 0xc2ce8ed0
	v_ldexp_f32 v19, v19, v21
	v_cmp_ngt_f32_e64 s[0:1], s0, v17
	v_cndmask_b32_e64 v19, 0, v19, s[0:1]
	s_mov_b32 s0, 0x42b17218
	v_mov_b32_e32 v21, 0x7f800000
	v_cmp_nlt_f32_e64 s[0:1], s0, v17
	v_cndmask_b32_e64 v40, v21, v19, s[0:1]
	v_ashrrev_i32_e32 v21, 31, v20
	v_lshlrev_b64 v[46:47], 2, v[20:21]
	v_mov_b32_e32 v17, s35
	v_add_co_u32_e64 v46, s[0:1], s34, v46
	v_addc_co_u32_e64 v47, s[0:1], v17, v47, s[0:1]
	v_ashrrev_i32_e32 v19, 31, v18
	global_store_dword v[46:47], v40, off
	v_subrev_u32_e32 v17, s37, v44
	s_and_b64 s[0:1], s[44:45], s[2:3]
	v_lshlrev_b64 v[46:47], 2, v[18:19]
	v_cndmask_b32_e64 v17, 32, v17, s[0:1]
	s_waitcnt lgkmcnt(0)
	v_mov_b32_e32 v19, s41
	v_add_co_u32_e64 v46, s[0:1], s40, v46
	v_addc_co_u32_e64 v47, s[0:1], v19, v47, s[0:1]
	global_store_dword v[46:47], v17, off
	v_ashrrev_i32_e32 v17, 31, v16
	v_lshlrev_b64 v[46:47], 2, v[16:17]
	v_mov_b32_e32 v17, s43
	v_add_co_u32_e64 v46, s[0:1], s42, v46
	v_addc_co_u32_e64 v47, s[0:1], v17, v47, s[0:1]
	global_store_dword v[46:47], v22, off
.LBB258_7:
	s_or_b64 exec, exec, s[4:5]
	v_ashrrev_i32_e32 v19, 31, v44
	v_lshrrev_b32_e32 v17, 28, v19
	v_add_u32_e32 v21, v44, v17
	v_ashrrev_i32_e32 v17, 4, v21
	v_lshrrev_b32_e32 v21, 31, v21
	v_add_u32_e32 v21, v17, v21
	v_and_b32_e32 v21, -2, v21
	v_sub_u32_e32 v21, v17, v21
	v_cmp_eq_u32_e64 s[0:1], v23, v21
	s_and_saveexec_b64 s[48:49], s[0:1]
	s_cbranch_execz .LBB258_9
; %bb.8:
	v_lshrrev_b32_e32 v19, 27, v19
	v_add_u32_e32 v19, v44, v19
	v_lshlrev_b32_e32 v17, 4, v17
	v_sub_u32_e32 v17, v44, v17
	v_ashrrev_i32_e32 v19, 5, v19
	v_lshl_add_u32 v17, v19, 4, v17
	v_mov_b32_e32 v19, 0xff800000
	v_cmp_ne_u32_e64 s[0:1], 14, v17
	v_cmp_ne_u32_e64 s[2:3], 13, v17
	v_cmp_ne_u32_e64 s[4:5], 12, v17
	v_cmp_ne_u32_e64 s[6:7], 11, v17
	v_cmp_ne_u32_e64 s[8:9], 10, v17
	v_cmp_ne_u32_e64 s[10:11], 9, v17
	v_cmp_ne_u32_e64 s[12:13], 8, v17
	v_cmp_ne_u32_e64 s[14:15], 7, v17
	v_cmp_ne_u32_e64 s[16:17], 6, v17
	v_cmp_ne_u32_e64 s[18:19], 5, v17
	v_cmp_ne_u32_e64 s[20:21], 4, v17
	v_cmp_ne_u32_e64 s[22:23], 3, v17
	v_cmp_ne_u32_e64 s[24:25], 2, v17
	v_cmp_ne_u32_e64 s[26:27], 1, v17
	v_cmp_ne_u32_e64 s[28:29], 0, v17
	v_cmp_ne_u32_e64 s[30:31], 15, v17
	v_cndmask_b32_e64 v15, v19, v15, s[30:31]
	v_cndmask_b32_e64 v14, v19, v14, s[0:1]
	;; [unrolled: 1-line block ×16, first 2 shown]
.LBB258_9:
	s_or_b64 exec, exec, s[48:49]
	s_cmp_eq_u32 s36, 1
	s_cbranch_scc1 .LBB258_16
; %bb.10:
	s_add_i32 s50, s50, s33
	s_add_i32 s51, s36, -1
	v_add3_u32 v42, s50, v43, v42
	v_add_u32_e32 v16, 1, v16
	v_add_u32_e32 v18, 1, v18
	;; [unrolled: 1-line block ×3, first 2 shown]
	s_mov_b32 s50, 0x3fb8aa3b
	s_mov_b32 s52, 0xc2ce8ed0
	;; [unrolled: 1-line block ×3, first 2 shown]
	v_mov_b32_e32 v43, 0x7f800000
	v_mov_b32_e32 v44, 0xff800000
	s_branch .LBB258_12
.LBB258_11:                             ;   in Loop: Header=BB258_12 Depth=1
	s_or_b64 exec, exec, s[48:49]
	s_add_i32 s51, s51, -1
	v_add_u32_e32 v42, s33, v42
	v_add_u32_e32 v16, 1, v16
	;; [unrolled: 1-line block ×3, first 2 shown]
	s_cmp_eq_u32 s51, 0
	v_add_u32_e32 v20, 1, v20
	s_cbranch_scc1 .LBB258_16
.LBB258_12:                             ; =>This Inner Loop Header: Depth=1
	v_cmp_gt_f32_e64 s[0:1], v1, v0
	v_cndmask_b32_e64 v19, v0, v1, s[0:1]
	v_cndmask_b32_e64 v17, v24, v25, s[0:1]
	v_cmp_gt_f32_e64 s[0:1], v2, v19
	v_cndmask_b32_e64 v19, v19, v2, s[0:1]
	v_cndmask_b32_e64 v17, v17, v26, s[0:1]
	;; [unrolled: 3-line block ×15, first 2 shown]
	s_nop 0
	v_mov_b32_dpp v45, v21 quad_perm:[1,0,3,2] row_mask:0xf bank_mask:0xf
	v_mov_b32_dpp v19, v17 quad_perm:[1,0,3,2] row_mask:0xf bank_mask:0xf
	v_cmp_eq_f32_e64 s[2:3], v17, v19
	v_cmp_lt_i32_e64 s[4:5], v45, v21
	v_cmp_lt_f32_e64 s[0:1], v17, v19
	s_and_b64 s[2:3], s[2:3], s[4:5]
	s_or_b64 s[0:1], s[0:1], s[2:3]
	v_cndmask_b32_e64 v45, v21, v45, s[0:1]
	s_and_saveexec_b64 s[4:5], vcc
	s_cbranch_execz .LBB258_14
; %bb.13:                               ;   in Loop: Header=BB258_12 Depth=1
	v_cndmask_b32_e64 v17, v17, v19, s[0:1]
	v_sub_f32_e32 v17, v17, v41
	v_mul_f32_e32 v19, 0x3fb8aa3b, v17
	v_fma_f32 v21, v17, s50, -v19
	v_rndne_f32_e32 v46, v19
	v_fmac_f32_e32 v21, 0x32a5705f, v17
	v_sub_f32_e32 v19, v19, v46
	v_add_f32_e32 v19, v19, v21
	v_exp_f32_e32 v19, v19
	v_cvt_i32_f32_e32 v21, v46
	v_cmp_le_i32_e64 s[0:1], s37, v45
	v_cmp_gt_i32_e64 s[2:3], s38, v45
	s_and_b64 s[2:3], s[0:1], s[2:3]
	v_ldexp_f32 v19, v19, v21
	v_cmp_ngt_f32_e64 s[0:1], s52, v17
	v_ashrrev_i32_e32 v21, 31, v20
	v_cndmask_b32_e64 v19, 0, v19, s[0:1]
	v_cmp_nlt_f32_e64 s[0:1], s53, v17
	v_lshlrev_b64 v[46:47], 2, v[20:21]
	v_cndmask_b32_e64 v48, v43, v19, s[0:1]
	v_mov_b32_e32 v17, s35
	v_add_co_u32_e64 v46, s[0:1], s34, v46
	v_addc_co_u32_e64 v47, s[0:1], v17, v47, s[0:1]
	v_ashrrev_i32_e32 v19, 31, v18
	global_store_dword v[46:47], v48, off
	v_subrev_u32_e32 v17, s37, v45
	s_and_b64 s[0:1], s[44:45], s[2:3]
	v_lshlrev_b64 v[46:47], 2, v[18:19]
	v_cndmask_b32_e64 v17, 32, v17, s[0:1]
	s_waitcnt lgkmcnt(0)
	v_mov_b32_e32 v19, s41
	v_add_co_u32_e64 v46, s[0:1], s40, v46
	v_addc_co_u32_e64 v47, s[0:1], v19, v47, s[0:1]
	global_store_dword v[46:47], v17, off
	v_ashrrev_i32_e32 v17, 31, v16
	v_lshlrev_b64 v[46:47], 2, v[16:17]
	v_mov_b32_e32 v17, s43
	v_add_co_u32_e64 v46, s[0:1], s42, v46
	v_addc_co_u32_e64 v47, s[0:1], v17, v47, s[0:1]
	v_add_f32_e32 v40, v40, v48
	global_store_dword v[46:47], v42, off
.LBB258_14:                             ;   in Loop: Header=BB258_12 Depth=1
	s_or_b64 exec, exec, s[4:5]
	v_ashrrev_i32_e32 v19, 31, v45
	v_lshrrev_b32_e32 v17, 28, v19
	v_add_u32_e32 v21, v45, v17
	v_ashrrev_i32_e32 v17, 4, v21
	v_lshrrev_b32_e32 v21, 31, v21
	v_add_u32_e32 v21, v17, v21
	v_and_b32_e32 v21, -2, v21
	v_sub_u32_e32 v21, v17, v21
	v_cmp_eq_u32_e64 s[0:1], v23, v21
	s_and_saveexec_b64 s[48:49], s[0:1]
	s_cbranch_execz .LBB258_11
; %bb.15:                               ;   in Loop: Header=BB258_12 Depth=1
	v_lshrrev_b32_e32 v19, 27, v19
	v_add_u32_e32 v19, v45, v19
	v_lshlrev_b32_e32 v17, 4, v17
	v_sub_u32_e32 v17, v45, v17
	v_ashrrev_i32_e32 v19, 5, v19
	v_lshl_add_u32 v17, v19, 4, v17
	v_cmp_ne_u32_e64 s[0:1], 14, v17
	v_cmp_ne_u32_e64 s[2:3], 13, v17
	;; [unrolled: 1-line block ×16, first 2 shown]
	v_cndmask_b32_e64 v15, v44, v15, s[30:31]
	v_cndmask_b32_e64 v14, v44, v14, s[0:1]
	;; [unrolled: 1-line block ×16, first 2 shown]
	s_branch .LBB258_11
.LBB258_16:
	v_cmp_eq_u32_e32 vcc, 0, v23
	v_cmp_neq_f32_e64 s[0:1], 0, v40
	s_and_b64 s[0:1], vcc, s[0:1]
	s_and_b64 exec, exec, s[0:1]
	s_cbranch_execz .LBB258_27
; %bb.17:
	s_andn2_b64 vcc, exec, s[46:47]
	s_cbranch_vccnz .LBB258_27
; %bb.18:
	v_div_scale_f32 v0, s[0:1], v40, v40, 1.0
	v_rcp_f32_e32 v1, v0
	v_div_scale_f32 v2, vcc, 1.0, v40, 1.0
	s_cmp_gt_u32 s36, 3
	v_fma_f32 v3, -v0, v1, 1.0
	v_fmac_f32_e32 v1, v3, v1
	v_mul_f32_e32 v3, v2, v1
	v_fma_f32 v4, -v0, v3, v2
	v_fmac_f32_e32 v3, v4, v1
	v_fma_f32 v0, -v0, v3, v2
	v_div_fmas_f32 v0, v0, v1, v3
	v_mul_lo_u32 v2, v22, s39
	v_div_fixup_f32 v0, v0, v40, 1.0
	v_ashrrev_i32_e32 v3, 31, v2
	s_cbranch_scc0 .LBB258_22
; %bb.19:
	v_lshlrev_b64 v[4:5], 2, v[2:3]
	v_mov_b32_e32 v6, s35
	v_add_co_u32_e32 v4, vcc, s34, v4
	v_addc_co_u32_e32 v5, vcc, v5, v6, vcc
	s_and_b32 s4, s36, 0x7ffffffc
	v_add_co_u32_e32 v4, vcc, 8, v4
	v_mov_b32_e32 v1, v0
	v_addc_co_u32_e32 v5, vcc, 0, v5, vcc
	s_mov_b32 s0, s4
.LBB258_20:                             ; =>This Inner Loop Header: Depth=1
	global_load_dwordx4 v[6:9], v[4:5], off offset:-8
	s_add_i32 s0, s0, -4
	s_cmp_lg_u32 s0, 0
	s_waitcnt vmcnt(0)
	v_pk_mul_f32 v[6:7], v[0:1], v[6:7]
	v_pk_mul_f32 v[8:9], v[0:1], v[8:9]
	global_store_dwordx4 v[4:5], v[6:9], off offset:-8
	v_add_co_u32_e32 v4, vcc, 16, v4
	v_addc_co_u32_e32 v5, vcc, 0, v5, vcc
	s_cbranch_scc1 .LBB258_20
; %bb.21:
	s_cmp_lg_u32 s4, s36
	s_cselect_b64 s[0:1], -1, 0
	s_branch .LBB258_24
.LBB258_22:
	s_mov_b64 s[0:1], 0
                                        ; implicit-def: $sgpr4
	s_cbranch_execz .LBB258_24
; %bb.23:
	s_mov_b64 s[0:1], -1
	s_mov_b32 s4, 0
.LBB258_24:
	s_andn2_b64 vcc, exec, s[0:1]
	s_cbranch_vccnz .LBB258_27
; %bb.25:
	v_add_co_u32_e32 v2, vcc, s4, v2
	v_addc_co_u32_e32 v3, vcc, 0, v3, vcc
	v_lshlrev_b64 v[2:3], 2, v[2:3]
	v_mov_b32_e32 v1, s35
	v_add_co_u32_e32 v2, vcc, s34, v2
	s_sub_i32 s0, s36, s4
	v_addc_co_u32_e32 v3, vcc, v1, v3, vcc
.LBB258_26:                             ; =>This Inner Loop Header: Depth=1
	global_load_dword v1, v[2:3], off
	s_add_i32 s0, s0, -1
	s_cmp_lg_u32 s0, 0
	s_waitcnt vmcnt(0)
	v_mul_f32_e32 v1, v0, v1
	global_store_dword v[2:3], v1, off
	v_add_co_u32_e32 v2, vcc, 4, v2
	v_addc_co_u32_e32 v3, vcc, 0, v3, vcc
	s_cbranch_scc1 .LBB258_26
.LBB258_27:
	s_endpgm
	.section	.rodata,"a",@progbits
	.p2align	6, 0x0
	.amdhsa_kernel _ZN4vllm3moe17topkGatingSoftmaxItLi16ELi32ELi8ELi32ELb1ELi0ELNS0_23SharedExpertScoringFuncE0EEEvPKT_PKbPfiPiS9_iiiiii
		.amdhsa_group_segment_fixed_size 0
		.amdhsa_private_segment_fixed_size 0
		.amdhsa_kernarg_size 72
		.amdhsa_user_sgpr_count 6
		.amdhsa_user_sgpr_private_segment_buffer 1
		.amdhsa_user_sgpr_dispatch_ptr 0
		.amdhsa_user_sgpr_queue_ptr 0
		.amdhsa_user_sgpr_kernarg_segment_ptr 1
		.amdhsa_user_sgpr_dispatch_id 0
		.amdhsa_user_sgpr_flat_scratch_init 0
		.amdhsa_user_sgpr_kernarg_preload_length 0
		.amdhsa_user_sgpr_kernarg_preload_offset 0
		.amdhsa_user_sgpr_private_segment_size 0
		.amdhsa_uses_dynamic_stack 0
		.amdhsa_system_sgpr_private_segment_wavefront_offset 0
		.amdhsa_system_sgpr_workgroup_id_x 1
		.amdhsa_system_sgpr_workgroup_id_y 0
		.amdhsa_system_sgpr_workgroup_id_z 0
		.amdhsa_system_sgpr_workgroup_info 0
		.amdhsa_system_vgpr_workitem_id 1
		.amdhsa_next_free_vgpr 49
		.amdhsa_next_free_sgpr 54
		.amdhsa_accum_offset 52
		.amdhsa_reserve_vcc 1
		.amdhsa_reserve_flat_scratch 0
		.amdhsa_float_round_mode_32 0
		.amdhsa_float_round_mode_16_64 0
		.amdhsa_float_denorm_mode_32 3
		.amdhsa_float_denorm_mode_16_64 3
		.amdhsa_dx10_clamp 1
		.amdhsa_ieee_mode 1
		.amdhsa_fp16_overflow 0
		.amdhsa_tg_split 0
		.amdhsa_exception_fp_ieee_invalid_op 0
		.amdhsa_exception_fp_denorm_src 0
		.amdhsa_exception_fp_ieee_div_zero 0
		.amdhsa_exception_fp_ieee_overflow 0
		.amdhsa_exception_fp_ieee_underflow 0
		.amdhsa_exception_fp_ieee_inexact 0
		.amdhsa_exception_int_div_zero 0
	.end_amdhsa_kernel
	.section	.text._ZN4vllm3moe17topkGatingSoftmaxItLi16ELi32ELi8ELi32ELb1ELi0ELNS0_23SharedExpertScoringFuncE0EEEvPKT_PKbPfiPiS9_iiiiii,"axG",@progbits,_ZN4vllm3moe17topkGatingSoftmaxItLi16ELi32ELi8ELi32ELb1ELi0ELNS0_23SharedExpertScoringFuncE0EEEvPKT_PKbPfiPiS9_iiiiii,comdat
.Lfunc_end258:
	.size	_ZN4vllm3moe17topkGatingSoftmaxItLi16ELi32ELi8ELi32ELb1ELi0ELNS0_23SharedExpertScoringFuncE0EEEvPKT_PKbPfiPiS9_iiiiii, .Lfunc_end258-_ZN4vllm3moe17topkGatingSoftmaxItLi16ELi32ELi8ELi32ELb1ELi0ELNS0_23SharedExpertScoringFuncE0EEEvPKT_PKbPfiPiS9_iiiiii
                                        ; -- End function
	.section	.AMDGPU.csdata,"",@progbits
; Kernel info:
; codeLenInByte = 3028
; NumSgprs: 58
; NumVgprs: 49
; NumAgprs: 0
; TotalNumVgprs: 49
; ScratchSize: 0
; MemoryBound: 0
; FloatMode: 240
; IeeeMode: 1
; LDSByteSize: 0 bytes/workgroup (compile time only)
; SGPRBlocks: 7
; VGPRBlocks: 6
; NumSGPRsForWavesPerEU: 58
; NumVGPRsForWavesPerEU: 49
; AccumOffset: 52
; Occupancy: 8
; WaveLimiterHint : 0
; COMPUTE_PGM_RSRC2:SCRATCH_EN: 0
; COMPUTE_PGM_RSRC2:USER_SGPR: 6
; COMPUTE_PGM_RSRC2:TRAP_HANDLER: 0
; COMPUTE_PGM_RSRC2:TGID_X_EN: 1
; COMPUTE_PGM_RSRC2:TGID_Y_EN: 0
; COMPUTE_PGM_RSRC2:TGID_Z_EN: 0
; COMPUTE_PGM_RSRC2:TIDIG_COMP_CNT: 1
; COMPUTE_PGM_RSRC3_GFX90A:ACCUM_OFFSET: 12
; COMPUTE_PGM_RSRC3_GFX90A:TG_SPLIT: 0
	.section	.text._ZN4vllm3moe17topkGatingSoftmaxItLi16ELi32ELi8ELi32ELb0ELi0ELNS0_23SharedExpertScoringFuncE0EEEvPKT_PKbPfiPiS9_iiiiii,"axG",@progbits,_ZN4vllm3moe17topkGatingSoftmaxItLi16ELi32ELi8ELi32ELb0ELi0ELNS0_23SharedExpertScoringFuncE0EEEvPKT_PKbPfiPiS9_iiiiii,comdat
	.protected	_ZN4vllm3moe17topkGatingSoftmaxItLi16ELi32ELi8ELi32ELb0ELi0ELNS0_23SharedExpertScoringFuncE0EEEvPKT_PKbPfiPiS9_iiiiii ; -- Begin function _ZN4vllm3moe17topkGatingSoftmaxItLi16ELi32ELi8ELi32ELb0ELi0ELNS0_23SharedExpertScoringFuncE0EEEvPKT_PKbPfiPiS9_iiiiii
	.globl	_ZN4vllm3moe17topkGatingSoftmaxItLi16ELi32ELi8ELi32ELb0ELi0ELNS0_23SharedExpertScoringFuncE0EEEvPKT_PKbPfiPiS9_iiiiii
	.p2align	8
	.type	_ZN4vllm3moe17topkGatingSoftmaxItLi16ELi32ELi8ELi32ELb0ELi0ELNS0_23SharedExpertScoringFuncE0EEEvPKT_PKbPfiPiS9_iiiiii,@function
_ZN4vllm3moe17topkGatingSoftmaxItLi16ELi32ELi8ELi32ELb0ELi0ELNS0_23SharedExpertScoringFuncE0EEEvPKT_PKbPfiPiS9_iiiiii: ; @_ZN4vllm3moe17topkGatingSoftmaxItLi16ELi32ELi8ELi32ELb0ELi0ELNS0_23SharedExpertScoringFuncE0EEEvPKT_PKbPfiPiS9_iiiiii
; %bb.0:
	s_load_dword s33, s[4:5], 0x18
	v_bfe_u32 v1, v0, 10, 10
	v_and_b32_e32 v0, 0x3ff, v0
	s_lshl_b32 s50, s6, 8
	v_lshlrev_b32_e32 v42, 5, v1
	v_lshrrev_b32_e32 v43, 1, v0
	v_add3_u32 v22, s50, v42, v43
	s_waitcnt lgkmcnt(0)
	v_cmp_gt_i32_e32 vcc, s33, v22
	s_and_saveexec_b64 s[0:1], vcc
	s_cbranch_execz .LBB259_29
; %bb.1:
	s_load_dwordx4 s[0:3], s[4:5], 0x0
	s_load_dwordx2 s[34:35], s[4:5], 0x10
	s_waitcnt lgkmcnt(0)
	s_cmp_eq_u64 s[2:3], 0
	s_cbranch_scc1 .LBB259_3
; %bb.2:
	v_ashrrev_i32_e32 v1, 31, v22
	v_mov_b32_e32 v3, s3
	v_add_co_u32_e32 v2, vcc, s2, v22
	v_addc_co_u32_e32 v3, vcc, v3, v1, vcc
	global_load_ubyte v1, v[2:3], off
	s_waitcnt vmcnt(0)
	v_and_b32_e32 v1, 1, v1
	v_cmp_eq_u32_e32 vcc, 1, v1
	s_xor_b64 s[2:3], vcc, -1
	s_orn2_b64 s[46:47], s[2:3], exec
	s_branch .LBB259_4
.LBB259_3:
	s_mov_b64 s[46:47], -1
.LBB259_4:
	s_load_dwordx2 s[6:7], s[4:5], 0x40
	s_load_dwordx4 s[36:39], s[4:5], 0x30
	v_mov_b32_e32 v1, s1
	v_and_b32_e32 v23, 1, v0
	v_lshlrev_b32_e32 v0, 5, v23
	s_waitcnt lgkmcnt(0)
	v_mul_lo_u32 v2, v22, s7
	v_ashrrev_i32_e32 v3, 31, v2
	v_lshlrev_b64 v[2:3], 1, v[2:3]
	v_add_co_u32_e32 v2, vcc, s0, v2
	v_addc_co_u32_e32 v1, vcc, v1, v3, vcc
	v_add_co_u32_e32 v8, vcc, v2, v0
	v_addc_co_u32_e32 v9, vcc, 0, v1, vcc
	global_load_dwordx4 v[4:7], v[8:9], off
	global_load_dwordx4 v[12:15], v[8:9], off offset:16
	v_lshlrev_b32_e32 v26, 4, v23
	v_or_b32_e32 v27, 1, v26
	v_or_b32_e32 v28, 2, v26
	;; [unrolled: 1-line block ×15, first 2 shown]
	v_mov_b32_e32 v25, 0
	s_waitcnt vmcnt(1)
	v_cvt_f32_u32_sdwa v1, v4 dst_sel:DWORD dst_unused:UNUSED_PAD src0_sel:WORD_1
	v_cvt_f32_u32_sdwa v0, v4 dst_sel:DWORD dst_unused:UNUSED_PAD src0_sel:WORD_0
	v_cvt_f32_u32_sdwa v2, v5 dst_sel:DWORD dst_unused:UNUSED_PAD src0_sel:WORD_0
	s_waitcnt vmcnt(0)
	v_cvt_f32_u32_sdwa v8, v12 dst_sel:DWORD dst_unused:UNUSED_PAD src0_sel:WORD_0
	v_cvt_f32_u32_sdwa v9, v12 dst_sel:DWORD dst_unused:UNUSED_PAD src0_sel:WORD_1
	v_cmp_lt_f32_e32 vcc, v0, v1
	v_cndmask_b32_e32 v4, v0, v1, vcc
	v_cndmask_b32_e32 v3, v26, v27, vcc
	v_cmp_lt_f32_e32 vcc, v4, v2
	v_cndmask_b32_e32 v10, v3, v28, vcc
	v_cvt_f32_u32_sdwa v3, v5 dst_sel:DWORD dst_unused:UNUSED_PAD src0_sel:WORD_1
	v_cndmask_b32_e32 v4, v4, v2, vcc
	v_cmp_lt_f32_e32 vcc, v4, v3
	v_cndmask_b32_e32 v5, v10, v29, vcc
	v_cndmask_b32_e32 v10, v4, v3, vcc
	v_cvt_f32_u32_sdwa v4, v6 dst_sel:DWORD dst_unused:UNUSED_PAD src0_sel:WORD_0
	v_cmp_lt_f32_e32 vcc, v10, v4
	v_cndmask_b32_e32 v11, v5, v30, vcc
	v_cvt_f32_u32_sdwa v5, v6 dst_sel:DWORD dst_unused:UNUSED_PAD src0_sel:WORD_1
	v_cvt_f32_u32_sdwa v6, v7 dst_sel:DWORD dst_unused:UNUSED_PAD src0_sel:WORD_0
	v_cndmask_b32_e32 v10, v10, v4, vcc
	v_cvt_f32_u32_sdwa v7, v7 dst_sel:DWORD dst_unused:UNUSED_PAD src0_sel:WORD_1
	v_cmp_lt_f32_e32 vcc, v10, v5
	v_cndmask_b32_e32 v10, v10, v5, vcc
	v_cndmask_b32_e32 v11, v11, v31, vcc
	v_cmp_lt_f32_e32 vcc, v10, v6
	v_cndmask_b32_e32 v10, v10, v6, vcc
	v_cndmask_b32_e32 v11, v11, v32, vcc
	;; [unrolled: 3-line block ×4, first 2 shown]
	v_cmp_lt_f32_e32 vcc, v10, v9
	v_cndmask_b32_e32 v12, v10, v9, vcc
	v_cvt_f32_u32_sdwa v10, v13 dst_sel:DWORD dst_unused:UNUSED_PAD src0_sel:WORD_0
	v_cndmask_b32_e32 v11, v11, v35, vcc
	v_cmp_lt_f32_e32 vcc, v12, v10
	v_cndmask_b32_e32 v16, v11, v36, vcc
	v_cvt_f32_u32_sdwa v11, v13 dst_sel:DWORD dst_unused:UNUSED_PAD src0_sel:WORD_1
	v_cndmask_b32_e32 v12, v12, v10, vcc
	v_cmp_lt_f32_e32 vcc, v12, v11
	v_cndmask_b32_e32 v13, v16, v37, vcc
	v_cndmask_b32_e32 v16, v12, v11, vcc
	v_cvt_f32_u32_sdwa v12, v14 dst_sel:DWORD dst_unused:UNUSED_PAD src0_sel:WORD_0
	v_cmp_lt_f32_e32 vcc, v16, v12
	v_cndmask_b32_e32 v17, v13, v38, vcc
	v_cvt_f32_u32_sdwa v13, v14 dst_sel:DWORD dst_unused:UNUSED_PAD src0_sel:WORD_1
	v_cvt_f32_u32_sdwa v14, v15 dst_sel:DWORD dst_unused:UNUSED_PAD src0_sel:WORD_0
	v_cndmask_b32_e32 v16, v16, v12, vcc
	v_cvt_f32_u32_sdwa v15, v15 dst_sel:DWORD dst_unused:UNUSED_PAD src0_sel:WORD_1
	v_cmp_lt_f32_e32 vcc, v16, v13
	v_cndmask_b32_e32 v16, v16, v13, vcc
	v_cndmask_b32_e32 v17, v17, v39, vcc
	v_cmp_lt_f32_e32 vcc, v16, v14
	v_cndmask_b32_e32 v18, v16, v14, vcc
	v_cndmask_b32_e32 v17, v17, v40, vcc
	v_cmp_lt_f32_e32 vcc, v18, v15
	v_cndmask_b32_e32 v16, v17, v41, vcc
	v_cndmask_b32_e32 v18, v18, v15, vcc
	s_nop 0
	v_mov_b32_dpp v17, v16 quad_perm:[1,0,3,2] row_mask:0xf bank_mask:0xf
	v_mov_b32_dpp v19, v18 quad_perm:[1,0,3,2] row_mask:0xf bank_mask:0xf
	v_cmp_lt_i32_e32 vcc, v17, v16
	v_cmp_eq_f32_e64 s[2:3], v18, v19
	v_cmp_lt_f32_e64 s[0:1], v18, v19
	s_and_b64 s[2:3], s[2:3], vcc
	s_or_b64 s[0:1], s[0:1], s[2:3]
	s_cmp_gt_i32 s36, 0
	v_cndmask_b32_e64 v24, v18, v19, s[0:1]
	s_cselect_b64 s[44:45], -1, 0
	s_cmp_lt_i32 s36, 1
	v_cmp_eq_u32_e32 vcc, 0, v23
	s_cbranch_scc1 .LBB259_16
; %bb.5:
	s_load_dwordx4 s[40:43], s[4:5], 0x20
	v_cndmask_b32_e64 v44, v16, v17, s[0:1]
	v_mul_lo_u32 v20, v22, s39
	v_mul_lo_u32 v18, v22, s6
	v_mul_lo_u32 v16, v22, s36
	v_mov_b32_e32 v25, 0
	s_and_saveexec_b64 s[4:5], vcc
	s_cbranch_execz .LBB259_7
; %bb.6:
	v_sub_f32_e32 v17, v24, v24
	v_mul_f32_e32 v19, 0x3fb8aa3b, v17
	s_mov_b32 s0, 0x3fb8aa3b
	v_rndne_f32_e32 v21, v19
	v_sub_f32_e32 v25, v19, v21
	v_fma_f32 v19, v17, s0, -v19
	v_fmac_f32_e32 v19, 0x32a5705f, v17
	v_add_f32_e32 v19, v25, v19
	v_exp_f32_e32 v19, v19
	v_cvt_i32_f32_e32 v21, v21
	v_cmp_le_i32_e64 s[0:1], s37, v44
	v_cmp_gt_i32_e64 s[2:3], s38, v44
	s_and_b64 s[2:3], s[0:1], s[2:3]
	s_mov_b32 s0, 0xc2ce8ed0
	v_ldexp_f32 v19, v19, v21
	v_cmp_ngt_f32_e64 s[0:1], s0, v17
	v_cndmask_b32_e64 v19, 0, v19, s[0:1]
	s_mov_b32 s0, 0x42b17218
	v_mov_b32_e32 v21, 0x7f800000
	v_cmp_nlt_f32_e64 s[0:1], s0, v17
	v_cndmask_b32_e64 v25, v21, v19, s[0:1]
	v_ashrrev_i32_e32 v21, 31, v20
	v_lshlrev_b64 v[46:47], 2, v[20:21]
	v_mov_b32_e32 v17, s35
	v_add_co_u32_e64 v46, s[0:1], s34, v46
	v_addc_co_u32_e64 v47, s[0:1], v17, v47, s[0:1]
	v_ashrrev_i32_e32 v19, 31, v18
	global_store_dword v[46:47], v25, off
	v_subrev_u32_e32 v17, s37, v44
	s_and_b64 s[0:1], s[46:47], s[2:3]
	v_lshlrev_b64 v[46:47], 2, v[18:19]
	v_cndmask_b32_e64 v17, 32, v17, s[0:1]
	s_waitcnt lgkmcnt(0)
	v_mov_b32_e32 v19, s41
	v_add_co_u32_e64 v46, s[0:1], s40, v46
	v_addc_co_u32_e64 v47, s[0:1], v19, v47, s[0:1]
	global_store_dword v[46:47], v17, off
	v_ashrrev_i32_e32 v17, 31, v16
	v_lshlrev_b64 v[46:47], 2, v[16:17]
	v_mov_b32_e32 v17, s43
	v_add_co_u32_e64 v46, s[0:1], s42, v46
	v_addc_co_u32_e64 v47, s[0:1], v17, v47, s[0:1]
	global_store_dword v[46:47], v22, off
.LBB259_7:
	s_or_b64 exec, exec, s[4:5]
	v_ashrrev_i32_e32 v19, 31, v44
	v_lshrrev_b32_e32 v17, 28, v19
	v_add_u32_e32 v21, v44, v17
	v_ashrrev_i32_e32 v17, 4, v21
	v_lshrrev_b32_e32 v21, 31, v21
	v_add_u32_e32 v21, v17, v21
	v_and_b32_e32 v21, -2, v21
	v_sub_u32_e32 v21, v17, v21
	v_cmp_eq_u32_e64 s[0:1], v23, v21
	s_and_saveexec_b64 s[48:49], s[0:1]
	s_cbranch_execz .LBB259_9
; %bb.8:
	v_lshrrev_b32_e32 v19, 27, v19
	v_add_u32_e32 v19, v44, v19
	v_lshlrev_b32_e32 v17, 4, v17
	v_sub_u32_e32 v17, v44, v17
	v_ashrrev_i32_e32 v19, 5, v19
	v_lshl_add_u32 v17, v19, 4, v17
	v_mov_b32_e32 v19, 0xff800000
	v_cmp_ne_u32_e64 s[0:1], 14, v17
	v_cmp_ne_u32_e64 s[2:3], 13, v17
	v_cmp_ne_u32_e64 s[4:5], 12, v17
	v_cmp_ne_u32_e64 s[6:7], 11, v17
	v_cmp_ne_u32_e64 s[8:9], 10, v17
	v_cmp_ne_u32_e64 s[10:11], 9, v17
	v_cmp_ne_u32_e64 s[12:13], 8, v17
	v_cmp_ne_u32_e64 s[14:15], 7, v17
	v_cmp_ne_u32_e64 s[16:17], 6, v17
	v_cmp_ne_u32_e64 s[18:19], 5, v17
	v_cmp_ne_u32_e64 s[20:21], 4, v17
	v_cmp_ne_u32_e64 s[22:23], 3, v17
	v_cmp_ne_u32_e64 s[24:25], 2, v17
	v_cmp_ne_u32_e64 s[26:27], 1, v17
	v_cmp_ne_u32_e64 s[28:29], 0, v17
	v_cmp_ne_u32_e64 s[30:31], 15, v17
	v_cndmask_b32_e64 v15, v19, v15, s[30:31]
	v_cndmask_b32_e64 v14, v19, v14, s[0:1]
	;; [unrolled: 1-line block ×16, first 2 shown]
.LBB259_9:
	s_or_b64 exec, exec, s[48:49]
	s_cmp_eq_u32 s36, 1
	s_cbranch_scc1 .LBB259_16
; %bb.10:
	s_add_i32 s50, s50, s33
	s_add_i32 s51, s36, -1
	v_add3_u32 v42, s50, v43, v42
	v_add_u32_e32 v16, 1, v16
	v_add_u32_e32 v18, 1, v18
	;; [unrolled: 1-line block ×3, first 2 shown]
	s_mov_b32 s50, 0x3fb8aa3b
	s_mov_b32 s52, 0xc2ce8ed0
	;; [unrolled: 1-line block ×3, first 2 shown]
	v_mov_b32_e32 v43, 0x7f800000
	v_mov_b32_e32 v44, 0xff800000
	s_branch .LBB259_12
.LBB259_11:                             ;   in Loop: Header=BB259_12 Depth=1
	s_or_b64 exec, exec, s[48:49]
	s_add_i32 s51, s51, -1
	v_add_u32_e32 v42, s33, v42
	v_add_u32_e32 v16, 1, v16
	;; [unrolled: 1-line block ×3, first 2 shown]
	s_cmp_eq_u32 s51, 0
	v_add_u32_e32 v20, 1, v20
	s_cbranch_scc1 .LBB259_16
.LBB259_12:                             ; =>This Inner Loop Header: Depth=1
	v_cmp_gt_f32_e64 s[0:1], v1, v0
	v_cndmask_b32_e64 v19, v0, v1, s[0:1]
	v_cndmask_b32_e64 v17, v26, v27, s[0:1]
	v_cmp_gt_f32_e64 s[0:1], v2, v19
	v_cndmask_b32_e64 v19, v19, v2, s[0:1]
	v_cndmask_b32_e64 v17, v17, v28, s[0:1]
	;; [unrolled: 3-line block ×15, first 2 shown]
	s_nop 0
	v_mov_b32_dpp v45, v21 quad_perm:[1,0,3,2] row_mask:0xf bank_mask:0xf
	v_mov_b32_dpp v19, v17 quad_perm:[1,0,3,2] row_mask:0xf bank_mask:0xf
	v_cmp_eq_f32_e64 s[2:3], v17, v19
	v_cmp_lt_i32_e64 s[4:5], v45, v21
	v_cmp_lt_f32_e64 s[0:1], v17, v19
	s_and_b64 s[2:3], s[2:3], s[4:5]
	s_or_b64 s[0:1], s[0:1], s[2:3]
	v_cndmask_b32_e64 v45, v21, v45, s[0:1]
	s_and_saveexec_b64 s[4:5], vcc
	s_cbranch_execz .LBB259_14
; %bb.13:                               ;   in Loop: Header=BB259_12 Depth=1
	v_cndmask_b32_e64 v17, v17, v19, s[0:1]
	v_sub_f32_e32 v17, v17, v24
	v_mul_f32_e32 v19, 0x3fb8aa3b, v17
	v_fma_f32 v21, v17, s50, -v19
	v_rndne_f32_e32 v46, v19
	v_fmac_f32_e32 v21, 0x32a5705f, v17
	v_sub_f32_e32 v19, v19, v46
	v_add_f32_e32 v19, v19, v21
	v_exp_f32_e32 v19, v19
	v_cvt_i32_f32_e32 v21, v46
	v_cmp_le_i32_e64 s[0:1], s37, v45
	v_cmp_gt_i32_e64 s[2:3], s38, v45
	s_and_b64 s[2:3], s[0:1], s[2:3]
	v_ldexp_f32 v19, v19, v21
	v_cmp_ngt_f32_e64 s[0:1], s52, v17
	v_ashrrev_i32_e32 v21, 31, v20
	v_cndmask_b32_e64 v19, 0, v19, s[0:1]
	v_cmp_nlt_f32_e64 s[0:1], s53, v17
	v_lshlrev_b64 v[46:47], 2, v[20:21]
	v_cndmask_b32_e64 v48, v43, v19, s[0:1]
	v_mov_b32_e32 v17, s35
	v_add_co_u32_e64 v46, s[0:1], s34, v46
	v_addc_co_u32_e64 v47, s[0:1], v17, v47, s[0:1]
	v_ashrrev_i32_e32 v19, 31, v18
	global_store_dword v[46:47], v48, off
	v_subrev_u32_e32 v17, s37, v45
	s_and_b64 s[0:1], s[46:47], s[2:3]
	v_lshlrev_b64 v[46:47], 2, v[18:19]
	v_cndmask_b32_e64 v17, 32, v17, s[0:1]
	s_waitcnt lgkmcnt(0)
	v_mov_b32_e32 v19, s41
	v_add_co_u32_e64 v46, s[0:1], s40, v46
	v_addc_co_u32_e64 v47, s[0:1], v19, v47, s[0:1]
	global_store_dword v[46:47], v17, off
	v_ashrrev_i32_e32 v17, 31, v16
	v_lshlrev_b64 v[46:47], 2, v[16:17]
	v_mov_b32_e32 v17, s43
	v_add_co_u32_e64 v46, s[0:1], s42, v46
	v_addc_co_u32_e64 v47, s[0:1], v17, v47, s[0:1]
	v_add_f32_e32 v25, v25, v48
	global_store_dword v[46:47], v42, off
.LBB259_14:                             ;   in Loop: Header=BB259_12 Depth=1
	s_or_b64 exec, exec, s[4:5]
	v_ashrrev_i32_e32 v19, 31, v45
	v_lshrrev_b32_e32 v17, 28, v19
	v_add_u32_e32 v21, v45, v17
	v_ashrrev_i32_e32 v17, 4, v21
	v_lshrrev_b32_e32 v21, 31, v21
	v_add_u32_e32 v21, v17, v21
	v_and_b32_e32 v21, -2, v21
	v_sub_u32_e32 v21, v17, v21
	v_cmp_eq_u32_e64 s[0:1], v23, v21
	s_and_saveexec_b64 s[48:49], s[0:1]
	s_cbranch_execz .LBB259_11
; %bb.15:                               ;   in Loop: Header=BB259_12 Depth=1
	v_lshrrev_b32_e32 v19, 27, v19
	v_add_u32_e32 v19, v45, v19
	v_lshlrev_b32_e32 v17, 4, v17
	v_sub_u32_e32 v17, v45, v17
	v_ashrrev_i32_e32 v19, 5, v19
	v_lshl_add_u32 v17, v19, 4, v17
	v_cmp_ne_u32_e64 s[0:1], 14, v17
	v_cmp_ne_u32_e64 s[2:3], 13, v17
	;; [unrolled: 1-line block ×16, first 2 shown]
	v_cndmask_b32_e64 v15, v44, v15, s[30:31]
	v_cndmask_b32_e64 v14, v44, v14, s[0:1]
	;; [unrolled: 1-line block ×16, first 2 shown]
	s_branch .LBB259_11
.LBB259_16:
	v_sub_f32_e32 v0, v0, v24
	s_mov_b32 s2, 0x3fb8aa3b
	v_mul_f32_e32 v16, 0x3fb8aa3b, v0
	v_fma_f32 v17, v0, s2, -v16
	v_rndne_f32_e32 v18, v16
	v_fmac_f32_e32 v17, 0x32a5705f, v0
	v_sub_f32_e32 v16, v16, v18
	v_add_f32_e32 v16, v16, v17
	v_exp_f32_e32 v16, v16
	v_cvt_i32_f32_e32 v17, v18
	v_sub_f32_e32 v1, v1, v24
	s_mov_b32 s4, 0xc2ce8ed0
	s_mov_b32 s3, 0x42b17218
	v_ldexp_f32 v16, v16, v17
	v_mul_f32_e32 v17, 0x3fb8aa3b, v1
	v_fma_f32 v18, v1, s2, -v17
	v_rndne_f32_e32 v19, v17
	v_fmac_f32_e32 v18, 0x32a5705f, v1
	v_sub_f32_e32 v17, v17, v19
	v_add_f32_e32 v17, v17, v18
	v_exp_f32_e32 v17, v17
	v_cvt_i32_f32_e32 v18, v19
	v_cmp_ngt_f32_e32 vcc, s4, v1
	v_cmp_ngt_f32_e64 s[0:1], s4, v0
	v_sub_f32_e32 v2, v2, v24
	v_ldexp_f32 v17, v17, v18
	v_cndmask_b32_e32 v17, 0, v17, vcc
	v_mov_b32_e32 v18, 0x7f800000
	v_cmp_nlt_f32_e32 vcc, s3, v1
	v_cndmask_b32_e64 v1, 0, v16, s[0:1]
	v_cmp_nlt_f32_e64 s[0:1], s3, v0
	v_cndmask_b32_e64 v0, v18, v1, s[0:1]
	v_cndmask_b32_e32 v1, v18, v17, vcc
	v_add_f32_e32 v0, v0, v1
	v_mul_f32_e32 v1, 0x3fb8aa3b, v2
	v_fma_f32 v16, v2, s2, -v1
	v_rndne_f32_e32 v17, v1
	v_fmac_f32_e32 v16, 0x32a5705f, v2
	v_sub_f32_e32 v1, v1, v17
	v_add_f32_e32 v1, v1, v16
	v_exp_f32_e32 v1, v1
	v_cvt_i32_f32_e32 v16, v17
	v_cmp_ngt_f32_e32 vcc, s4, v2
	v_sub_f32_e32 v3, v3, v24
	v_sub_f32_e32 v4, v4, v24
	v_ldexp_f32 v1, v1, v16
	v_cndmask_b32_e32 v1, 0, v1, vcc
	v_cmp_nlt_f32_e32 vcc, s3, v2
	v_cndmask_b32_e32 v1, v18, v1, vcc
	v_add_f32_e32 v0, v0, v1
	v_mul_f32_e32 v1, 0x3fb8aa3b, v3
	v_fma_f32 v2, v3, s2, -v1
	v_rndne_f32_e32 v16, v1
	v_fmac_f32_e32 v2, 0x32a5705f, v3
	v_sub_f32_e32 v1, v1, v16
	v_add_f32_e32 v1, v1, v2
	v_exp_f32_e32 v1, v1
	v_cvt_i32_f32_e32 v2, v16
	v_cmp_ngt_f32_e32 vcc, s4, v3
	v_sub_f32_e32 v5, v5, v24
	v_sub_f32_e32 v6, v6, v24
	v_ldexp_f32 v1, v1, v2
	v_cndmask_b32_e32 v1, 0, v1, vcc
	v_cmp_nlt_f32_e32 vcc, s3, v3
	;; [unrolled: 16-line block ×5, first 2 shown]
	v_cndmask_b32_e32 v1, v18, v1, vcc
	v_add_f32_e32 v0, v0, v1
	v_mul_f32_e32 v1, 0x3fb8aa3b, v7
	v_fma_f32 v2, v7, s2, -v1
	v_rndne_f32_e32 v3, v1
	v_fmac_f32_e32 v2, 0x32a5705f, v7
	v_sub_f32_e32 v1, v1, v3
	v_add_f32_e32 v1, v1, v2
	v_exp_f32_e32 v1, v1
	v_cvt_i32_f32_e32 v2, v3
	v_cmp_ngt_f32_e32 vcc, s4, v7
	v_ldexp_f32 v1, v1, v2
	v_mul_f32_e32 v2, 0x3fb8aa3b, v8
	v_fma_f32 v3, v8, s2, -v2
	v_rndne_f32_e32 v4, v2
	v_fmac_f32_e32 v3, 0x32a5705f, v8
	v_sub_f32_e32 v2, v2, v4
	v_add_f32_e32 v2, v2, v3
	v_exp_f32_e32 v2, v2
	v_cvt_i32_f32_e32 v3, v4
	v_cndmask_b32_e32 v1, 0, v1, vcc
	v_cmp_nlt_f32_e32 vcc, s3, v7
	v_cndmask_b32_e32 v1, v18, v1, vcc
	v_add_f32_e32 v0, v0, v1
	v_ldexp_f32 v1, v2, v3
	v_mul_f32_e32 v2, 0x3fb8aa3b, v9
	v_fma_f32 v3, v9, s2, -v2
	v_rndne_f32_e32 v4, v2
	v_fmac_f32_e32 v3, 0x32a5705f, v9
	v_sub_f32_e32 v2, v2, v4
	v_add_f32_e32 v2, v2, v3
	v_exp_f32_e32 v2, v2
	v_cvt_i32_f32_e32 v3, v4
	v_cmp_ngt_f32_e32 vcc, s4, v8
	v_cndmask_b32_e32 v1, 0, v1, vcc
	v_cmp_nlt_f32_e32 vcc, s3, v8
	v_cndmask_b32_e32 v1, v18, v1, vcc
	v_add_f32_e32 v0, v0, v1
	v_ldexp_f32 v1, v2, v3
	v_mul_f32_e32 v2, 0x3fb8aa3b, v10
	v_fma_f32 v3, v10, s2, -v2
	v_rndne_f32_e32 v4, v2
	v_fmac_f32_e32 v3, 0x32a5705f, v10
	v_sub_f32_e32 v2, v2, v4
	v_add_f32_e32 v2, v2, v3
	v_exp_f32_e32 v2, v2
	v_cvt_i32_f32_e32 v3, v4
	v_cmp_ngt_f32_e32 vcc, s4, v9
	v_cndmask_b32_e32 v1, 0, v1, vcc
	v_cmp_nlt_f32_e32 vcc, s3, v9
	v_cndmask_b32_e32 v1, v18, v1, vcc
	v_add_f32_e32 v0, v0, v1
	v_ldexp_f32 v1, v2, v3
	v_mul_f32_e32 v2, 0x3fb8aa3b, v11
	v_fma_f32 v3, v11, s2, -v2
	v_rndne_f32_e32 v4, v2
	v_fmac_f32_e32 v3, 0x32a5705f, v11
	v_sub_f32_e32 v2, v2, v4
	v_add_f32_e32 v2, v2, v3
	v_exp_f32_e32 v2, v2
	v_cvt_i32_f32_e32 v3, v4
	v_cmp_ngt_f32_e32 vcc, s4, v10
	v_cndmask_b32_e32 v1, 0, v1, vcc
	v_cmp_nlt_f32_e32 vcc, s3, v10
	v_cndmask_b32_e32 v1, v18, v1, vcc
	v_add_f32_e32 v0, v0, v1
	v_ldexp_f32 v1, v2, v3
	v_mul_f32_e32 v2, 0x3fb8aa3b, v12
	v_fma_f32 v3, v12, s2, -v2
	v_rndne_f32_e32 v4, v2
	v_fmac_f32_e32 v3, 0x32a5705f, v12
	v_sub_f32_e32 v2, v2, v4
	v_add_f32_e32 v2, v2, v3
	v_exp_f32_e32 v2, v2
	v_cvt_i32_f32_e32 v3, v4
	v_cmp_ngt_f32_e32 vcc, s4, v11
	v_cndmask_b32_e32 v1, 0, v1, vcc
	v_cmp_nlt_f32_e32 vcc, s3, v11
	v_cndmask_b32_e32 v1, v18, v1, vcc
	v_add_f32_e32 v0, v0, v1
	v_ldexp_f32 v1, v2, v3
	v_sub_f32_e32 v2, v13, v24
	v_mul_f32_e32 v3, 0x3fb8aa3b, v2
	v_fma_f32 v4, v2, s2, -v3
	v_rndne_f32_e32 v5, v3
	v_fmac_f32_e32 v4, 0x32a5705f, v2
	v_sub_f32_e32 v3, v3, v5
	v_add_f32_e32 v3, v3, v4
	v_exp_f32_e32 v3, v3
	v_cvt_i32_f32_e32 v4, v5
	v_cmp_ngt_f32_e32 vcc, s4, v12
	v_cndmask_b32_e32 v1, 0, v1, vcc
	v_cmp_nlt_f32_e32 vcc, s3, v12
	v_cndmask_b32_e32 v1, v18, v1, vcc
	v_add_f32_e32 v0, v0, v1
	v_ldexp_f32 v1, v3, v4
	v_sub_f32_e32 v3, v14, v24
	v_mul_f32_e32 v4, 0x3fb8aa3b, v3
	v_fma_f32 v5, v3, s2, -v4
	v_rndne_f32_e32 v6, v4
	v_fmac_f32_e32 v5, 0x32a5705f, v3
	v_sub_f32_e32 v4, v4, v6
	v_add_f32_e32 v4, v4, v5
	v_exp_f32_e32 v4, v4
	v_cvt_i32_f32_e32 v5, v6
	v_cmp_ngt_f32_e32 vcc, s4, v2
	v_cndmask_b32_e32 v1, 0, v1, vcc
	v_cmp_nlt_f32_e32 vcc, s3, v2
	v_cndmask_b32_e32 v1, v18, v1, vcc
	v_sub_f32_e32 v2, v15, v24
	v_add_f32_e32 v0, v0, v1
	v_ldexp_f32 v1, v4, v5
	v_mul_f32_e32 v4, 0x3fb8aa3b, v2
	v_fma_f32 v5, v2, s2, -v4
	v_rndne_f32_e32 v6, v4
	v_fmac_f32_e32 v5, 0x32a5705f, v2
	v_sub_f32_e32 v4, v4, v6
	v_add_f32_e32 v4, v4, v5
	v_exp_f32_e32 v4, v4
	v_cvt_i32_f32_e32 v5, v6
	v_cmp_ngt_f32_e32 vcc, s4, v3
	v_cndmask_b32_e32 v1, 0, v1, vcc
	v_cmp_nlt_f32_e32 vcc, s3, v3
	v_cndmask_b32_e32 v1, v18, v1, vcc
	v_add_f32_e32 v0, v0, v1
	v_ldexp_f32 v1, v4, v5
	v_cmp_ngt_f32_e32 vcc, s4, v2
	v_cndmask_b32_e32 v1, 0, v1, vcc
	v_cmp_nlt_f32_e32 vcc, s3, v2
	v_cndmask_b32_e32 v1, v18, v1, vcc
	v_add_f32_e32 v0, v0, v1
	v_cmp_eq_u32_e32 vcc, 0, v23
	s_nop 0
	v_mov_b32_dpp v1, v0 quad_perm:[1,0,3,2] row_mask:0xf bank_mask:0xf
	s_and_b64 exec, exec, vcc
	s_cbranch_execz .LBB259_29
; %bb.17:
	v_add_f32_e32 v0, v0, v1
	v_add_f32_e32 v0, v25, v0
	v_cmp_neq_f32_e32 vcc, 0, v0
	s_and_b64 exec, exec, vcc
	s_cbranch_execz .LBB259_29
; %bb.18:
	s_andn2_b64 vcc, exec, s[44:45]
	s_cbranch_vccnz .LBB259_29
; %bb.19:
	v_div_scale_f32 v1, s[0:1], v0, v0, 1.0
	v_rcp_f32_e32 v2, v1
	v_div_scale_f32 v3, vcc, 1.0, v0, 1.0
	s_cmp_gt_u32 s36, 3
	v_fma_f32 v4, -v1, v2, 1.0
	v_fmac_f32_e32 v2, v4, v2
	v_mul_f32_e32 v4, v3, v2
	v_fma_f32 v5, -v1, v4, v3
	v_fmac_f32_e32 v4, v5, v2
	v_fma_f32 v1, -v1, v4, v3
	v_div_fmas_f32 v1, v1, v2, v4
	v_mul_lo_u32 v2, v22, s39
	v_div_fixup_f32 v0, v1, v0, 1.0
	v_ashrrev_i32_e32 v3, 31, v2
	s_cbranch_scc0 .LBB259_23
; %bb.20:
	v_lshlrev_b64 v[4:5], 2, v[2:3]
	v_mov_b32_e32 v6, s35
	v_add_co_u32_e32 v4, vcc, s34, v4
	v_addc_co_u32_e32 v5, vcc, v5, v6, vcc
	s_and_b32 s4, s36, 0x7ffffffc
	v_add_co_u32_e32 v4, vcc, 8, v4
	v_mov_b32_e32 v1, v0
	v_addc_co_u32_e32 v5, vcc, 0, v5, vcc
	s_mov_b32 s0, s4
.LBB259_21:                             ; =>This Inner Loop Header: Depth=1
	global_load_dwordx4 v[6:9], v[4:5], off offset:-8
	s_add_i32 s0, s0, -4
	s_cmp_lg_u32 s0, 0
	s_waitcnt vmcnt(0)
	v_pk_mul_f32 v[6:7], v[0:1], v[6:7]
	v_pk_mul_f32 v[8:9], v[0:1], v[8:9]
	global_store_dwordx4 v[4:5], v[6:9], off offset:-8
	v_add_co_u32_e32 v4, vcc, 16, v4
	v_addc_co_u32_e32 v5, vcc, 0, v5, vcc
	s_cbranch_scc1 .LBB259_21
; %bb.22:
	s_cmp_lg_u32 s4, s36
	s_mov_b64 s[2:3], 0
	s_cselect_b64 s[0:1], -1, 0
	s_branch .LBB259_24
.LBB259_23:
	s_mov_b64 s[2:3], -1
	s_mov_b64 s[0:1], 0
                                        ; implicit-def: $sgpr4
.LBB259_24:
	s_and_b64 vcc, exec, s[2:3]
	s_cbranch_vccz .LBB259_26
; %bb.25:
	s_mov_b64 s[0:1], -1
	s_mov_b32 s4, 0
.LBB259_26:
	s_andn2_b64 vcc, exec, s[0:1]
	s_cbranch_vccnz .LBB259_29
; %bb.27:
	v_add_co_u32_e32 v2, vcc, s4, v2
	v_addc_co_u32_e32 v3, vcc, 0, v3, vcc
	v_lshlrev_b64 v[2:3], 2, v[2:3]
	v_mov_b32_e32 v1, s35
	v_add_co_u32_e32 v2, vcc, s34, v2
	s_sub_i32 s0, s36, s4
	v_addc_co_u32_e32 v3, vcc, v1, v3, vcc
.LBB259_28:                             ; =>This Inner Loop Header: Depth=1
	global_load_dword v1, v[2:3], off
	s_add_i32 s0, s0, -1
	s_cmp_lg_u32 s0, 0
	s_waitcnt vmcnt(0)
	v_mul_f32_e32 v1, v0, v1
	global_store_dword v[2:3], v1, off
	v_add_co_u32_e32 v2, vcc, 4, v2
	v_addc_co_u32_e32 v3, vcc, 0, v3, vcc
	s_cbranch_scc1 .LBB259_28
.LBB259_29:
	s_endpgm
	.section	.rodata,"a",@progbits
	.p2align	6, 0x0
	.amdhsa_kernel _ZN4vllm3moe17topkGatingSoftmaxItLi16ELi32ELi8ELi32ELb0ELi0ELNS0_23SharedExpertScoringFuncE0EEEvPKT_PKbPfiPiS9_iiiiii
		.amdhsa_group_segment_fixed_size 0
		.amdhsa_private_segment_fixed_size 0
		.amdhsa_kernarg_size 72
		.amdhsa_user_sgpr_count 6
		.amdhsa_user_sgpr_private_segment_buffer 1
		.amdhsa_user_sgpr_dispatch_ptr 0
		.amdhsa_user_sgpr_queue_ptr 0
		.amdhsa_user_sgpr_kernarg_segment_ptr 1
		.amdhsa_user_sgpr_dispatch_id 0
		.amdhsa_user_sgpr_flat_scratch_init 0
		.amdhsa_user_sgpr_kernarg_preload_length 0
		.amdhsa_user_sgpr_kernarg_preload_offset 0
		.amdhsa_user_sgpr_private_segment_size 0
		.amdhsa_uses_dynamic_stack 0
		.amdhsa_system_sgpr_private_segment_wavefront_offset 0
		.amdhsa_system_sgpr_workgroup_id_x 1
		.amdhsa_system_sgpr_workgroup_id_y 0
		.amdhsa_system_sgpr_workgroup_id_z 0
		.amdhsa_system_sgpr_workgroup_info 0
		.amdhsa_system_vgpr_workitem_id 1
		.amdhsa_next_free_vgpr 49
		.amdhsa_next_free_sgpr 54
		.amdhsa_accum_offset 52
		.amdhsa_reserve_vcc 1
		.amdhsa_reserve_flat_scratch 0
		.amdhsa_float_round_mode_32 0
		.amdhsa_float_round_mode_16_64 0
		.amdhsa_float_denorm_mode_32 3
		.amdhsa_float_denorm_mode_16_64 3
		.amdhsa_dx10_clamp 1
		.amdhsa_ieee_mode 1
		.amdhsa_fp16_overflow 0
		.amdhsa_tg_split 0
		.amdhsa_exception_fp_ieee_invalid_op 0
		.amdhsa_exception_fp_denorm_src 0
		.amdhsa_exception_fp_ieee_div_zero 0
		.amdhsa_exception_fp_ieee_overflow 0
		.amdhsa_exception_fp_ieee_underflow 0
		.amdhsa_exception_fp_ieee_inexact 0
		.amdhsa_exception_int_div_zero 0
	.end_amdhsa_kernel
	.section	.text._ZN4vllm3moe17topkGatingSoftmaxItLi16ELi32ELi8ELi32ELb0ELi0ELNS0_23SharedExpertScoringFuncE0EEEvPKT_PKbPfiPiS9_iiiiii,"axG",@progbits,_ZN4vllm3moe17topkGatingSoftmaxItLi16ELi32ELi8ELi32ELb0ELi0ELNS0_23SharedExpertScoringFuncE0EEEvPKT_PKbPfiPiS9_iiiiii,comdat
.Lfunc_end259:
	.size	_ZN4vllm3moe17topkGatingSoftmaxItLi16ELi32ELi8ELi32ELb0ELi0ELNS0_23SharedExpertScoringFuncE0EEEvPKT_PKbPfiPiS9_iiiiii, .Lfunc_end259-_ZN4vllm3moe17topkGatingSoftmaxItLi16ELi32ELi8ELi32ELb0ELi0ELNS0_23SharedExpertScoringFuncE0EEEvPKT_PKbPfiPiS9_iiiiii
                                        ; -- End function
	.section	.AMDGPU.csdata,"",@progbits
; Kernel info:
; codeLenInByte = 4136
; NumSgprs: 58
; NumVgprs: 49
; NumAgprs: 0
; TotalNumVgprs: 49
; ScratchSize: 0
; MemoryBound: 0
; FloatMode: 240
; IeeeMode: 1
; LDSByteSize: 0 bytes/workgroup (compile time only)
; SGPRBlocks: 7
; VGPRBlocks: 6
; NumSGPRsForWavesPerEU: 58
; NumVGPRsForWavesPerEU: 49
; AccumOffset: 52
; Occupancy: 8
; WaveLimiterHint : 0
; COMPUTE_PGM_RSRC2:SCRATCH_EN: 0
; COMPUTE_PGM_RSRC2:USER_SGPR: 6
; COMPUTE_PGM_RSRC2:TRAP_HANDLER: 0
; COMPUTE_PGM_RSRC2:TGID_X_EN: 1
; COMPUTE_PGM_RSRC2:TGID_Y_EN: 0
; COMPUTE_PGM_RSRC2:TGID_Z_EN: 0
; COMPUTE_PGM_RSRC2:TIDIG_COMP_CNT: 1
; COMPUTE_PGM_RSRC3_GFX90A:ACCUM_OFFSET: 12
; COMPUTE_PGM_RSRC3_GFX90A:TG_SPLIT: 0
	.section	.text._ZN4vllm3moe17topkGatingSoftmaxItLi16ELi32ELi8ELi32ELb1ELi1ELNS0_23SharedExpertScoringFuncE1EEEvPKT_PKbPfiPiS9_iiiiii,"axG",@progbits,_ZN4vllm3moe17topkGatingSoftmaxItLi16ELi32ELi8ELi32ELb1ELi1ELNS0_23SharedExpertScoringFuncE1EEEvPKT_PKbPfiPiS9_iiiiii,comdat
	.protected	_ZN4vllm3moe17topkGatingSoftmaxItLi16ELi32ELi8ELi32ELb1ELi1ELNS0_23SharedExpertScoringFuncE1EEEvPKT_PKbPfiPiS9_iiiiii ; -- Begin function _ZN4vllm3moe17topkGatingSoftmaxItLi16ELi32ELi8ELi32ELb1ELi1ELNS0_23SharedExpertScoringFuncE1EEEvPKT_PKbPfiPiS9_iiiiii
	.globl	_ZN4vllm3moe17topkGatingSoftmaxItLi16ELi32ELi8ELi32ELb1ELi1ELNS0_23SharedExpertScoringFuncE1EEEvPKT_PKbPfiPiS9_iiiiii
	.p2align	8
	.type	_ZN4vllm3moe17topkGatingSoftmaxItLi16ELi32ELi8ELi32ELb1ELi1ELNS0_23SharedExpertScoringFuncE1EEEvPKT_PKbPfiPiS9_iiiiii,@function
_ZN4vllm3moe17topkGatingSoftmaxItLi16ELi32ELi8ELi32ELb1ELi1ELNS0_23SharedExpertScoringFuncE1EEEvPKT_PKbPfiPiS9_iiiiii: ; @_ZN4vllm3moe17topkGatingSoftmaxItLi16ELi32ELi8ELi32ELb1ELi1ELNS0_23SharedExpertScoringFuncE1EEEvPKT_PKbPfiPiS9_iiiiii
; %bb.0:
	s_load_dword s33, s[4:5], 0x18
	v_bfe_u32 v1, v0, 10, 10
	v_and_b32_e32 v2, 0x3ff, v0
	s_lshl_b32 s50, s6, 8
	v_lshlrev_b32_e32 v40, 5, v1
	v_lshrrev_b32_e32 v42, 1, v2
	v_add3_u32 v22, s50, v40, v42
	s_waitcnt lgkmcnt(0)
	v_cmp_gt_i32_e32 vcc, s33, v22
	s_and_saveexec_b64 s[0:1], vcc
	s_cbranch_execz .LBB260_29
; %bb.1:
	s_load_dwordx4 s[0:3], s[4:5], 0x0
	s_load_dwordx2 s[34:35], s[4:5], 0x10
	s_waitcnt lgkmcnt(0)
	s_cmp_eq_u64 s[2:3], 0
	s_cbranch_scc1 .LBB260_3
; %bb.2:
	v_ashrrev_i32_e32 v1, 31, v22
	v_mov_b32_e32 v3, s3
	v_add_co_u32_e32 v0, vcc, s2, v22
	v_addc_co_u32_e32 v1, vcc, v3, v1, vcc
	global_load_ubyte v0, v[0:1], off
	s_waitcnt vmcnt(0)
	v_and_b32_e32 v0, 1, v0
	v_cmp_eq_u32_e32 vcc, 1, v0
	s_xor_b64 s[2:3], vcc, -1
	s_orn2_b64 s[44:45], s[2:3], exec
	s_branch .LBB260_4
.LBB260_3:
	s_mov_b64 s[44:45], -1
.LBB260_4:
	s_load_dwordx2 s[8:9], s[4:5], 0x40
	s_load_dwordx4 s[36:39], s[4:5], 0x30
	v_mov_b32_e32 v3, s1
	v_and_b32_e32 v23, 1, v2
	v_lshlrev_b32_e32 v2, 5, v23
	s_waitcnt lgkmcnt(0)
	v_mul_lo_u32 v0, v22, s9
	v_ashrrev_i32_e32 v1, 31, v0
	v_lshlrev_b64 v[0:1], 1, v[0:1]
	v_add_co_u32_e32 v0, vcc, s0, v0
	v_addc_co_u32_e32 v1, vcc, v3, v1, vcc
	v_add_co_u32_e32 v2, vcc, v0, v2
	v_addc_co_u32_e32 v3, vcc, 0, v1, vcc
	global_load_dwordx4 v[12:15], v[2:3], off offset:16
	global_load_dwordx4 v[4:7], v[2:3], off
	v_lshlrev_b32_e32 v25, 4, v23
	v_mov_b32_e32 v24, 0
	v_cmp_eq_u32_e64 s[0:1], 0, v23
	s_and_saveexec_b64 s[2:3], s[0:1]
	s_cbranch_execz .LBB260_6
; %bb.5:
	global_load_ushort v0, v[0:1], off offset:64
	s_mov_b32 s6, 0xbfb8aa3b
	s_mov_b32 s7, 0x42ce8ed0
	;; [unrolled: 1-line block ×3, first 2 shown]
	v_mov_b32_e32 v3, 0x7f800000
	v_mov_b32_e32 v10, s35
	s_waitcnt vmcnt(0)
	v_cvt_f32_u32_e32 v2, v0
	v_mul_lo_u32 v0, v22, s39
	v_add_u32_e32 v0, s36, v0
	v_mul_f32_e32 v1, 0xbfb8aa3b, v2
	v_rndne_f32_e32 v8, v1
	v_fma_f32 v9, v2, s6, -v1
	v_sub_f32_e32 v1, v1, v8
	v_fmac_f32_e32 v9, 0xb2a5705f, v2
	v_add_f32_e32 v1, v1, v9
	v_cvt_i32_f32_e32 v8, v8
	v_exp_f32_e32 v9, v1
	v_cmp_nlt_f32_e32 vcc, s7, v2
	v_ashrrev_i32_e32 v1, 31, v0
	v_lshlrev_b64 v[0:1], 2, v[0:1]
	v_ldexp_f32 v8, v9, v8
	v_cndmask_b32_e32 v8, 0, v8, vcc
	v_cmp_ngt_f32_e32 vcc, s9, v2
	v_cndmask_b32_e32 v2, v3, v8, vcc
	v_add_f32_e32 v2, 1.0, v2
	v_div_scale_f32 v3, s[6:7], v2, v2, 1.0
	v_rcp_f32_e32 v8, v3
	v_div_scale_f32 v9, vcc, 1.0, v2, 1.0
	v_fma_f32 v11, -v3, v8, 1.0
	v_fmac_f32_e32 v8, v11, v8
	v_mul_f32_e32 v11, v9, v8
	v_fma_f32 v16, -v3, v11, v9
	v_fmac_f32_e32 v11, v16, v8
	v_fma_f32 v3, -v3, v11, v9
	v_div_fmas_f32 v3, v3, v8, v11
	v_add_co_u32_e32 v0, vcc, s34, v0
	v_div_fixup_f32 v2, v3, v2, 1.0
	v_addc_co_u32_e32 v1, vcc, v10, v1, vcc
	global_store_dword v[0:1], v2, off
.LBB260_6:
	s_or_b64 exec, exec, s[2:3]
	s_waitcnt vmcnt(0)
	v_cvt_f32_u32_sdwa v1, v4 dst_sel:DWORD dst_unused:UNUSED_PAD src0_sel:WORD_1
	v_cvt_f32_u32_sdwa v0, v4 dst_sel:DWORD dst_unused:UNUSED_PAD src0_sel:WORD_0
	v_cvt_f32_u32_sdwa v2, v5 dst_sel:DWORD dst_unused:UNUSED_PAD src0_sel:WORD_0
	v_or_b32_e32 v26, 1, v25
	v_or_b32_e32 v27, 2, v25
	v_cmp_lt_f32_e32 vcc, v0, v1
	v_cndmask_b32_e32 v4, v0, v1, vcc
	v_cndmask_b32_e32 v3, v25, v26, vcc
	v_cmp_lt_f32_e32 vcc, v4, v2
	v_cndmask_b32_e32 v8, v3, v27, vcc
	v_cvt_f32_u32_sdwa v3, v5 dst_sel:DWORD dst_unused:UNUSED_PAD src0_sel:WORD_1
	v_cndmask_b32_e32 v4, v4, v2, vcc
	v_or_b32_e32 v28, 3, v25
	v_or_b32_e32 v29, 4, v25
	v_cmp_lt_f32_e32 vcc, v4, v3
	v_cndmask_b32_e32 v5, v8, v28, vcc
	v_cndmask_b32_e32 v8, v4, v3, vcc
	v_cvt_f32_u32_sdwa v4, v6 dst_sel:DWORD dst_unused:UNUSED_PAD src0_sel:WORD_0
	v_or_b32_e32 v30, 5, v25
	v_or_b32_e32 v31, 6, v25
	;; [unrolled: 1-line block ×3, first 2 shown]
	v_cmp_lt_f32_e32 vcc, v8, v4
	v_cndmask_b32_e32 v9, v5, v29, vcc
	v_cvt_f32_u32_sdwa v5, v6 dst_sel:DWORD dst_unused:UNUSED_PAD src0_sel:WORD_1
	v_cvt_f32_u32_sdwa v6, v7 dst_sel:DWORD dst_unused:UNUSED_PAD src0_sel:WORD_0
	v_cndmask_b32_e32 v8, v8, v4, vcc
	v_cvt_f32_u32_sdwa v7, v7 dst_sel:DWORD dst_unused:UNUSED_PAD src0_sel:WORD_1
	v_cmp_lt_f32_e32 vcc, v8, v5
	v_cndmask_b32_e32 v8, v8, v5, vcc
	v_cndmask_b32_e32 v9, v9, v30, vcc
	v_cmp_lt_f32_e32 vcc, v8, v6
	v_cndmask_b32_e32 v8, v8, v6, vcc
	v_cndmask_b32_e32 v9, v9, v31, vcc
	v_cmp_lt_f32_e32 vcc, v8, v7
	v_cndmask_b32_e32 v10, v8, v7, vcc
	v_cvt_f32_u32_sdwa v8, v12 dst_sel:DWORD dst_unused:UNUSED_PAD src0_sel:WORD_0
	v_cndmask_b32_e32 v9, v9, v32, vcc
	v_or_b32_e32 v33, 8, v25
	v_or_b32_e32 v34, 9, v25
	v_cmp_lt_f32_e32 vcc, v10, v8
	v_cndmask_b32_e32 v11, v9, v33, vcc
	v_cvt_f32_u32_sdwa v9, v12 dst_sel:DWORD dst_unused:UNUSED_PAD src0_sel:WORD_1
	v_cndmask_b32_e32 v10, v10, v8, vcc
	v_or_b32_e32 v35, 10, v25
	v_or_b32_e32 v36, 11, v25
	v_cmp_lt_f32_e32 vcc, v10, v9
	v_cndmask_b32_e32 v12, v10, v9, vcc
	v_cvt_f32_u32_sdwa v10, v13 dst_sel:DWORD dst_unused:UNUSED_PAD src0_sel:WORD_0
	v_cndmask_b32_e32 v11, v11, v34, vcc
	v_or_b32_e32 v37, 12, v25
	v_or_b32_e32 v38, 13, v25
	v_cmp_lt_f32_e32 vcc, v12, v10
	v_cndmask_b32_e32 v16, v11, v35, vcc
	v_cvt_f32_u32_sdwa v11, v13 dst_sel:DWORD dst_unused:UNUSED_PAD src0_sel:WORD_1
	v_cndmask_b32_e32 v12, v12, v10, vcc
	v_or_b32_e32 v39, 14, v25
	v_or_b32_e32 v41, 15, v25
	v_cmp_lt_f32_e32 vcc, v12, v11
	v_cndmask_b32_e32 v13, v16, v36, vcc
	v_cndmask_b32_e32 v16, v12, v11, vcc
	v_cvt_f32_u32_sdwa v12, v14 dst_sel:DWORD dst_unused:UNUSED_PAD src0_sel:WORD_0
	s_cmp_gt_i32 s36, 0
	s_cselect_b64 s[46:47], -1, 0
	v_cmp_lt_f32_e32 vcc, v16, v12
	v_cndmask_b32_e32 v17, v13, v37, vcc
	v_cvt_f32_u32_sdwa v13, v14 dst_sel:DWORD dst_unused:UNUSED_PAD src0_sel:WORD_1
	v_cvt_f32_u32_sdwa v14, v15 dst_sel:DWORD dst_unused:UNUSED_PAD src0_sel:WORD_0
	v_cndmask_b32_e32 v16, v16, v12, vcc
	v_cvt_f32_u32_sdwa v15, v15 dst_sel:DWORD dst_unused:UNUSED_PAD src0_sel:WORD_1
	v_cmp_lt_f32_e32 vcc, v16, v13
	v_cndmask_b32_e32 v16, v16, v13, vcc
	v_cndmask_b32_e32 v17, v17, v38, vcc
	v_cmp_lt_f32_e32 vcc, v16, v14
	v_cndmask_b32_e32 v18, v16, v14, vcc
	v_cndmask_b32_e32 v17, v17, v39, vcc
	;; [unrolled: 3-line block ×3, first 2 shown]
	s_and_b64 vcc, exec, s[46:47]
	v_mov_b32_dpp v18, v16 quad_perm:[1,0,3,2] row_mask:0xf bank_mask:0xf
	v_mov_b32_dpp v19, v17 quad_perm:[1,0,3,2] row_mask:0xf bank_mask:0xf
	s_cbranch_vccz .LBB260_18
; %bb.7:
	s_load_dwordx4 s[40:43], s[4:5], 0x20
	v_cmp_eq_f32_e64 s[2:3], v17, v19
	v_cmp_lt_i32_e64 s[6:7], v18, v16
	v_cmp_lt_f32_e32 vcc, v17, v19
	s_and_b64 s[2:3], s[2:3], s[6:7]
	s_or_b64 vcc, vcc, s[2:3]
	v_cndmask_b32_e32 v44, v16, v18, vcc
	v_cndmask_b32_e32 v43, v17, v19, vcc
	v_mul_lo_u32 v20, v22, s39
	v_mul_lo_u32 v18, v22, s8
	;; [unrolled: 1-line block ×3, first 2 shown]
	v_mov_b32_e32 v24, 0
	s_and_saveexec_b64 s[4:5], s[0:1]
	s_cbranch_execz .LBB260_9
; %bb.8:
	v_sub_f32_e32 v17, v43, v43
	v_mul_f32_e32 v19, 0x3fb8aa3b, v17
	s_mov_b32 s2, 0x3fb8aa3b
	v_rndne_f32_e32 v21, v19
	v_sub_f32_e32 v24, v19, v21
	v_fma_f32 v19, v17, s2, -v19
	v_fmac_f32_e32 v19, 0x32a5705f, v17
	v_add_f32_e32 v19, v24, v19
	v_exp_f32_e32 v19, v19
	v_cvt_i32_f32_e32 v21, v21
	v_cmp_le_i32_e32 vcc, s37, v44
	v_cmp_gt_i32_e64 s[2:3], s38, v44
	s_mov_b32 s6, 0xc2ce8ed0
	s_and_b64 s[2:3], vcc, s[2:3]
	v_ldexp_f32 v19, v19, v21
	v_cmp_ngt_f32_e32 vcc, s6, v17
	s_mov_b32 s6, 0x42b17218
	v_cndmask_b32_e32 v19, 0, v19, vcc
	v_mov_b32_e32 v21, 0x7f800000
	v_cmp_nlt_f32_e32 vcc, s6, v17
	v_cndmask_b32_e32 v24, v21, v19, vcc
	v_ashrrev_i32_e32 v21, 31, v20
	v_lshlrev_b64 v[46:47], 2, v[20:21]
	v_mov_b32_e32 v17, s35
	v_add_co_u32_e32 v46, vcc, s34, v46
	v_addc_co_u32_e32 v47, vcc, v17, v47, vcc
	v_ashrrev_i32_e32 v19, 31, v18
	global_store_dword v[46:47], v24, off
	v_subrev_u32_e32 v17, s37, v44
	s_and_b64 vcc, s[44:45], s[2:3]
	v_lshlrev_b64 v[46:47], 2, v[18:19]
	v_cndmask_b32_e32 v17, 32, v17, vcc
	s_waitcnt lgkmcnt(0)
	v_mov_b32_e32 v19, s41
	v_add_co_u32_e32 v46, vcc, s40, v46
	v_addc_co_u32_e32 v47, vcc, v19, v47, vcc
	global_store_dword v[46:47], v17, off
	v_ashrrev_i32_e32 v17, 31, v16
	v_lshlrev_b64 v[46:47], 2, v[16:17]
	v_mov_b32_e32 v17, s43
	v_add_co_u32_e32 v46, vcc, s42, v46
	v_addc_co_u32_e32 v47, vcc, v17, v47, vcc
	global_store_dword v[46:47], v22, off
.LBB260_9:
	s_or_b64 exec, exec, s[4:5]
	v_ashrrev_i32_e32 v19, 31, v44
	v_lshrrev_b32_e32 v17, 28, v19
	v_add_u32_e32 v21, v44, v17
	v_ashrrev_i32_e32 v17, 4, v21
	v_lshrrev_b32_e32 v21, 31, v21
	v_add_u32_e32 v21, v17, v21
	v_and_b32_e32 v21, -2, v21
	v_sub_u32_e32 v21, v17, v21
	v_cmp_eq_u32_e32 vcc, v23, v21
	s_and_saveexec_b64 s[48:49], vcc
	s_cbranch_execz .LBB260_11
; %bb.10:
	v_lshrrev_b32_e32 v19, 27, v19
	v_add_u32_e32 v19, v44, v19
	v_lshlrev_b32_e32 v17, 4, v17
	v_sub_u32_e32 v17, v44, v17
	v_ashrrev_i32_e32 v19, 5, v19
	v_lshl_add_u32 v17, v19, 4, v17
	v_mov_b32_e32 v19, 0xff800000
	v_cmp_ne_u32_e32 vcc, 14, v17
	v_cmp_ne_u32_e64 s[2:3], 13, v17
	v_cmp_ne_u32_e64 s[4:5], 12, v17
	;; [unrolled: 1-line block ×15, first 2 shown]
	v_cndmask_b32_e64 v15, v19, v15, s[30:31]
	v_cndmask_b32_e32 v14, v19, v14, vcc
	v_cndmask_b32_e64 v13, v19, v13, s[2:3]
	v_cndmask_b32_e64 v12, v19, v12, s[4:5]
	v_cndmask_b32_e64 v11, v19, v11, s[6:7]
	v_cndmask_b32_e64 v10, v19, v10, s[8:9]
	v_cndmask_b32_e64 v9, v19, v9, s[10:11]
	v_cndmask_b32_e64 v8, v19, v8, s[12:13]
	v_cndmask_b32_e64 v7, v19, v7, s[14:15]
	v_cndmask_b32_e64 v6, v19, v6, s[16:17]
	v_cndmask_b32_e64 v5, v19, v5, s[18:19]
	v_cndmask_b32_e64 v4, v19, v4, s[20:21]
	v_cndmask_b32_e64 v3, v19, v3, s[22:23]
	v_cndmask_b32_e64 v2, v19, v2, s[24:25]
	v_cndmask_b32_e64 v1, v19, v1, s[26:27]
	v_cndmask_b32_e64 v0, v19, v0, s[28:29]
.LBB260_11:
	s_or_b64 exec, exec, s[48:49]
	s_cmp_eq_u32 s36, 1
	s_cbranch_scc1 .LBB260_18
; %bb.12:
	s_add_i32 s50, s50, s33
	s_add_i32 s51, s36, -1
	v_add3_u32 v40, s50, v42, v40
	v_add_u32_e32 v16, 1, v16
	v_add_u32_e32 v18, 1, v18
	;; [unrolled: 1-line block ×3, first 2 shown]
	s_mov_b32 s50, 0x3fb8aa3b
	s_mov_b32 s52, 0xc2ce8ed0
	;; [unrolled: 1-line block ×3, first 2 shown]
	v_mov_b32_e32 v42, 0x7f800000
	v_mov_b32_e32 v44, 0xff800000
	s_branch .LBB260_14
.LBB260_13:                             ;   in Loop: Header=BB260_14 Depth=1
	s_or_b64 exec, exec, s[48:49]
	s_add_i32 s51, s51, -1
	v_add_u32_e32 v40, s33, v40
	v_add_u32_e32 v16, 1, v16
	;; [unrolled: 1-line block ×3, first 2 shown]
	s_cmp_eq_u32 s51, 0
	v_add_u32_e32 v20, 1, v20
	s_cbranch_scc1 .LBB260_18
.LBB260_14:                             ; =>This Inner Loop Header: Depth=1
	v_cmp_gt_f32_e32 vcc, v1, v0
	v_cndmask_b32_e32 v19, v0, v1, vcc
	v_cndmask_b32_e32 v17, v25, v26, vcc
	v_cmp_gt_f32_e32 vcc, v2, v19
	v_cndmask_b32_e32 v19, v19, v2, vcc
	v_cndmask_b32_e32 v17, v17, v27, vcc
	;; [unrolled: 3-line block ×15, first 2 shown]
	s_nop 0
	v_mov_b32_dpp v45, v21 quad_perm:[1,0,3,2] row_mask:0xf bank_mask:0xf
	v_mov_b32_dpp v19, v17 quad_perm:[1,0,3,2] row_mask:0xf bank_mask:0xf
	v_cmp_eq_f32_e64 s[2:3], v17, v19
	v_cmp_lt_i32_e64 s[4:5], v45, v21
	v_cmp_lt_f32_e32 vcc, v17, v19
	s_and_b64 s[2:3], s[2:3], s[4:5]
	s_or_b64 vcc, vcc, s[2:3]
	v_cndmask_b32_e32 v45, v21, v45, vcc
	s_and_saveexec_b64 s[4:5], s[0:1]
	s_cbranch_execz .LBB260_16
; %bb.15:                               ;   in Loop: Header=BB260_14 Depth=1
	v_cndmask_b32_e32 v17, v17, v19, vcc
	v_sub_f32_e32 v17, v17, v43
	v_mul_f32_e32 v19, 0x3fb8aa3b, v17
	v_fma_f32 v21, v17, s50, -v19
	v_rndne_f32_e32 v46, v19
	v_fmac_f32_e32 v21, 0x32a5705f, v17
	v_sub_f32_e32 v19, v19, v46
	v_add_f32_e32 v19, v19, v21
	v_exp_f32_e32 v19, v19
	v_cvt_i32_f32_e32 v21, v46
	v_cmp_le_i32_e32 vcc, s37, v45
	v_cmp_gt_i32_e64 s[2:3], s38, v45
	s_and_b64 s[2:3], vcc, s[2:3]
	v_ldexp_f32 v19, v19, v21
	v_cmp_ngt_f32_e32 vcc, s52, v17
	v_ashrrev_i32_e32 v21, 31, v20
	v_cndmask_b32_e32 v19, 0, v19, vcc
	v_cmp_nlt_f32_e32 vcc, s53, v17
	v_lshlrev_b64 v[46:47], 2, v[20:21]
	v_cndmask_b32_e32 v48, v42, v19, vcc
	v_mov_b32_e32 v17, s35
	v_add_co_u32_e32 v46, vcc, s34, v46
	v_addc_co_u32_e32 v47, vcc, v17, v47, vcc
	v_ashrrev_i32_e32 v19, 31, v18
	global_store_dword v[46:47], v48, off
	v_subrev_u32_e32 v17, s37, v45
	s_and_b64 vcc, s[44:45], s[2:3]
	v_lshlrev_b64 v[46:47], 2, v[18:19]
	v_cndmask_b32_e32 v17, 32, v17, vcc
	s_waitcnt lgkmcnt(0)
	v_mov_b32_e32 v19, s41
	v_add_co_u32_e32 v46, vcc, s40, v46
	v_addc_co_u32_e32 v47, vcc, v19, v47, vcc
	global_store_dword v[46:47], v17, off
	v_ashrrev_i32_e32 v17, 31, v16
	v_lshlrev_b64 v[46:47], 2, v[16:17]
	v_mov_b32_e32 v17, s43
	v_add_co_u32_e32 v46, vcc, s42, v46
	v_addc_co_u32_e32 v47, vcc, v17, v47, vcc
	v_add_f32_e32 v24, v24, v48
	global_store_dword v[46:47], v40, off
.LBB260_16:                             ;   in Loop: Header=BB260_14 Depth=1
	s_or_b64 exec, exec, s[4:5]
	v_ashrrev_i32_e32 v19, 31, v45
	v_lshrrev_b32_e32 v17, 28, v19
	v_add_u32_e32 v21, v45, v17
	v_ashrrev_i32_e32 v17, 4, v21
	v_lshrrev_b32_e32 v21, 31, v21
	v_add_u32_e32 v21, v17, v21
	v_and_b32_e32 v21, -2, v21
	v_sub_u32_e32 v21, v17, v21
	v_cmp_eq_u32_e32 vcc, v23, v21
	s_and_saveexec_b64 s[48:49], vcc
	s_cbranch_execz .LBB260_13
; %bb.17:                               ;   in Loop: Header=BB260_14 Depth=1
	v_lshrrev_b32_e32 v19, 27, v19
	v_add_u32_e32 v19, v45, v19
	v_lshlrev_b32_e32 v17, 4, v17
	v_sub_u32_e32 v17, v45, v17
	v_ashrrev_i32_e32 v19, 5, v19
	v_lshl_add_u32 v17, v19, 4, v17
	v_cmp_ne_u32_e32 vcc, 14, v17
	v_cmp_ne_u32_e64 s[2:3], 13, v17
	v_cmp_ne_u32_e64 s[4:5], 12, v17
	v_cmp_ne_u32_e64 s[6:7], 11, v17
	v_cmp_ne_u32_e64 s[8:9], 10, v17
	v_cmp_ne_u32_e64 s[10:11], 9, v17
	v_cmp_ne_u32_e64 s[12:13], 8, v17
	v_cmp_ne_u32_e64 s[14:15], 7, v17
	v_cmp_ne_u32_e64 s[16:17], 6, v17
	v_cmp_ne_u32_e64 s[18:19], 5, v17
	v_cmp_ne_u32_e64 s[20:21], 4, v17
	v_cmp_ne_u32_e64 s[22:23], 3, v17
	v_cmp_ne_u32_e64 s[24:25], 2, v17
	v_cmp_ne_u32_e64 s[26:27], 1, v17
	v_cmp_ne_u32_e64 s[28:29], 0, v17
	v_cmp_ne_u32_e64 s[30:31], 15, v17
	v_cndmask_b32_e64 v15, v44, v15, s[30:31]
	v_cndmask_b32_e32 v14, v44, v14, vcc
	v_cndmask_b32_e64 v13, v44, v13, s[2:3]
	v_cndmask_b32_e64 v12, v44, v12, s[4:5]
	;; [unrolled: 1-line block ×14, first 2 shown]
	s_branch .LBB260_13
.LBB260_18:
	v_cmp_neq_f32_e32 vcc, 0, v24
	s_and_b64 s[0:1], s[0:1], vcc
	s_and_b64 exec, exec, s[0:1]
	s_cbranch_execz .LBB260_29
; %bb.19:
	s_andn2_b64 vcc, exec, s[46:47]
	s_cbranch_vccnz .LBB260_29
; %bb.20:
	v_div_scale_f32 v0, s[0:1], v24, v24, 1.0
	v_rcp_f32_e32 v1, v0
	v_div_scale_f32 v2, vcc, 1.0, v24, 1.0
	s_cmp_gt_u32 s36, 3
	v_fma_f32 v3, -v0, v1, 1.0
	v_fmac_f32_e32 v1, v3, v1
	v_mul_f32_e32 v3, v2, v1
	v_fma_f32 v4, -v0, v3, v2
	v_fmac_f32_e32 v3, v4, v1
	v_fma_f32 v0, -v0, v3, v2
	v_div_fmas_f32 v0, v0, v1, v3
	v_mul_lo_u32 v2, v22, s39
	v_div_fixup_f32 v0, v0, v24, 1.0
	v_ashrrev_i32_e32 v3, 31, v2
	s_cbranch_scc0 .LBB260_24
; %bb.21:
	v_lshlrev_b64 v[4:5], 2, v[2:3]
	v_mov_b32_e32 v6, s35
	v_add_co_u32_e32 v4, vcc, s34, v4
	v_addc_co_u32_e32 v5, vcc, v5, v6, vcc
	s_and_b32 s4, s36, 0x7ffffffc
	v_add_co_u32_e32 v4, vcc, 8, v4
	v_mov_b32_e32 v1, v0
	v_addc_co_u32_e32 v5, vcc, 0, v5, vcc
	s_mov_b32 s0, s4
.LBB260_22:                             ; =>This Inner Loop Header: Depth=1
	global_load_dwordx4 v[6:9], v[4:5], off offset:-8
	s_add_i32 s0, s0, -4
	s_cmp_lg_u32 s0, 0
	s_waitcnt vmcnt(0)
	v_pk_mul_f32 v[6:7], v[0:1], v[6:7]
	v_pk_mul_f32 v[8:9], v[0:1], v[8:9]
	global_store_dwordx4 v[4:5], v[6:9], off offset:-8
	v_add_co_u32_e32 v4, vcc, 16, v4
	v_addc_co_u32_e32 v5, vcc, 0, v5, vcc
	s_cbranch_scc1 .LBB260_22
; %bb.23:
	s_cmp_lg_u32 s4, s36
	s_cselect_b64 s[0:1], -1, 0
	s_branch .LBB260_26
.LBB260_24:
	s_mov_b64 s[0:1], 0
                                        ; implicit-def: $sgpr4
	s_cbranch_execz .LBB260_26
; %bb.25:
	s_mov_b64 s[0:1], -1
	s_mov_b32 s4, 0
.LBB260_26:
	s_andn2_b64 vcc, exec, s[0:1]
	s_cbranch_vccnz .LBB260_29
; %bb.27:
	v_add_co_u32_e32 v2, vcc, s4, v2
	v_addc_co_u32_e32 v3, vcc, 0, v3, vcc
	v_lshlrev_b64 v[2:3], 2, v[2:3]
	v_mov_b32_e32 v1, s35
	v_add_co_u32_e32 v2, vcc, s34, v2
	s_sub_i32 s0, s36, s4
	v_addc_co_u32_e32 v3, vcc, v1, v3, vcc
.LBB260_28:                             ; =>This Inner Loop Header: Depth=1
	global_load_dword v1, v[2:3], off
	s_add_i32 s0, s0, -1
	s_cmp_lg_u32 s0, 0
	s_waitcnt vmcnt(0)
	v_mul_f32_e32 v1, v0, v1
	global_store_dword v[2:3], v1, off
	v_add_co_u32_e32 v2, vcc, 4, v2
	v_addc_co_u32_e32 v3, vcc, 0, v3, vcc
	s_cbranch_scc1 .LBB260_28
.LBB260_29:
	s_endpgm
	.section	.rodata,"a",@progbits
	.p2align	6, 0x0
	.amdhsa_kernel _ZN4vllm3moe17topkGatingSoftmaxItLi16ELi32ELi8ELi32ELb1ELi1ELNS0_23SharedExpertScoringFuncE1EEEvPKT_PKbPfiPiS9_iiiiii
		.amdhsa_group_segment_fixed_size 0
		.amdhsa_private_segment_fixed_size 0
		.amdhsa_kernarg_size 72
		.amdhsa_user_sgpr_count 6
		.amdhsa_user_sgpr_private_segment_buffer 1
		.amdhsa_user_sgpr_dispatch_ptr 0
		.amdhsa_user_sgpr_queue_ptr 0
		.amdhsa_user_sgpr_kernarg_segment_ptr 1
		.amdhsa_user_sgpr_dispatch_id 0
		.amdhsa_user_sgpr_flat_scratch_init 0
		.amdhsa_user_sgpr_kernarg_preload_length 0
		.amdhsa_user_sgpr_kernarg_preload_offset 0
		.amdhsa_user_sgpr_private_segment_size 0
		.amdhsa_uses_dynamic_stack 0
		.amdhsa_system_sgpr_private_segment_wavefront_offset 0
		.amdhsa_system_sgpr_workgroup_id_x 1
		.amdhsa_system_sgpr_workgroup_id_y 0
		.amdhsa_system_sgpr_workgroup_id_z 0
		.amdhsa_system_sgpr_workgroup_info 0
		.amdhsa_system_vgpr_workitem_id 1
		.amdhsa_next_free_vgpr 49
		.amdhsa_next_free_sgpr 54
		.amdhsa_accum_offset 52
		.amdhsa_reserve_vcc 1
		.amdhsa_reserve_flat_scratch 0
		.amdhsa_float_round_mode_32 0
		.amdhsa_float_round_mode_16_64 0
		.amdhsa_float_denorm_mode_32 3
		.amdhsa_float_denorm_mode_16_64 3
		.amdhsa_dx10_clamp 1
		.amdhsa_ieee_mode 1
		.amdhsa_fp16_overflow 0
		.amdhsa_tg_split 0
		.amdhsa_exception_fp_ieee_invalid_op 0
		.amdhsa_exception_fp_denorm_src 0
		.amdhsa_exception_fp_ieee_div_zero 0
		.amdhsa_exception_fp_ieee_overflow 0
		.amdhsa_exception_fp_ieee_underflow 0
		.amdhsa_exception_fp_ieee_inexact 0
		.amdhsa_exception_int_div_zero 0
	.end_amdhsa_kernel
	.section	.text._ZN4vllm3moe17topkGatingSoftmaxItLi16ELi32ELi8ELi32ELb1ELi1ELNS0_23SharedExpertScoringFuncE1EEEvPKT_PKbPfiPiS9_iiiiii,"axG",@progbits,_ZN4vllm3moe17topkGatingSoftmaxItLi16ELi32ELi8ELi32ELb1ELi1ELNS0_23SharedExpertScoringFuncE1EEEvPKT_PKbPfiPiS9_iiiiii,comdat
.Lfunc_end260:
	.size	_ZN4vllm3moe17topkGatingSoftmaxItLi16ELi32ELi8ELi32ELb1ELi1ELNS0_23SharedExpertScoringFuncE1EEEvPKT_PKbPfiPiS9_iiiiii, .Lfunc_end260-_ZN4vllm3moe17topkGatingSoftmaxItLi16ELi32ELi8ELi32ELb1ELi1ELNS0_23SharedExpertScoringFuncE1EEEvPKT_PKbPfiPiS9_iiiiii
                                        ; -- End function
	.section	.AMDGPU.csdata,"",@progbits
; Kernel info:
; codeLenInByte = 2760
; NumSgprs: 58
; NumVgprs: 49
; NumAgprs: 0
; TotalNumVgprs: 49
; ScratchSize: 0
; MemoryBound: 0
; FloatMode: 240
; IeeeMode: 1
; LDSByteSize: 0 bytes/workgroup (compile time only)
; SGPRBlocks: 7
; VGPRBlocks: 6
; NumSGPRsForWavesPerEU: 58
; NumVGPRsForWavesPerEU: 49
; AccumOffset: 52
; Occupancy: 8
; WaveLimiterHint : 0
; COMPUTE_PGM_RSRC2:SCRATCH_EN: 0
; COMPUTE_PGM_RSRC2:USER_SGPR: 6
; COMPUTE_PGM_RSRC2:TRAP_HANDLER: 0
; COMPUTE_PGM_RSRC2:TGID_X_EN: 1
; COMPUTE_PGM_RSRC2:TGID_Y_EN: 0
; COMPUTE_PGM_RSRC2:TGID_Z_EN: 0
; COMPUTE_PGM_RSRC2:TIDIG_COMP_CNT: 1
; COMPUTE_PGM_RSRC3_GFX90A:ACCUM_OFFSET: 12
; COMPUTE_PGM_RSRC3_GFX90A:TG_SPLIT: 0
	.section	.text._ZN4vllm3moe17topkGatingSoftmaxItLi16ELi32ELi8ELi32ELb0ELi1ELNS0_23SharedExpertScoringFuncE1EEEvPKT_PKbPfiPiS9_iiiiii,"axG",@progbits,_ZN4vllm3moe17topkGatingSoftmaxItLi16ELi32ELi8ELi32ELb0ELi1ELNS0_23SharedExpertScoringFuncE1EEEvPKT_PKbPfiPiS9_iiiiii,comdat
	.protected	_ZN4vllm3moe17topkGatingSoftmaxItLi16ELi32ELi8ELi32ELb0ELi1ELNS0_23SharedExpertScoringFuncE1EEEvPKT_PKbPfiPiS9_iiiiii ; -- Begin function _ZN4vllm3moe17topkGatingSoftmaxItLi16ELi32ELi8ELi32ELb0ELi1ELNS0_23SharedExpertScoringFuncE1EEEvPKT_PKbPfiPiS9_iiiiii
	.globl	_ZN4vllm3moe17topkGatingSoftmaxItLi16ELi32ELi8ELi32ELb0ELi1ELNS0_23SharedExpertScoringFuncE1EEEvPKT_PKbPfiPiS9_iiiiii
	.p2align	8
	.type	_ZN4vllm3moe17topkGatingSoftmaxItLi16ELi32ELi8ELi32ELb0ELi1ELNS0_23SharedExpertScoringFuncE1EEEvPKT_PKbPfiPiS9_iiiiii,@function
_ZN4vllm3moe17topkGatingSoftmaxItLi16ELi32ELi8ELi32ELb0ELi1ELNS0_23SharedExpertScoringFuncE1EEEvPKT_PKbPfiPiS9_iiiiii: ; @_ZN4vllm3moe17topkGatingSoftmaxItLi16ELi32ELi8ELi32ELb0ELi1ELNS0_23SharedExpertScoringFuncE1EEEvPKT_PKbPfiPiS9_iiiiii
; %bb.0:
	s_load_dword s33, s[4:5], 0x18
	v_bfe_u32 v1, v0, 10, 10
	v_and_b32_e32 v2, 0x3ff, v0
	s_lshl_b32 s50, s6, 8
	v_lshlrev_b32_e32 v39, 5, v1
	v_lshrrev_b32_e32 v40, 1, v2
	v_add3_u32 v22, s50, v39, v40
	s_waitcnt lgkmcnt(0)
	v_cmp_gt_i32_e32 vcc, s33, v22
	s_and_saveexec_b64 s[0:1], vcc
	s_cbranch_execz .LBB261_31
; %bb.1:
	s_load_dwordx4 s[0:3], s[4:5], 0x0
	s_load_dwordx2 s[34:35], s[4:5], 0x10
	s_waitcnt lgkmcnt(0)
	s_cmp_eq_u64 s[2:3], 0
	s_cbranch_scc1 .LBB261_3
; %bb.2:
	v_ashrrev_i32_e32 v1, 31, v22
	v_mov_b32_e32 v3, s3
	v_add_co_u32_e32 v0, vcc, s2, v22
	v_addc_co_u32_e32 v1, vcc, v3, v1, vcc
	global_load_ubyte v0, v[0:1], off
	s_waitcnt vmcnt(0)
	v_and_b32_e32 v0, 1, v0
	v_cmp_eq_u32_e32 vcc, 1, v0
	s_xor_b64 s[2:3], vcc, -1
	s_orn2_b64 s[46:47], s[2:3], exec
	s_branch .LBB261_4
.LBB261_3:
	s_mov_b64 s[46:47], -1
.LBB261_4:
	s_load_dwordx2 s[8:9], s[4:5], 0x40
	s_load_dwordx4 s[36:39], s[4:5], 0x30
	v_mov_b32_e32 v3, s1
	v_and_b32_e32 v25, 1, v2
	v_lshlrev_b32_e32 v2, 5, v25
	s_waitcnt lgkmcnt(0)
	v_mul_lo_u32 v0, v22, s9
	v_ashrrev_i32_e32 v1, 31, v0
	v_lshlrev_b64 v[0:1], 1, v[0:1]
	v_add_co_u32_e32 v0, vcc, s0, v0
	v_addc_co_u32_e32 v1, vcc, v3, v1, vcc
	v_add_co_u32_e32 v2, vcc, v0, v2
	v_addc_co_u32_e32 v3, vcc, 0, v1, vcc
	global_load_dwordx4 v[12:15], v[2:3], off offset:16
	global_load_dwordx4 v[4:7], v[2:3], off
	v_lshlrev_b32_e32 v26, 4, v25
	v_mov_b32_e32 v23, 0
	v_cmp_eq_u32_e64 s[0:1], 0, v25
	s_and_saveexec_b64 s[2:3], s[0:1]
	s_cbranch_execz .LBB261_6
; %bb.5:
	global_load_ushort v0, v[0:1], off offset:64
	s_mov_b32 s6, 0xbfb8aa3b
	s_mov_b32 s7, 0x42ce8ed0
	;; [unrolled: 1-line block ×3, first 2 shown]
	v_mov_b32_e32 v3, 0x7f800000
	v_mov_b32_e32 v10, s35
	s_waitcnt vmcnt(0)
	v_cvt_f32_u32_e32 v2, v0
	v_mul_lo_u32 v0, v22, s39
	v_add_u32_e32 v0, s36, v0
	v_mul_f32_e32 v1, 0xbfb8aa3b, v2
	v_rndne_f32_e32 v8, v1
	v_fma_f32 v9, v2, s6, -v1
	v_sub_f32_e32 v1, v1, v8
	v_fmac_f32_e32 v9, 0xb2a5705f, v2
	v_add_f32_e32 v1, v1, v9
	v_cvt_i32_f32_e32 v8, v8
	v_exp_f32_e32 v9, v1
	v_cmp_nlt_f32_e32 vcc, s7, v2
	v_ashrrev_i32_e32 v1, 31, v0
	v_lshlrev_b64 v[0:1], 2, v[0:1]
	v_ldexp_f32 v8, v9, v8
	v_cndmask_b32_e32 v8, 0, v8, vcc
	v_cmp_ngt_f32_e32 vcc, s9, v2
	v_cndmask_b32_e32 v2, v3, v8, vcc
	v_add_f32_e32 v2, 1.0, v2
	v_div_scale_f32 v3, s[6:7], v2, v2, 1.0
	v_rcp_f32_e32 v8, v3
	v_div_scale_f32 v9, vcc, 1.0, v2, 1.0
	v_fma_f32 v11, -v3, v8, 1.0
	v_fmac_f32_e32 v8, v11, v8
	v_mul_f32_e32 v11, v9, v8
	v_fma_f32 v16, -v3, v11, v9
	v_fmac_f32_e32 v11, v16, v8
	v_fma_f32 v3, -v3, v11, v9
	v_div_fmas_f32 v3, v3, v8, v11
	v_add_co_u32_e32 v0, vcc, s34, v0
	v_div_fixup_f32 v2, v3, v2, 1.0
	v_addc_co_u32_e32 v1, vcc, v10, v1, vcc
	global_store_dword v[0:1], v2, off
.LBB261_6:
	s_or_b64 exec, exec, s[2:3]
	s_waitcnt vmcnt(0)
	v_cvt_f32_u32_sdwa v1, v4 dst_sel:DWORD dst_unused:UNUSED_PAD src0_sel:WORD_1
	v_cvt_f32_u32_sdwa v0, v4 dst_sel:DWORD dst_unused:UNUSED_PAD src0_sel:WORD_0
	v_cvt_f32_u32_sdwa v2, v5 dst_sel:DWORD dst_unused:UNUSED_PAD src0_sel:WORD_0
	v_or_b32_e32 v27, 1, v26
	v_or_b32_e32 v28, 2, v26
	v_cmp_lt_f32_e32 vcc, v0, v1
	v_cndmask_b32_e32 v4, v0, v1, vcc
	v_cndmask_b32_e32 v3, v26, v27, vcc
	v_cmp_lt_f32_e32 vcc, v4, v2
	v_cndmask_b32_e32 v8, v3, v28, vcc
	v_cvt_f32_u32_sdwa v3, v5 dst_sel:DWORD dst_unused:UNUSED_PAD src0_sel:WORD_1
	v_cndmask_b32_e32 v4, v4, v2, vcc
	v_or_b32_e32 v29, 3, v26
	v_or_b32_e32 v30, 4, v26
	v_cmp_lt_f32_e32 vcc, v4, v3
	v_cndmask_b32_e32 v5, v8, v29, vcc
	v_cndmask_b32_e32 v8, v4, v3, vcc
	v_cvt_f32_u32_sdwa v4, v6 dst_sel:DWORD dst_unused:UNUSED_PAD src0_sel:WORD_0
	v_or_b32_e32 v31, 5, v26
	v_or_b32_e32 v32, 6, v26
	;; [unrolled: 1-line block ×3, first 2 shown]
	v_cmp_lt_f32_e32 vcc, v8, v4
	v_cndmask_b32_e32 v9, v5, v30, vcc
	v_cvt_f32_u32_sdwa v5, v6 dst_sel:DWORD dst_unused:UNUSED_PAD src0_sel:WORD_1
	v_cvt_f32_u32_sdwa v6, v7 dst_sel:DWORD dst_unused:UNUSED_PAD src0_sel:WORD_0
	v_cndmask_b32_e32 v8, v8, v4, vcc
	v_cvt_f32_u32_sdwa v7, v7 dst_sel:DWORD dst_unused:UNUSED_PAD src0_sel:WORD_1
	v_cmp_lt_f32_e32 vcc, v8, v5
	v_cndmask_b32_e32 v8, v8, v5, vcc
	v_cndmask_b32_e32 v9, v9, v31, vcc
	v_cmp_lt_f32_e32 vcc, v8, v6
	v_cndmask_b32_e32 v8, v8, v6, vcc
	v_cndmask_b32_e32 v9, v9, v32, vcc
	v_cmp_lt_f32_e32 vcc, v8, v7
	v_cndmask_b32_e32 v10, v8, v7, vcc
	v_cvt_f32_u32_sdwa v8, v12 dst_sel:DWORD dst_unused:UNUSED_PAD src0_sel:WORD_0
	v_cndmask_b32_e32 v9, v9, v33, vcc
	v_or_b32_e32 v34, 8, v26
	v_or_b32_e32 v35, 9, v26
	v_cmp_lt_f32_e32 vcc, v10, v8
	v_cndmask_b32_e32 v11, v9, v34, vcc
	v_cvt_f32_u32_sdwa v9, v12 dst_sel:DWORD dst_unused:UNUSED_PAD src0_sel:WORD_1
	v_cndmask_b32_e32 v10, v10, v8, vcc
	v_or_b32_e32 v36, 10, v26
	v_or_b32_e32 v37, 11, v26
	v_cmp_lt_f32_e32 vcc, v10, v9
	v_cndmask_b32_e32 v12, v10, v9, vcc
	v_cvt_f32_u32_sdwa v10, v13 dst_sel:DWORD dst_unused:UNUSED_PAD src0_sel:WORD_0
	v_cndmask_b32_e32 v11, v11, v35, vcc
	v_or_b32_e32 v38, 12, v26
	v_or_b32_e32 v41, 13, v26
	v_cmp_lt_f32_e32 vcc, v12, v10
	v_cndmask_b32_e32 v16, v11, v36, vcc
	v_cvt_f32_u32_sdwa v11, v13 dst_sel:DWORD dst_unused:UNUSED_PAD src0_sel:WORD_1
	v_cndmask_b32_e32 v12, v12, v10, vcc
	v_or_b32_e32 v42, 14, v26
	v_or_b32_e32 v43, 15, v26
	v_cmp_lt_f32_e32 vcc, v12, v11
	v_cndmask_b32_e32 v13, v16, v37, vcc
	v_cndmask_b32_e32 v16, v12, v11, vcc
	v_cvt_f32_u32_sdwa v12, v14 dst_sel:DWORD dst_unused:UNUSED_PAD src0_sel:WORD_0
	v_cmp_lt_f32_e32 vcc, v16, v12
	v_cndmask_b32_e32 v17, v13, v38, vcc
	v_cvt_f32_u32_sdwa v13, v14 dst_sel:DWORD dst_unused:UNUSED_PAD src0_sel:WORD_1
	v_cvt_f32_u32_sdwa v14, v15 dst_sel:DWORD dst_unused:UNUSED_PAD src0_sel:WORD_0
	v_cndmask_b32_e32 v16, v16, v12, vcc
	v_cvt_f32_u32_sdwa v15, v15 dst_sel:DWORD dst_unused:UNUSED_PAD src0_sel:WORD_1
	v_cmp_lt_f32_e32 vcc, v16, v13
	v_cndmask_b32_e32 v16, v16, v13, vcc
	v_cndmask_b32_e32 v17, v17, v41, vcc
	v_cmp_lt_f32_e32 vcc, v16, v14
	v_cndmask_b32_e32 v18, v16, v14, vcc
	v_cndmask_b32_e32 v17, v17, v42, vcc
	;; [unrolled: 3-line block ×3, first 2 shown]
	s_nop 0
	v_mov_b32_dpp v17, v16 quad_perm:[1,0,3,2] row_mask:0xf bank_mask:0xf
	v_mov_b32_dpp v19, v18 quad_perm:[1,0,3,2] row_mask:0xf bank_mask:0xf
	v_cmp_eq_f32_e64 s[2:3], v18, v19
	v_cmp_lt_i32_e64 s[6:7], v17, v16
	v_cmp_lt_f32_e32 vcc, v18, v19
	s_and_b64 s[2:3], s[2:3], s[6:7]
	s_or_b64 s[2:3], vcc, s[2:3]
	s_cmp_gt_i32 s36, 0
	s_cselect_b64 s[44:45], -1, 0
	v_cndmask_b32_e64 v24, v18, v19, s[2:3]
	s_and_b64 vcc, exec, s[44:45]
	s_cbranch_vccz .LBB261_18
; %bb.7:
	s_load_dwordx4 s[40:43], s[4:5], 0x20
	v_cndmask_b32_e64 v44, v16, v17, s[2:3]
	v_mul_lo_u32 v20, v22, s39
	v_mul_lo_u32 v18, v22, s8
	;; [unrolled: 1-line block ×3, first 2 shown]
	v_mov_b32_e32 v23, 0
	s_and_saveexec_b64 s[4:5], s[0:1]
	s_cbranch_execz .LBB261_9
; %bb.8:
	v_sub_f32_e32 v17, v24, v24
	v_mul_f32_e32 v19, 0x3fb8aa3b, v17
	s_mov_b32 s2, 0x3fb8aa3b
	v_rndne_f32_e32 v21, v19
	v_sub_f32_e32 v23, v19, v21
	v_fma_f32 v19, v17, s2, -v19
	v_fmac_f32_e32 v19, 0x32a5705f, v17
	v_add_f32_e32 v19, v23, v19
	v_exp_f32_e32 v19, v19
	v_cvt_i32_f32_e32 v21, v21
	v_cmp_le_i32_e32 vcc, s37, v44
	v_cmp_gt_i32_e64 s[2:3], s38, v44
	s_mov_b32 s6, 0xc2ce8ed0
	s_and_b64 s[2:3], vcc, s[2:3]
	v_ldexp_f32 v19, v19, v21
	v_cmp_ngt_f32_e32 vcc, s6, v17
	s_mov_b32 s6, 0x42b17218
	v_cndmask_b32_e32 v19, 0, v19, vcc
	v_mov_b32_e32 v21, 0x7f800000
	v_cmp_nlt_f32_e32 vcc, s6, v17
	v_cndmask_b32_e32 v23, v21, v19, vcc
	v_ashrrev_i32_e32 v21, 31, v20
	v_lshlrev_b64 v[46:47], 2, v[20:21]
	v_mov_b32_e32 v17, s35
	v_add_co_u32_e32 v46, vcc, s34, v46
	v_addc_co_u32_e32 v47, vcc, v17, v47, vcc
	v_ashrrev_i32_e32 v19, 31, v18
	global_store_dword v[46:47], v23, off
	v_subrev_u32_e32 v17, s37, v44
	s_and_b64 vcc, s[46:47], s[2:3]
	v_lshlrev_b64 v[46:47], 2, v[18:19]
	v_cndmask_b32_e32 v17, 32, v17, vcc
	s_waitcnt lgkmcnt(0)
	v_mov_b32_e32 v19, s41
	v_add_co_u32_e32 v46, vcc, s40, v46
	v_addc_co_u32_e32 v47, vcc, v19, v47, vcc
	global_store_dword v[46:47], v17, off
	v_ashrrev_i32_e32 v17, 31, v16
	v_lshlrev_b64 v[46:47], 2, v[16:17]
	v_mov_b32_e32 v17, s43
	v_add_co_u32_e32 v46, vcc, s42, v46
	v_addc_co_u32_e32 v47, vcc, v17, v47, vcc
	global_store_dword v[46:47], v22, off
.LBB261_9:
	s_or_b64 exec, exec, s[4:5]
	v_ashrrev_i32_e32 v19, 31, v44
	v_lshrrev_b32_e32 v17, 28, v19
	v_add_u32_e32 v21, v44, v17
	v_ashrrev_i32_e32 v17, 4, v21
	v_lshrrev_b32_e32 v21, 31, v21
	v_add_u32_e32 v21, v17, v21
	v_and_b32_e32 v21, -2, v21
	v_sub_u32_e32 v21, v17, v21
	v_cmp_eq_u32_e32 vcc, v25, v21
	s_and_saveexec_b64 s[48:49], vcc
	s_cbranch_execz .LBB261_11
; %bb.10:
	v_lshrrev_b32_e32 v19, 27, v19
	v_add_u32_e32 v19, v44, v19
	v_lshlrev_b32_e32 v17, 4, v17
	v_sub_u32_e32 v17, v44, v17
	v_ashrrev_i32_e32 v19, 5, v19
	v_lshl_add_u32 v17, v19, 4, v17
	v_mov_b32_e32 v19, 0xff800000
	v_cmp_ne_u32_e32 vcc, 14, v17
	v_cmp_ne_u32_e64 s[2:3], 13, v17
	v_cmp_ne_u32_e64 s[4:5], 12, v17
	;; [unrolled: 1-line block ×15, first 2 shown]
	v_cndmask_b32_e64 v15, v19, v15, s[30:31]
	v_cndmask_b32_e32 v14, v19, v14, vcc
	v_cndmask_b32_e64 v13, v19, v13, s[2:3]
	v_cndmask_b32_e64 v12, v19, v12, s[4:5]
	v_cndmask_b32_e64 v11, v19, v11, s[6:7]
	v_cndmask_b32_e64 v10, v19, v10, s[8:9]
	v_cndmask_b32_e64 v9, v19, v9, s[10:11]
	v_cndmask_b32_e64 v8, v19, v8, s[12:13]
	v_cndmask_b32_e64 v7, v19, v7, s[14:15]
	v_cndmask_b32_e64 v6, v19, v6, s[16:17]
	v_cndmask_b32_e64 v5, v19, v5, s[18:19]
	v_cndmask_b32_e64 v4, v19, v4, s[20:21]
	v_cndmask_b32_e64 v3, v19, v3, s[22:23]
	v_cndmask_b32_e64 v2, v19, v2, s[24:25]
	v_cndmask_b32_e64 v1, v19, v1, s[26:27]
	v_cndmask_b32_e64 v0, v19, v0, s[28:29]
.LBB261_11:
	s_or_b64 exec, exec, s[48:49]
	s_cmp_eq_u32 s36, 1
	s_cbranch_scc1 .LBB261_18
; %bb.12:
	s_add_i32 s50, s50, s33
	s_add_i32 s51, s36, -1
	v_add3_u32 v39, s50, v40, v39
	v_add_u32_e32 v16, 1, v16
	v_add_u32_e32 v18, 1, v18
	;; [unrolled: 1-line block ×3, first 2 shown]
	s_mov_b32 s50, 0x3fb8aa3b
	s_mov_b32 s52, 0xc2ce8ed0
	;; [unrolled: 1-line block ×3, first 2 shown]
	v_mov_b32_e32 v40, 0x7f800000
	v_mov_b32_e32 v44, 0xff800000
	s_branch .LBB261_14
.LBB261_13:                             ;   in Loop: Header=BB261_14 Depth=1
	s_or_b64 exec, exec, s[48:49]
	s_add_i32 s51, s51, -1
	v_add_u32_e32 v39, s33, v39
	v_add_u32_e32 v16, 1, v16
	;; [unrolled: 1-line block ×3, first 2 shown]
	s_cmp_eq_u32 s51, 0
	v_add_u32_e32 v20, 1, v20
	s_cbranch_scc1 .LBB261_18
.LBB261_14:                             ; =>This Inner Loop Header: Depth=1
	v_cmp_gt_f32_e32 vcc, v1, v0
	v_cndmask_b32_e32 v19, v0, v1, vcc
	v_cndmask_b32_e32 v17, v26, v27, vcc
	v_cmp_gt_f32_e32 vcc, v2, v19
	v_cndmask_b32_e32 v19, v19, v2, vcc
	v_cndmask_b32_e32 v17, v17, v28, vcc
	v_cmp_gt_f32_e32 vcc, v3, v19
	v_cndmask_b32_e32 v19, v19, v3, vcc
	v_cndmask_b32_e32 v17, v17, v29, vcc
	v_cmp_gt_f32_e32 vcc, v4, v19
	v_cndmask_b32_e32 v19, v19, v4, vcc
	v_cndmask_b32_e32 v17, v17, v30, vcc
	v_cmp_gt_f32_e32 vcc, v5, v19
	v_cndmask_b32_e32 v19, v19, v5, vcc
	v_cndmask_b32_e32 v17, v17, v31, vcc
	v_cmp_gt_f32_e32 vcc, v6, v19
	v_cndmask_b32_e32 v19, v19, v6, vcc
	v_cndmask_b32_e32 v17, v17, v32, vcc
	v_cmp_gt_f32_e32 vcc, v7, v19
	v_cndmask_b32_e32 v19, v19, v7, vcc
	v_cndmask_b32_e32 v17, v17, v33, vcc
	v_cmp_gt_f32_e32 vcc, v8, v19
	v_cndmask_b32_e32 v19, v19, v8, vcc
	v_cndmask_b32_e32 v17, v17, v34, vcc
	v_cmp_gt_f32_e32 vcc, v9, v19
	v_cndmask_b32_e32 v19, v19, v9, vcc
	v_cndmask_b32_e32 v17, v17, v35, vcc
	v_cmp_gt_f32_e32 vcc, v10, v19
	v_cndmask_b32_e32 v19, v19, v10, vcc
	v_cndmask_b32_e32 v17, v17, v36, vcc
	v_cmp_gt_f32_e32 vcc, v11, v19
	v_cndmask_b32_e32 v19, v19, v11, vcc
	v_cndmask_b32_e32 v17, v17, v37, vcc
	v_cmp_gt_f32_e32 vcc, v12, v19
	v_cndmask_b32_e32 v19, v19, v12, vcc
	v_cndmask_b32_e32 v17, v17, v38, vcc
	v_cmp_gt_f32_e32 vcc, v13, v19
	v_cndmask_b32_e32 v19, v19, v13, vcc
	v_cndmask_b32_e32 v17, v17, v41, vcc
	v_cmp_gt_f32_e32 vcc, v14, v19
	v_cndmask_b32_e32 v19, v19, v14, vcc
	v_cndmask_b32_e32 v17, v17, v42, vcc
	v_cmp_gt_f32_e32 vcc, v15, v19
	v_cndmask_b32_e32 v21, v17, v43, vcc
	v_cndmask_b32_e32 v17, v19, v15, vcc
	s_nop 0
	v_mov_b32_dpp v45, v21 quad_perm:[1,0,3,2] row_mask:0xf bank_mask:0xf
	v_mov_b32_dpp v19, v17 quad_perm:[1,0,3,2] row_mask:0xf bank_mask:0xf
	v_cmp_eq_f32_e64 s[2:3], v17, v19
	v_cmp_lt_i32_e64 s[4:5], v45, v21
	v_cmp_lt_f32_e32 vcc, v17, v19
	s_and_b64 s[2:3], s[2:3], s[4:5]
	s_or_b64 vcc, vcc, s[2:3]
	v_cndmask_b32_e32 v45, v21, v45, vcc
	s_and_saveexec_b64 s[4:5], s[0:1]
	s_cbranch_execz .LBB261_16
; %bb.15:                               ;   in Loop: Header=BB261_14 Depth=1
	v_cndmask_b32_e32 v17, v17, v19, vcc
	v_sub_f32_e32 v17, v17, v24
	v_mul_f32_e32 v19, 0x3fb8aa3b, v17
	v_fma_f32 v21, v17, s50, -v19
	v_rndne_f32_e32 v46, v19
	v_fmac_f32_e32 v21, 0x32a5705f, v17
	v_sub_f32_e32 v19, v19, v46
	v_add_f32_e32 v19, v19, v21
	v_exp_f32_e32 v19, v19
	v_cvt_i32_f32_e32 v21, v46
	v_cmp_le_i32_e32 vcc, s37, v45
	v_cmp_gt_i32_e64 s[2:3], s38, v45
	s_and_b64 s[2:3], vcc, s[2:3]
	v_ldexp_f32 v19, v19, v21
	v_cmp_ngt_f32_e32 vcc, s52, v17
	v_ashrrev_i32_e32 v21, 31, v20
	v_cndmask_b32_e32 v19, 0, v19, vcc
	v_cmp_nlt_f32_e32 vcc, s53, v17
	v_lshlrev_b64 v[46:47], 2, v[20:21]
	v_cndmask_b32_e32 v48, v40, v19, vcc
	v_mov_b32_e32 v17, s35
	v_add_co_u32_e32 v46, vcc, s34, v46
	v_addc_co_u32_e32 v47, vcc, v17, v47, vcc
	v_ashrrev_i32_e32 v19, 31, v18
	global_store_dword v[46:47], v48, off
	v_subrev_u32_e32 v17, s37, v45
	s_and_b64 vcc, s[46:47], s[2:3]
	v_lshlrev_b64 v[46:47], 2, v[18:19]
	v_cndmask_b32_e32 v17, 32, v17, vcc
	s_waitcnt lgkmcnt(0)
	v_mov_b32_e32 v19, s41
	v_add_co_u32_e32 v46, vcc, s40, v46
	v_addc_co_u32_e32 v47, vcc, v19, v47, vcc
	global_store_dword v[46:47], v17, off
	v_ashrrev_i32_e32 v17, 31, v16
	v_lshlrev_b64 v[46:47], 2, v[16:17]
	v_mov_b32_e32 v17, s43
	v_add_co_u32_e32 v46, vcc, s42, v46
	v_addc_co_u32_e32 v47, vcc, v17, v47, vcc
	v_add_f32_e32 v23, v23, v48
	global_store_dword v[46:47], v39, off
.LBB261_16:                             ;   in Loop: Header=BB261_14 Depth=1
	s_or_b64 exec, exec, s[4:5]
	v_ashrrev_i32_e32 v19, 31, v45
	v_lshrrev_b32_e32 v17, 28, v19
	v_add_u32_e32 v21, v45, v17
	v_ashrrev_i32_e32 v17, 4, v21
	v_lshrrev_b32_e32 v21, 31, v21
	v_add_u32_e32 v21, v17, v21
	v_and_b32_e32 v21, -2, v21
	v_sub_u32_e32 v21, v17, v21
	v_cmp_eq_u32_e32 vcc, v25, v21
	s_and_saveexec_b64 s[48:49], vcc
	s_cbranch_execz .LBB261_13
; %bb.17:                               ;   in Loop: Header=BB261_14 Depth=1
	v_lshrrev_b32_e32 v19, 27, v19
	v_add_u32_e32 v19, v45, v19
	v_lshlrev_b32_e32 v17, 4, v17
	v_sub_u32_e32 v17, v45, v17
	v_ashrrev_i32_e32 v19, 5, v19
	v_lshl_add_u32 v17, v19, 4, v17
	v_cmp_ne_u32_e32 vcc, 14, v17
	v_cmp_ne_u32_e64 s[2:3], 13, v17
	v_cmp_ne_u32_e64 s[4:5], 12, v17
	;; [unrolled: 1-line block ×15, first 2 shown]
	v_cndmask_b32_e64 v15, v44, v15, s[30:31]
	v_cndmask_b32_e32 v14, v44, v14, vcc
	v_cndmask_b32_e64 v13, v44, v13, s[2:3]
	v_cndmask_b32_e64 v12, v44, v12, s[4:5]
	;; [unrolled: 1-line block ×14, first 2 shown]
	s_branch .LBB261_13
.LBB261_18:
	v_sub_f32_e32 v0, v0, v24
	s_mov_b32 s4, 0x3fb8aa3b
	v_mul_f32_e32 v16, 0x3fb8aa3b, v0
	v_fma_f32 v17, v0, s4, -v16
	v_rndne_f32_e32 v18, v16
	v_fmac_f32_e32 v17, 0x32a5705f, v0
	v_sub_f32_e32 v16, v16, v18
	v_add_f32_e32 v16, v16, v17
	v_exp_f32_e32 v16, v16
	v_cvt_i32_f32_e32 v17, v18
	v_sub_f32_e32 v1, v1, v24
	s_mov_b32 s6, 0xc2ce8ed0
	s_mov_b32 s5, 0x42b17218
	v_ldexp_f32 v16, v16, v17
	v_mul_f32_e32 v17, 0x3fb8aa3b, v1
	v_fma_f32 v18, v1, s4, -v17
	v_rndne_f32_e32 v19, v17
	v_fmac_f32_e32 v18, 0x32a5705f, v1
	v_sub_f32_e32 v17, v17, v19
	v_add_f32_e32 v17, v17, v18
	v_exp_f32_e32 v17, v17
	v_cvt_i32_f32_e32 v18, v19
	v_cmp_ngt_f32_e32 vcc, s6, v1
	v_cmp_ngt_f32_e64 s[2:3], s6, v0
	v_sub_f32_e32 v2, v2, v24
	v_ldexp_f32 v17, v17, v18
	v_cndmask_b32_e32 v17, 0, v17, vcc
	v_mov_b32_e32 v18, 0x7f800000
	v_cmp_nlt_f32_e32 vcc, s5, v1
	v_cndmask_b32_e64 v1, 0, v16, s[2:3]
	v_cmp_nlt_f32_e64 s[2:3], s5, v0
	v_cndmask_b32_e64 v0, v18, v1, s[2:3]
	v_cndmask_b32_e32 v1, v18, v17, vcc
	v_add_f32_e32 v0, v0, v1
	v_mul_f32_e32 v1, 0x3fb8aa3b, v2
	v_fma_f32 v16, v2, s4, -v1
	v_rndne_f32_e32 v17, v1
	v_fmac_f32_e32 v16, 0x32a5705f, v2
	v_sub_f32_e32 v1, v1, v17
	v_add_f32_e32 v1, v1, v16
	v_exp_f32_e32 v1, v1
	v_cvt_i32_f32_e32 v16, v17
	v_cmp_ngt_f32_e32 vcc, s6, v2
	v_sub_f32_e32 v3, v3, v24
	v_sub_f32_e32 v4, v4, v24
	v_ldexp_f32 v1, v1, v16
	v_cndmask_b32_e32 v1, 0, v1, vcc
	v_cmp_nlt_f32_e32 vcc, s5, v2
	v_cndmask_b32_e32 v1, v18, v1, vcc
	v_add_f32_e32 v0, v0, v1
	v_mul_f32_e32 v1, 0x3fb8aa3b, v3
	v_fma_f32 v2, v3, s4, -v1
	v_rndne_f32_e32 v16, v1
	v_fmac_f32_e32 v2, 0x32a5705f, v3
	v_sub_f32_e32 v1, v1, v16
	v_add_f32_e32 v1, v1, v2
	v_exp_f32_e32 v1, v1
	v_cvt_i32_f32_e32 v2, v16
	v_cmp_ngt_f32_e32 vcc, s6, v3
	v_sub_f32_e32 v5, v5, v24
	v_sub_f32_e32 v6, v6, v24
	v_ldexp_f32 v1, v1, v2
	v_cndmask_b32_e32 v1, 0, v1, vcc
	v_cmp_nlt_f32_e32 vcc, s5, v3
	v_cndmask_b32_e32 v1, v18, v1, vcc
	v_add_f32_e32 v0, v0, v1
	v_mul_f32_e32 v1, 0x3fb8aa3b, v4
	v_fma_f32 v2, v4, s4, -v1
	v_rndne_f32_e32 v3, v1
	v_fmac_f32_e32 v2, 0x32a5705f, v4
	v_sub_f32_e32 v1, v1, v3
	v_add_f32_e32 v1, v1, v2
	v_exp_f32_e32 v1, v1
	v_cvt_i32_f32_e32 v2, v3
	v_cmp_ngt_f32_e32 vcc, s6, v4
	v_sub_f32_e32 v7, v7, v24
	v_sub_f32_e32 v8, v8, v24
	v_ldexp_f32 v1, v1, v2
	v_cndmask_b32_e32 v1, 0, v1, vcc
	v_cmp_nlt_f32_e32 vcc, s5, v4
	v_cndmask_b32_e32 v1, v18, v1, vcc
	v_add_f32_e32 v0, v0, v1
	v_mul_f32_e32 v1, 0x3fb8aa3b, v5
	v_fma_f32 v2, v5, s4, -v1
	v_rndne_f32_e32 v3, v1
	v_fmac_f32_e32 v2, 0x32a5705f, v5
	v_sub_f32_e32 v1, v1, v3
	v_add_f32_e32 v1, v1, v2
	v_exp_f32_e32 v1, v1
	v_cvt_i32_f32_e32 v2, v3
	v_cmp_ngt_f32_e32 vcc, s6, v5
	v_sub_f32_e32 v9, v9, v24
	v_sub_f32_e32 v10, v10, v24
	v_ldexp_f32 v1, v1, v2
	v_cndmask_b32_e32 v1, 0, v1, vcc
	v_cmp_nlt_f32_e32 vcc, s5, v5
	v_cndmask_b32_e32 v1, v18, v1, vcc
	v_add_f32_e32 v0, v0, v1
	v_mul_f32_e32 v1, 0x3fb8aa3b, v6
	v_fma_f32 v2, v6, s4, -v1
	v_rndne_f32_e32 v3, v1
	v_fmac_f32_e32 v2, 0x32a5705f, v6
	v_sub_f32_e32 v1, v1, v3
	v_add_f32_e32 v1, v1, v2
	v_exp_f32_e32 v1, v1
	v_cvt_i32_f32_e32 v2, v3
	v_cmp_ngt_f32_e32 vcc, s6, v6
	v_sub_f32_e32 v11, v11, v24
	v_sub_f32_e32 v12, v12, v24
	v_ldexp_f32 v1, v1, v2
	v_mul_f32_e32 v2, 0x3fb8aa3b, v7
	v_fma_f32 v3, v7, s4, -v2
	v_rndne_f32_e32 v4, v2
	v_fmac_f32_e32 v3, 0x32a5705f, v7
	v_sub_f32_e32 v2, v2, v4
	v_add_f32_e32 v2, v2, v3
	v_exp_f32_e32 v2, v2
	v_cvt_i32_f32_e32 v3, v4
	v_cndmask_b32_e32 v1, 0, v1, vcc
	v_cmp_nlt_f32_e32 vcc, s5, v6
	v_cndmask_b32_e32 v1, v18, v1, vcc
	v_add_f32_e32 v0, v0, v1
	v_ldexp_f32 v1, v2, v3
	v_mul_f32_e32 v2, 0x3fb8aa3b, v8
	v_fma_f32 v3, v8, s4, -v2
	v_rndne_f32_e32 v4, v2
	v_fmac_f32_e32 v3, 0x32a5705f, v8
	v_sub_f32_e32 v2, v2, v4
	v_add_f32_e32 v2, v2, v3
	v_exp_f32_e32 v2, v2
	v_cvt_i32_f32_e32 v3, v4
	v_cmp_ngt_f32_e32 vcc, s6, v7
	v_cndmask_b32_e32 v1, 0, v1, vcc
	v_cmp_nlt_f32_e32 vcc, s5, v7
	v_cndmask_b32_e32 v1, v18, v1, vcc
	v_add_f32_e32 v0, v0, v1
	v_ldexp_f32 v1, v2, v3
	v_mul_f32_e32 v2, 0x3fb8aa3b, v9
	v_fma_f32 v3, v9, s4, -v2
	v_rndne_f32_e32 v4, v2
	v_fmac_f32_e32 v3, 0x32a5705f, v9
	v_sub_f32_e32 v2, v2, v4
	v_add_f32_e32 v2, v2, v3
	v_exp_f32_e32 v2, v2
	v_cvt_i32_f32_e32 v3, v4
	v_cmp_ngt_f32_e32 vcc, s6, v8
	;; [unrolled: 14-line block ×5, first 2 shown]
	v_cndmask_b32_e32 v1, 0, v1, vcc
	v_cmp_nlt_f32_e32 vcc, s5, v11
	v_cndmask_b32_e32 v1, v18, v1, vcc
	v_add_f32_e32 v0, v0, v1
	v_ldexp_f32 v1, v2, v3
	v_sub_f32_e32 v2, v13, v24
	v_mul_f32_e32 v3, 0x3fb8aa3b, v2
	v_fma_f32 v4, v2, s4, -v3
	v_rndne_f32_e32 v5, v3
	v_fmac_f32_e32 v4, 0x32a5705f, v2
	v_sub_f32_e32 v3, v3, v5
	v_add_f32_e32 v3, v3, v4
	v_exp_f32_e32 v3, v3
	v_cvt_i32_f32_e32 v4, v5
	v_cmp_ngt_f32_e32 vcc, s6, v12
	v_cndmask_b32_e32 v1, 0, v1, vcc
	v_cmp_nlt_f32_e32 vcc, s5, v12
	v_cndmask_b32_e32 v1, v18, v1, vcc
	v_add_f32_e32 v0, v0, v1
	v_ldexp_f32 v1, v3, v4
	v_sub_f32_e32 v3, v14, v24
	v_mul_f32_e32 v4, 0x3fb8aa3b, v3
	v_fma_f32 v5, v3, s4, -v4
	v_rndne_f32_e32 v6, v4
	v_fmac_f32_e32 v5, 0x32a5705f, v3
	v_sub_f32_e32 v4, v4, v6
	v_add_f32_e32 v4, v4, v5
	v_exp_f32_e32 v4, v4
	v_cvt_i32_f32_e32 v5, v6
	v_cmp_ngt_f32_e32 vcc, s6, v2
	v_cndmask_b32_e32 v1, 0, v1, vcc
	v_cmp_nlt_f32_e32 vcc, s5, v2
	v_cndmask_b32_e32 v1, v18, v1, vcc
	v_sub_f32_e32 v2, v15, v24
	v_add_f32_e32 v0, v0, v1
	v_ldexp_f32 v1, v4, v5
	v_mul_f32_e32 v4, 0x3fb8aa3b, v2
	v_fma_f32 v5, v2, s4, -v4
	v_rndne_f32_e32 v6, v4
	v_fmac_f32_e32 v5, 0x32a5705f, v2
	v_sub_f32_e32 v4, v4, v6
	v_add_f32_e32 v4, v4, v5
	v_exp_f32_e32 v4, v4
	v_cvt_i32_f32_e32 v5, v6
	v_cmp_ngt_f32_e32 vcc, s6, v3
	v_cndmask_b32_e32 v1, 0, v1, vcc
	v_cmp_nlt_f32_e32 vcc, s5, v3
	v_cndmask_b32_e32 v1, v18, v1, vcc
	v_add_f32_e32 v0, v0, v1
	v_ldexp_f32 v1, v4, v5
	v_cmp_ngt_f32_e32 vcc, s6, v2
	v_cndmask_b32_e32 v1, 0, v1, vcc
	v_cmp_nlt_f32_e32 vcc, s5, v2
	v_cndmask_b32_e32 v1, v18, v1, vcc
	v_add_f32_e32 v0, v0, v1
	s_nop 1
	v_mov_b32_dpp v1, v0 quad_perm:[1,0,3,2] row_mask:0xf bank_mask:0xf
	s_and_b64 exec, exec, s[0:1]
	s_cbranch_execz .LBB261_31
; %bb.19:
	v_add_f32_e32 v0, v0, v1
	v_add_f32_e32 v0, v23, v0
	v_cmp_neq_f32_e32 vcc, 0, v0
	s_and_b64 exec, exec, vcc
	s_cbranch_execz .LBB261_31
; %bb.20:
	s_andn2_b64 vcc, exec, s[44:45]
	s_cbranch_vccnz .LBB261_31
; %bb.21:
	v_div_scale_f32 v1, s[0:1], v0, v0, 1.0
	v_rcp_f32_e32 v2, v1
	v_div_scale_f32 v3, vcc, 1.0, v0, 1.0
	s_cmp_gt_u32 s36, 3
	v_fma_f32 v4, -v1, v2, 1.0
	v_fmac_f32_e32 v2, v4, v2
	v_mul_f32_e32 v4, v3, v2
	v_fma_f32 v5, -v1, v4, v3
	v_fmac_f32_e32 v4, v5, v2
	v_fma_f32 v1, -v1, v4, v3
	v_div_fmas_f32 v1, v1, v2, v4
	v_mul_lo_u32 v2, v22, s39
	v_div_fixup_f32 v0, v1, v0, 1.0
	v_ashrrev_i32_e32 v3, 31, v2
	s_cbranch_scc0 .LBB261_25
; %bb.22:
	v_lshlrev_b64 v[4:5], 2, v[2:3]
	v_mov_b32_e32 v6, s35
	v_add_co_u32_e32 v4, vcc, s34, v4
	v_addc_co_u32_e32 v5, vcc, v5, v6, vcc
	s_and_b32 s4, s36, 0x7ffffffc
	v_add_co_u32_e32 v4, vcc, 8, v4
	v_mov_b32_e32 v1, v0
	v_addc_co_u32_e32 v5, vcc, 0, v5, vcc
	s_mov_b32 s0, s4
.LBB261_23:                             ; =>This Inner Loop Header: Depth=1
	global_load_dwordx4 v[6:9], v[4:5], off offset:-8
	s_add_i32 s0, s0, -4
	s_cmp_lg_u32 s0, 0
	s_waitcnt vmcnt(0)
	v_pk_mul_f32 v[6:7], v[0:1], v[6:7]
	v_pk_mul_f32 v[8:9], v[0:1], v[8:9]
	global_store_dwordx4 v[4:5], v[6:9], off offset:-8
	v_add_co_u32_e32 v4, vcc, 16, v4
	v_addc_co_u32_e32 v5, vcc, 0, v5, vcc
	s_cbranch_scc1 .LBB261_23
; %bb.24:
	s_cmp_lg_u32 s4, s36
	s_mov_b64 s[2:3], 0
	s_cselect_b64 s[0:1], -1, 0
	s_branch .LBB261_26
.LBB261_25:
	s_mov_b64 s[2:3], -1
	s_mov_b64 s[0:1], 0
                                        ; implicit-def: $sgpr4
.LBB261_26:
	s_and_b64 vcc, exec, s[2:3]
	s_cbranch_vccz .LBB261_28
; %bb.27:
	s_mov_b64 s[0:1], -1
	s_mov_b32 s4, 0
.LBB261_28:
	s_andn2_b64 vcc, exec, s[0:1]
	s_cbranch_vccnz .LBB261_31
; %bb.29:
	v_add_co_u32_e32 v2, vcc, s4, v2
	v_addc_co_u32_e32 v3, vcc, 0, v3, vcc
	v_lshlrev_b64 v[2:3], 2, v[2:3]
	v_mov_b32_e32 v1, s35
	v_add_co_u32_e32 v2, vcc, s34, v2
	s_sub_i32 s0, s36, s4
	v_addc_co_u32_e32 v3, vcc, v1, v3, vcc
.LBB261_30:                             ; =>This Inner Loop Header: Depth=1
	global_load_dword v1, v[2:3], off
	s_add_i32 s0, s0, -1
	s_cmp_lg_u32 s0, 0
	s_waitcnt vmcnt(0)
	v_mul_f32_e32 v1, v0, v1
	global_store_dword v[2:3], v1, off
	v_add_co_u32_e32 v2, vcc, 4, v2
	v_addc_co_u32_e32 v3, vcc, 0, v3, vcc
	s_cbranch_scc1 .LBB261_30
.LBB261_31:
	s_endpgm
	.section	.rodata,"a",@progbits
	.p2align	6, 0x0
	.amdhsa_kernel _ZN4vllm3moe17topkGatingSoftmaxItLi16ELi32ELi8ELi32ELb0ELi1ELNS0_23SharedExpertScoringFuncE1EEEvPKT_PKbPfiPiS9_iiiiii
		.amdhsa_group_segment_fixed_size 0
		.amdhsa_private_segment_fixed_size 0
		.amdhsa_kernarg_size 72
		.amdhsa_user_sgpr_count 6
		.amdhsa_user_sgpr_private_segment_buffer 1
		.amdhsa_user_sgpr_dispatch_ptr 0
		.amdhsa_user_sgpr_queue_ptr 0
		.amdhsa_user_sgpr_kernarg_segment_ptr 1
		.amdhsa_user_sgpr_dispatch_id 0
		.amdhsa_user_sgpr_flat_scratch_init 0
		.amdhsa_user_sgpr_kernarg_preload_length 0
		.amdhsa_user_sgpr_kernarg_preload_offset 0
		.amdhsa_user_sgpr_private_segment_size 0
		.amdhsa_uses_dynamic_stack 0
		.amdhsa_system_sgpr_private_segment_wavefront_offset 0
		.amdhsa_system_sgpr_workgroup_id_x 1
		.amdhsa_system_sgpr_workgroup_id_y 0
		.amdhsa_system_sgpr_workgroup_id_z 0
		.amdhsa_system_sgpr_workgroup_info 0
		.amdhsa_system_vgpr_workitem_id 1
		.amdhsa_next_free_vgpr 49
		.amdhsa_next_free_sgpr 54
		.amdhsa_accum_offset 52
		.amdhsa_reserve_vcc 1
		.amdhsa_reserve_flat_scratch 0
		.amdhsa_float_round_mode_32 0
		.amdhsa_float_round_mode_16_64 0
		.amdhsa_float_denorm_mode_32 3
		.amdhsa_float_denorm_mode_16_64 3
		.amdhsa_dx10_clamp 1
		.amdhsa_ieee_mode 1
		.amdhsa_fp16_overflow 0
		.amdhsa_tg_split 0
		.amdhsa_exception_fp_ieee_invalid_op 0
		.amdhsa_exception_fp_denorm_src 0
		.amdhsa_exception_fp_ieee_div_zero 0
		.amdhsa_exception_fp_ieee_overflow 0
		.amdhsa_exception_fp_ieee_underflow 0
		.amdhsa_exception_fp_ieee_inexact 0
		.amdhsa_exception_int_div_zero 0
	.end_amdhsa_kernel
	.section	.text._ZN4vllm3moe17topkGatingSoftmaxItLi16ELi32ELi8ELi32ELb0ELi1ELNS0_23SharedExpertScoringFuncE1EEEvPKT_PKbPfiPiS9_iiiiii,"axG",@progbits,_ZN4vllm3moe17topkGatingSoftmaxItLi16ELi32ELi8ELi32ELb0ELi1ELNS0_23SharedExpertScoringFuncE1EEEvPKT_PKbPfiPiS9_iiiiii,comdat
.Lfunc_end261:
	.size	_ZN4vllm3moe17topkGatingSoftmaxItLi16ELi32ELi8ELi32ELb0ELi1ELNS0_23SharedExpertScoringFuncE1EEEvPKT_PKbPfiPiS9_iiiiii, .Lfunc_end261-_ZN4vllm3moe17topkGatingSoftmaxItLi16ELi32ELi8ELi32ELb0ELi1ELNS0_23SharedExpertScoringFuncE1EEEvPKT_PKbPfiPiS9_iiiiii
                                        ; -- End function
	.section	.AMDGPU.csdata,"",@progbits
; Kernel info:
; codeLenInByte = 4068
; NumSgprs: 58
; NumVgprs: 49
; NumAgprs: 0
; TotalNumVgprs: 49
; ScratchSize: 0
; MemoryBound: 0
; FloatMode: 240
; IeeeMode: 1
; LDSByteSize: 0 bytes/workgroup (compile time only)
; SGPRBlocks: 7
; VGPRBlocks: 6
; NumSGPRsForWavesPerEU: 58
; NumVGPRsForWavesPerEU: 49
; AccumOffset: 52
; Occupancy: 8
; WaveLimiterHint : 0
; COMPUTE_PGM_RSRC2:SCRATCH_EN: 0
; COMPUTE_PGM_RSRC2:USER_SGPR: 6
; COMPUTE_PGM_RSRC2:TRAP_HANDLER: 0
; COMPUTE_PGM_RSRC2:TGID_X_EN: 1
; COMPUTE_PGM_RSRC2:TGID_Y_EN: 0
; COMPUTE_PGM_RSRC2:TGID_Z_EN: 0
; COMPUTE_PGM_RSRC2:TIDIG_COMP_CNT: 1
; COMPUTE_PGM_RSRC3_GFX90A:ACCUM_OFFSET: 12
; COMPUTE_PGM_RSRC3_GFX90A:TG_SPLIT: 0
	.section	.text._ZN4vllm3moe17topkGatingSoftmaxItLi16ELi32ELi8ELi32ELb1ELi2ELNS0_23SharedExpertScoringFuncE1EEEvPKT_PKbPfiPiS9_iiiiii,"axG",@progbits,_ZN4vllm3moe17topkGatingSoftmaxItLi16ELi32ELi8ELi32ELb1ELi2ELNS0_23SharedExpertScoringFuncE1EEEvPKT_PKbPfiPiS9_iiiiii,comdat
	.protected	_ZN4vllm3moe17topkGatingSoftmaxItLi16ELi32ELi8ELi32ELb1ELi2ELNS0_23SharedExpertScoringFuncE1EEEvPKT_PKbPfiPiS9_iiiiii ; -- Begin function _ZN4vllm3moe17topkGatingSoftmaxItLi16ELi32ELi8ELi32ELb1ELi2ELNS0_23SharedExpertScoringFuncE1EEEvPKT_PKbPfiPiS9_iiiiii
	.globl	_ZN4vllm3moe17topkGatingSoftmaxItLi16ELi32ELi8ELi32ELb1ELi2ELNS0_23SharedExpertScoringFuncE1EEEvPKT_PKbPfiPiS9_iiiiii
	.p2align	8
	.type	_ZN4vllm3moe17topkGatingSoftmaxItLi16ELi32ELi8ELi32ELb1ELi2ELNS0_23SharedExpertScoringFuncE1EEEvPKT_PKbPfiPiS9_iiiiii,@function
_ZN4vllm3moe17topkGatingSoftmaxItLi16ELi32ELi8ELi32ELb1ELi2ELNS0_23SharedExpertScoringFuncE1EEEvPKT_PKbPfiPiS9_iiiiii: ; @_ZN4vllm3moe17topkGatingSoftmaxItLi16ELi32ELi8ELi32ELb1ELi2ELNS0_23SharedExpertScoringFuncE1EEEvPKT_PKbPfiPiS9_iiiiii
; %bb.0:
	s_load_dword s33, s[4:5], 0x18
	v_bfe_u32 v1, v0, 10, 10
	v_and_b32_e32 v0, 0x3ff, v0
	s_lshl_b32 s50, s6, 8
	v_lshlrev_b32_e32 v22, 5, v1
	v_lshrrev_b32_e32 v23, 1, v0
	v_add3_u32 v43, s50, v22, v23
	s_waitcnt lgkmcnt(0)
	v_cmp_gt_i32_e32 vcc, s33, v43
	s_and_saveexec_b64 s[0:1], vcc
	s_cbranch_execz .LBB262_27
; %bb.1:
	s_load_dwordx4 s[0:3], s[4:5], 0x0
	s_load_dwordx2 s[34:35], s[4:5], 0x10
	s_waitcnt lgkmcnt(0)
	s_cmp_eq_u64 s[2:3], 0
	s_cbranch_scc1 .LBB262_3
; %bb.2:
	v_ashrrev_i32_e32 v1, 31, v43
	v_mov_b32_e32 v3, s3
	v_add_co_u32_e32 v2, vcc, s2, v43
	v_addc_co_u32_e32 v3, vcc, v3, v1, vcc
	global_load_ubyte v1, v[2:3], off
	s_waitcnt vmcnt(0)
	v_and_b32_e32 v1, 1, v1
	v_cmp_eq_u32_e32 vcc, 1, v1
	s_xor_b64 s[2:3], vcc, -1
	s_orn2_b64 s[44:45], s[2:3], exec
	s_branch .LBB262_4
.LBB262_3:
	s_mov_b64 s[44:45], -1
.LBB262_4:
	s_load_dwordx2 s[8:9], s[4:5], 0x40
	s_load_dwordx4 s[36:39], s[4:5], 0x30
	v_mov_b32_e32 v1, s1
	v_and_b32_e32 v24, 1, v0
	v_lshlrev_b32_e32 v0, 1, v24
	s_waitcnt lgkmcnt(0)
	v_mul_lo_u32 v2, v43, s9
	v_ashrrev_i32_e32 v3, 31, v2
	v_lshlrev_b64 v[2:3], 1, v[2:3]
	v_add_co_u32_e32 v2, vcc, s0, v2
	v_addc_co_u32_e32 v3, vcc, v1, v3, vcc
	v_add_co_u32_e32 v0, vcc, v2, v0
	v_addc_co_u32_e32 v1, vcc, 0, v3, vcc
	global_load_ushort v8, v[0:1], off offset:64
	v_lshlrev_b32_e32 v4, 5, v24
	v_add_co_u32_e32 v0, vcc, v2, v4
	v_addc_co_u32_e32 v1, vcc, 0, v3, vcc
	global_load_dwordx4 v[4:7], v[0:1], off
	global_load_dwordx4 v[12:15], v[0:1], off offset:16
	v_mul_lo_u32 v16, v43, s39
	v_add3_u32 v0, v16, s36, v24
	v_ashrrev_i32_e32 v1, 31, v0
	s_mov_b32 s0, 0xbfb8aa3b
	v_lshlrev_b64 v[2:3], 2, v[0:1]
	s_mov_b32 s1, 0x42ce8ed0
	s_mov_b32 s2, 0xc2b17218
	v_mov_b32_e32 v9, 0x7f800000
	v_mov_b32_e32 v10, s35
	v_add_co_u32_e32 v2, vcc, s34, v2
	v_lshlrev_b32_e32 v25, 4, v24
	v_addc_co_u32_e32 v3, vcc, v10, v3, vcc
	v_or_b32_e32 v26, 1, v25
	v_or_b32_e32 v27, 2, v25
	;; [unrolled: 1-line block ×15, first 2 shown]
	s_cmp_gt_i32 s36, 0
	s_cselect_b64 s[46:47], -1, 0
	s_cmp_lt_i32 s36, 1
	v_mov_b32_e32 v41, 0
	s_waitcnt vmcnt(2)
	v_cvt_f32_u32_e32 v8, v8
	s_waitcnt vmcnt(1)
	v_cvt_f32_u32_sdwa v1, v4 dst_sel:DWORD dst_unused:UNUSED_PAD src0_sel:WORD_1
	v_cvt_f32_u32_sdwa v0, v4 dst_sel:DWORD dst_unused:UNUSED_PAD src0_sel:WORD_0
	v_mul_f32_e32 v4, 0xbfb8aa3b, v8
	v_fma_f32 v11, v8, s0, -v4
	v_rndne_f32_e32 v17, v4
	v_fmac_f32_e32 v11, 0xb2a5705f, v8
	v_sub_f32_e32 v4, v4, v17
	v_add_f32_e32 v4, v4, v11
	v_cvt_i32_f32_e32 v17, v17
	v_exp_f32_e32 v4, v4
	v_cmp_nlt_f32_e64 s[0:1], s1, v8
	v_cmp_lt_f32_e32 vcc, v0, v1
	v_cndmask_b32_e32 v10, v25, v26, vcc
	v_ldexp_f32 v4, v4, v17
	v_cndmask_b32_e64 v4, 0, v4, s[0:1]
	v_cmp_ngt_f32_e64 s[0:1], s2, v8
	v_cndmask_b32_e64 v4, v9, v4, s[0:1]
	v_add_f32_e32 v4, 1.0, v4
	v_div_scale_f32 v8, s[0:1], v4, v4, 1.0
	v_rcp_f32_e32 v9, v8
	v_cndmask_b32_e32 v11, v0, v1, vcc
	v_div_scale_f32 v17, vcc, 1.0, v4, 1.0
	v_fma_f32 v18, -v8, v9, 1.0
	v_fmac_f32_e32 v9, v18, v9
	v_mul_f32_e32 v18, v17, v9
	v_fma_f32 v19, -v8, v18, v17
	v_fmac_f32_e32 v18, v19, v9
	v_fma_f32 v8, -v8, v18, v17
	v_div_fmas_f32 v8, v8, v9, v18
	v_div_fixup_f32 v4, v8, v4, 1.0
	global_store_dword v[2:3], v4, off
	v_cvt_f32_u32_sdwa v2, v5 dst_sel:DWORD dst_unused:UNUSED_PAD src0_sel:WORD_0
	v_cvt_f32_u32_sdwa v3, v5 dst_sel:DWORD dst_unused:UNUSED_PAD src0_sel:WORD_1
	v_cmp_lt_f32_e32 vcc, v11, v2
	v_cndmask_b32_e32 v8, v11, v2, vcc
	v_cndmask_b32_e32 v4, v10, v27, vcc
	v_cmp_lt_f32_e32 vcc, v8, v3
	v_cndmask_b32_e32 v5, v4, v28, vcc
	v_cvt_f32_u32_sdwa v4, v6 dst_sel:DWORD dst_unused:UNUSED_PAD src0_sel:WORD_0
	v_cndmask_b32_e32 v8, v8, v3, vcc
	v_cmp_lt_f32_e32 vcc, v8, v4
	v_cndmask_b32_e32 v9, v5, v29, vcc
	v_cvt_f32_u32_sdwa v5, v6 dst_sel:DWORD dst_unused:UNUSED_PAD src0_sel:WORD_1
	v_cvt_f32_u32_sdwa v6, v7 dst_sel:DWORD dst_unused:UNUSED_PAD src0_sel:WORD_0
	v_cndmask_b32_e32 v8, v8, v4, vcc
	v_cvt_f32_u32_sdwa v7, v7 dst_sel:DWORD dst_unused:UNUSED_PAD src0_sel:WORD_1
	v_cmp_lt_f32_e32 vcc, v8, v5
	v_cndmask_b32_e32 v8, v8, v5, vcc
	v_cndmask_b32_e32 v9, v9, v30, vcc
	v_cmp_lt_f32_e32 vcc, v8, v6
	v_cndmask_b32_e32 v8, v8, v6, vcc
	v_cndmask_b32_e32 v9, v9, v31, vcc
	v_cmp_lt_f32_e32 vcc, v8, v7
	v_cndmask_b32_e32 v10, v8, v7, vcc
	s_waitcnt vmcnt(1)
	v_cvt_f32_u32_sdwa v8, v12 dst_sel:DWORD dst_unused:UNUSED_PAD src0_sel:WORD_0
	v_cndmask_b32_e32 v9, v9, v32, vcc
	v_cmp_lt_f32_e32 vcc, v10, v8
	v_cndmask_b32_e32 v11, v9, v33, vcc
	v_cvt_f32_u32_sdwa v9, v12 dst_sel:DWORD dst_unused:UNUSED_PAD src0_sel:WORD_1
	v_cndmask_b32_e32 v10, v10, v8, vcc
	v_cmp_lt_f32_e32 vcc, v10, v9
	v_cndmask_b32_e32 v12, v10, v9, vcc
	v_cvt_f32_u32_sdwa v10, v13 dst_sel:DWORD dst_unused:UNUSED_PAD src0_sel:WORD_0
	v_cndmask_b32_e32 v11, v11, v34, vcc
	v_cmp_lt_f32_e32 vcc, v12, v10
	v_cndmask_b32_e32 v17, v11, v35, vcc
	v_cvt_f32_u32_sdwa v11, v13 dst_sel:DWORD dst_unused:UNUSED_PAD src0_sel:WORD_1
	v_cndmask_b32_e32 v12, v12, v10, vcc
	v_cmp_lt_f32_e32 vcc, v12, v11
	v_cndmask_b32_e32 v13, v17, v36, vcc
	v_cndmask_b32_e32 v17, v12, v11, vcc
	v_cvt_f32_u32_sdwa v12, v14 dst_sel:DWORD dst_unused:UNUSED_PAD src0_sel:WORD_0
	v_cmp_lt_f32_e32 vcc, v17, v12
	v_cndmask_b32_e32 v18, v13, v37, vcc
	v_cvt_f32_u32_sdwa v13, v14 dst_sel:DWORD dst_unused:UNUSED_PAD src0_sel:WORD_1
	v_cvt_f32_u32_sdwa v14, v15 dst_sel:DWORD dst_unused:UNUSED_PAD src0_sel:WORD_0
	v_cndmask_b32_e32 v17, v17, v12, vcc
	v_cvt_f32_u32_sdwa v15, v15 dst_sel:DWORD dst_unused:UNUSED_PAD src0_sel:WORD_1
	v_cmp_lt_f32_e32 vcc, v17, v13
	v_cndmask_b32_e32 v17, v17, v13, vcc
	v_cndmask_b32_e32 v18, v18, v38, vcc
	v_cmp_lt_f32_e32 vcc, v17, v14
	v_cndmask_b32_e32 v17, v17, v14, vcc
	v_cndmask_b32_e32 v18, v18, v39, vcc
	;; [unrolled: 3-line block ×3, first 2 shown]
	v_cmp_eq_u32_e32 vcc, 0, v24
	v_mov_b32_dpp v20, v18 quad_perm:[1,0,3,2] row_mask:0xf bank_mask:0xf
	v_mov_b32_dpp v19, v17 quad_perm:[1,0,3,2] row_mask:0xf bank_mask:0xf
	s_cbranch_scc1 .LBB262_16
; %bb.5:
	s_load_dwordx4 s[40:43], s[4:5], 0x20
	v_cmp_eq_f32_e64 s[2:3], v17, v19
	v_cmp_lt_i32_e64 s[6:7], v20, v18
	v_cmp_lt_f32_e64 s[0:1], v17, v19
	s_and_b64 s[2:3], s[2:3], s[6:7]
	s_or_b64 s[0:1], s[0:1], s[2:3]
	v_cndmask_b32_e64 v44, v18, v20, s[0:1]
	v_cndmask_b32_e64 v42, v17, v19, s[0:1]
	v_mul_lo_u32 v20, v43, s8
	v_mul_lo_u32 v18, v43, s36
	v_mov_b32_e32 v41, 0
	s_and_saveexec_b64 s[4:5], vcc
	s_cbranch_execz .LBB262_7
; %bb.6:
	v_sub_f32_e32 v17, v42, v42
	v_mul_f32_e32 v19, 0x3fb8aa3b, v17
	s_mov_b32 s0, 0x3fb8aa3b
	v_rndne_f32_e32 v21, v19
	v_sub_f32_e32 v41, v19, v21
	v_fma_f32 v19, v17, s0, -v19
	v_fmac_f32_e32 v19, 0x32a5705f, v17
	v_add_f32_e32 v19, v41, v19
	v_exp_f32_e32 v19, v19
	v_cvt_i32_f32_e32 v21, v21
	v_cmp_le_i32_e64 s[0:1], s37, v44
	v_cmp_gt_i32_e64 s[2:3], s38, v44
	s_and_b64 s[2:3], s[0:1], s[2:3]
	s_mov_b32 s0, 0xc2ce8ed0
	v_ldexp_f32 v19, v19, v21
	v_cmp_ngt_f32_e64 s[0:1], s0, v17
	v_cndmask_b32_e64 v19, 0, v19, s[0:1]
	s_mov_b32 s0, 0x42b17218
	v_cmp_nlt_f32_e64 s[0:1], s0, v17
	v_ashrrev_i32_e32 v17, 31, v16
	v_mov_b32_e32 v21, 0x7f800000
	v_lshlrev_b64 v[46:47], 2, v[16:17]
	v_cndmask_b32_e64 v41, v21, v19, s[0:1]
	v_mov_b32_e32 v17, s35
	v_add_co_u32_e64 v46, s[0:1], s34, v46
	v_addc_co_u32_e64 v47, s[0:1], v17, v47, s[0:1]
	v_ashrrev_i32_e32 v21, 31, v20
	global_store_dword v[46:47], v41, off
	v_subrev_u32_e32 v17, s37, v44
	s_and_b64 s[0:1], s[44:45], s[2:3]
	v_lshlrev_b64 v[46:47], 2, v[20:21]
	v_cndmask_b32_e64 v17, 32, v17, s[0:1]
	s_waitcnt lgkmcnt(0)
	v_mov_b32_e32 v19, s41
	v_add_co_u32_e64 v46, s[0:1], s40, v46
	v_addc_co_u32_e64 v47, s[0:1], v19, v47, s[0:1]
	v_ashrrev_i32_e32 v19, 31, v18
	global_store_dword v[46:47], v17, off
	v_lshlrev_b64 v[46:47], 2, v[18:19]
	v_mov_b32_e32 v17, s43
	v_add_co_u32_e64 v46, s[0:1], s42, v46
	v_addc_co_u32_e64 v47, s[0:1], v17, v47, s[0:1]
	global_store_dword v[46:47], v43, off
.LBB262_7:
	s_or_b64 exec, exec, s[4:5]
	v_ashrrev_i32_e32 v19, 31, v44
	v_lshrrev_b32_e32 v17, 28, v19
	v_add_u32_e32 v21, v44, v17
	v_ashrrev_i32_e32 v17, 4, v21
	v_lshrrev_b32_e32 v21, 31, v21
	v_add_u32_e32 v21, v17, v21
	v_and_b32_e32 v21, -2, v21
	v_sub_u32_e32 v21, v17, v21
	v_cmp_eq_u32_e64 s[0:1], v24, v21
	s_and_saveexec_b64 s[48:49], s[0:1]
	s_cbranch_execz .LBB262_9
; %bb.8:
	v_lshrrev_b32_e32 v19, 27, v19
	v_add_u32_e32 v19, v44, v19
	v_lshlrev_b32_e32 v17, 4, v17
	v_sub_u32_e32 v17, v44, v17
	v_ashrrev_i32_e32 v19, 5, v19
	v_lshl_add_u32 v17, v19, 4, v17
	v_mov_b32_e32 v19, 0xff800000
	v_cmp_ne_u32_e64 s[0:1], 14, v17
	v_cmp_ne_u32_e64 s[2:3], 13, v17
	;; [unrolled: 1-line block ×16, first 2 shown]
	v_cndmask_b32_e64 v15, v19, v15, s[30:31]
	v_cndmask_b32_e64 v14, v19, v14, s[0:1]
	;; [unrolled: 1-line block ×16, first 2 shown]
.LBB262_9:
	s_or_b64 exec, exec, s[48:49]
	s_cmp_eq_u32 s36, 1
	s_cbranch_scc1 .LBB262_16
; %bb.10:
	s_add_i32 s50, s50, s33
	s_add_i32 s39, s36, -1
	v_add3_u32 v17, s50, v23, v22
	v_add_u32_e32 v18, 1, v18
	v_add_u32_e32 v20, 1, v20
	;; [unrolled: 1-line block ×3, first 2 shown]
	s_mov_b32 s50, 0x3fb8aa3b
	s_mov_b32 s51, 0xc2ce8ed0
	;; [unrolled: 1-line block ×3, first 2 shown]
	v_mov_b32_e32 v43, 0x7f800000
	v_mov_b32_e32 v44, 0xff800000
	s_branch .LBB262_12
.LBB262_11:                             ;   in Loop: Header=BB262_12 Depth=1
	s_or_b64 exec, exec, s[48:49]
	s_add_i32 s39, s39, -1
	v_add_u32_e32 v17, s33, v17
	v_add_u32_e32 v18, 1, v18
	v_add_u32_e32 v20, 1, v20
	s_cmp_eq_u32 s39, 0
	v_add_u32_e32 v22, 1, v22
	s_cbranch_scc1 .LBB262_16
.LBB262_12:                             ; =>This Inner Loop Header: Depth=1
	v_cmp_gt_f32_e64 s[0:1], v1, v0
	v_cndmask_b32_e64 v21, v0, v1, s[0:1]
	v_cndmask_b32_e64 v19, v25, v26, s[0:1]
	v_cmp_gt_f32_e64 s[0:1], v2, v21
	v_cndmask_b32_e64 v21, v21, v2, s[0:1]
	v_cndmask_b32_e64 v19, v19, v27, s[0:1]
	;; [unrolled: 3-line block ×15, first 2 shown]
	s_nop 0
	v_mov_b32_dpp v45, v23 quad_perm:[1,0,3,2] row_mask:0xf bank_mask:0xf
	v_mov_b32_dpp v21, v19 quad_perm:[1,0,3,2] row_mask:0xf bank_mask:0xf
	v_cmp_eq_f32_e64 s[2:3], v19, v21
	v_cmp_lt_i32_e64 s[4:5], v45, v23
	v_cmp_lt_f32_e64 s[0:1], v19, v21
	s_and_b64 s[2:3], s[2:3], s[4:5]
	s_or_b64 s[0:1], s[0:1], s[2:3]
	v_cndmask_b32_e64 v45, v23, v45, s[0:1]
	s_and_saveexec_b64 s[4:5], vcc
	s_cbranch_execz .LBB262_14
; %bb.13:                               ;   in Loop: Header=BB262_12 Depth=1
	v_cndmask_b32_e64 v19, v19, v21, s[0:1]
	v_sub_f32_e32 v19, v19, v42
	v_mul_f32_e32 v21, 0x3fb8aa3b, v19
	v_fma_f32 v23, v19, s50, -v21
	v_rndne_f32_e32 v46, v21
	v_fmac_f32_e32 v23, 0x32a5705f, v19
	v_sub_f32_e32 v21, v21, v46
	v_add_f32_e32 v21, v21, v23
	v_exp_f32_e32 v21, v21
	v_cvt_i32_f32_e32 v23, v46
	v_cmp_le_i32_e64 s[0:1], s37, v45
	v_cmp_gt_i32_e64 s[2:3], s38, v45
	s_and_b64 s[2:3], s[0:1], s[2:3]
	v_ldexp_f32 v21, v21, v23
	v_cmp_ngt_f32_e64 s[0:1], s51, v19
	v_ashrrev_i32_e32 v23, 31, v22
	v_cndmask_b32_e64 v21, 0, v21, s[0:1]
	v_cmp_nlt_f32_e64 s[0:1], s52, v19
	v_lshlrev_b64 v[46:47], 2, v[22:23]
	v_cndmask_b32_e64 v48, v43, v21, s[0:1]
	v_mov_b32_e32 v19, s35
	v_add_co_u32_e64 v46, s[0:1], s34, v46
	v_addc_co_u32_e64 v47, s[0:1], v19, v47, s[0:1]
	v_ashrrev_i32_e32 v21, 31, v20
	global_store_dword v[46:47], v48, off
	v_subrev_u32_e32 v19, s37, v45
	s_and_b64 s[0:1], s[44:45], s[2:3]
	v_lshlrev_b64 v[46:47], 2, v[20:21]
	v_cndmask_b32_e64 v19, 32, v19, s[0:1]
	s_waitcnt lgkmcnt(0)
	v_mov_b32_e32 v21, s41
	v_add_co_u32_e64 v46, s[0:1], s40, v46
	v_addc_co_u32_e64 v47, s[0:1], v21, v47, s[0:1]
	global_store_dword v[46:47], v19, off
	v_ashrrev_i32_e32 v19, 31, v18
	v_lshlrev_b64 v[46:47], 2, v[18:19]
	v_mov_b32_e32 v19, s43
	v_add_co_u32_e64 v46, s[0:1], s42, v46
	v_addc_co_u32_e64 v47, s[0:1], v19, v47, s[0:1]
	v_add_f32_e32 v41, v41, v48
	global_store_dword v[46:47], v17, off
.LBB262_14:                             ;   in Loop: Header=BB262_12 Depth=1
	s_or_b64 exec, exec, s[4:5]
	v_ashrrev_i32_e32 v21, 31, v45
	v_lshrrev_b32_e32 v19, 28, v21
	v_add_u32_e32 v23, v45, v19
	v_ashrrev_i32_e32 v19, 4, v23
	v_lshrrev_b32_e32 v23, 31, v23
	v_add_u32_e32 v23, v19, v23
	v_and_b32_e32 v23, -2, v23
	v_sub_u32_e32 v23, v19, v23
	v_cmp_eq_u32_e64 s[0:1], v24, v23
	s_and_saveexec_b64 s[48:49], s[0:1]
	s_cbranch_execz .LBB262_11
; %bb.15:                               ;   in Loop: Header=BB262_12 Depth=1
	v_lshrrev_b32_e32 v21, 27, v21
	v_add_u32_e32 v21, v45, v21
	v_lshlrev_b32_e32 v19, 4, v19
	v_sub_u32_e32 v19, v45, v19
	v_ashrrev_i32_e32 v21, 5, v21
	v_lshl_add_u32 v19, v21, 4, v19
	v_cmp_ne_u32_e64 s[0:1], 14, v19
	v_cmp_ne_u32_e64 s[2:3], 13, v19
	;; [unrolled: 1-line block ×16, first 2 shown]
	v_cndmask_b32_e64 v15, v44, v15, s[30:31]
	v_cndmask_b32_e64 v14, v44, v14, s[0:1]
	;; [unrolled: 1-line block ×16, first 2 shown]
	s_branch .LBB262_11
.LBB262_16:
	v_cmp_eq_u32_e32 vcc, 0, v24
	v_cmp_neq_f32_e64 s[0:1], 0, v41
	s_and_b64 s[0:1], vcc, s[0:1]
	s_and_b64 exec, exec, s[0:1]
	s_cbranch_execz .LBB262_27
; %bb.17:
	s_andn2_b64 vcc, exec, s[46:47]
	s_cbranch_vccnz .LBB262_27
; %bb.18:
	v_div_scale_f32 v0, s[0:1], v41, v41, 1.0
	v_rcp_f32_e32 v1, v0
	v_div_scale_f32 v2, vcc, 1.0, v41, 1.0
	s_cmp_gt_u32 s36, 3
	v_fma_f32 v3, -v0, v1, 1.0
	v_fmac_f32_e32 v1, v3, v1
	v_mul_f32_e32 v3, v2, v1
	v_fma_f32 v4, -v0, v3, v2
	v_fmac_f32_e32 v3, v4, v1
	v_fma_f32 v0, -v0, v3, v2
	v_div_fmas_f32 v0, v0, v1, v3
	v_div_fixup_f32 v0, v0, v41, 1.0
	v_ashrrev_i32_e32 v17, 31, v16
	s_cbranch_scc0 .LBB262_22
; %bb.19:
	v_lshlrev_b64 v[2:3], 2, v[16:17]
	v_mov_b32_e32 v4, s35
	v_add_co_u32_e32 v2, vcc, s34, v2
	v_addc_co_u32_e32 v3, vcc, v3, v4, vcc
	s_and_b32 s4, s36, 0x7ffffffc
	v_add_co_u32_e32 v2, vcc, 8, v2
	v_mov_b32_e32 v1, v0
	v_addc_co_u32_e32 v3, vcc, 0, v3, vcc
	s_mov_b32 s0, s4
.LBB262_20:                             ; =>This Inner Loop Header: Depth=1
	global_load_dwordx4 v[4:7], v[2:3], off offset:-8
	s_add_i32 s0, s0, -4
	s_cmp_lg_u32 s0, 0
	s_waitcnt vmcnt(0)
	v_pk_mul_f32 v[4:5], v[0:1], v[4:5]
	v_pk_mul_f32 v[6:7], v[0:1], v[6:7]
	global_store_dwordx4 v[2:3], v[4:7], off offset:-8
	v_add_co_u32_e32 v2, vcc, 16, v2
	v_addc_co_u32_e32 v3, vcc, 0, v3, vcc
	s_cbranch_scc1 .LBB262_20
; %bb.21:
	s_cmp_lg_u32 s4, s36
	s_cselect_b64 s[0:1], -1, 0
	s_branch .LBB262_24
.LBB262_22:
	s_mov_b64 s[0:1], 0
                                        ; implicit-def: $sgpr4
	s_cbranch_execz .LBB262_24
; %bb.23:
	s_mov_b64 s[0:1], -1
	s_mov_b32 s4, 0
.LBB262_24:
	s_andn2_b64 vcc, exec, s[0:1]
	s_cbranch_vccnz .LBB262_27
; %bb.25:
	v_add_co_u32_e32 v2, vcc, s4, v16
	v_addc_co_u32_e32 v3, vcc, 0, v17, vcc
	v_lshlrev_b64 v[2:3], 2, v[2:3]
	v_mov_b32_e32 v1, s35
	v_add_co_u32_e32 v2, vcc, s34, v2
	s_sub_i32 s0, s36, s4
	v_addc_co_u32_e32 v3, vcc, v1, v3, vcc
.LBB262_26:                             ; =>This Inner Loop Header: Depth=1
	global_load_dword v1, v[2:3], off
	s_add_i32 s0, s0, -1
	s_cmp_lg_u32 s0, 0
	s_waitcnt vmcnt(0)
	v_mul_f32_e32 v1, v0, v1
	global_store_dword v[2:3], v1, off
	v_add_co_u32_e32 v2, vcc, 4, v2
	v_addc_co_u32_e32 v3, vcc, 0, v3, vcc
	s_cbranch_scc1 .LBB262_26
.LBB262_27:
	s_endpgm
	.section	.rodata,"a",@progbits
	.p2align	6, 0x0
	.amdhsa_kernel _ZN4vllm3moe17topkGatingSoftmaxItLi16ELi32ELi8ELi32ELb1ELi2ELNS0_23SharedExpertScoringFuncE1EEEvPKT_PKbPfiPiS9_iiiiii
		.amdhsa_group_segment_fixed_size 0
		.amdhsa_private_segment_fixed_size 0
		.amdhsa_kernarg_size 72
		.amdhsa_user_sgpr_count 6
		.amdhsa_user_sgpr_private_segment_buffer 1
		.amdhsa_user_sgpr_dispatch_ptr 0
		.amdhsa_user_sgpr_queue_ptr 0
		.amdhsa_user_sgpr_kernarg_segment_ptr 1
		.amdhsa_user_sgpr_dispatch_id 0
		.amdhsa_user_sgpr_flat_scratch_init 0
		.amdhsa_user_sgpr_kernarg_preload_length 0
		.amdhsa_user_sgpr_kernarg_preload_offset 0
		.amdhsa_user_sgpr_private_segment_size 0
		.amdhsa_uses_dynamic_stack 0
		.amdhsa_system_sgpr_private_segment_wavefront_offset 0
		.amdhsa_system_sgpr_workgroup_id_x 1
		.amdhsa_system_sgpr_workgroup_id_y 0
		.amdhsa_system_sgpr_workgroup_id_z 0
		.amdhsa_system_sgpr_workgroup_info 0
		.amdhsa_system_vgpr_workitem_id 1
		.amdhsa_next_free_vgpr 49
		.amdhsa_next_free_sgpr 53
		.amdhsa_accum_offset 52
		.amdhsa_reserve_vcc 1
		.amdhsa_reserve_flat_scratch 0
		.amdhsa_float_round_mode_32 0
		.amdhsa_float_round_mode_16_64 0
		.amdhsa_float_denorm_mode_32 3
		.amdhsa_float_denorm_mode_16_64 3
		.amdhsa_dx10_clamp 1
		.amdhsa_ieee_mode 1
		.amdhsa_fp16_overflow 0
		.amdhsa_tg_split 0
		.amdhsa_exception_fp_ieee_invalid_op 0
		.amdhsa_exception_fp_denorm_src 0
		.amdhsa_exception_fp_ieee_div_zero 0
		.amdhsa_exception_fp_ieee_overflow 0
		.amdhsa_exception_fp_ieee_underflow 0
		.amdhsa_exception_fp_ieee_inexact 0
		.amdhsa_exception_int_div_zero 0
	.end_amdhsa_kernel
	.section	.text._ZN4vllm3moe17topkGatingSoftmaxItLi16ELi32ELi8ELi32ELb1ELi2ELNS0_23SharedExpertScoringFuncE1EEEvPKT_PKbPfiPiS9_iiiiii,"axG",@progbits,_ZN4vllm3moe17topkGatingSoftmaxItLi16ELi32ELi8ELi32ELb1ELi2ELNS0_23SharedExpertScoringFuncE1EEEvPKT_PKbPfiPiS9_iiiiii,comdat
.Lfunc_end262:
	.size	_ZN4vllm3moe17topkGatingSoftmaxItLi16ELi32ELi8ELi32ELb1ELi2ELNS0_23SharedExpertScoringFuncE1EEEvPKT_PKbPfiPiS9_iiiiii, .Lfunc_end262-_ZN4vllm3moe17topkGatingSoftmaxItLi16ELi32ELi8ELi32ELb1ELi2ELNS0_23SharedExpertScoringFuncE1EEEvPKT_PKbPfiPiS9_iiiiii
                                        ; -- End function
	.section	.AMDGPU.csdata,"",@progbits
; Kernel info:
; codeLenInByte = 3096
; NumSgprs: 57
; NumVgprs: 49
; NumAgprs: 0
; TotalNumVgprs: 49
; ScratchSize: 0
; MemoryBound: 0
; FloatMode: 240
; IeeeMode: 1
; LDSByteSize: 0 bytes/workgroup (compile time only)
; SGPRBlocks: 7
; VGPRBlocks: 6
; NumSGPRsForWavesPerEU: 57
; NumVGPRsForWavesPerEU: 49
; AccumOffset: 52
; Occupancy: 8
; WaveLimiterHint : 0
; COMPUTE_PGM_RSRC2:SCRATCH_EN: 0
; COMPUTE_PGM_RSRC2:USER_SGPR: 6
; COMPUTE_PGM_RSRC2:TRAP_HANDLER: 0
; COMPUTE_PGM_RSRC2:TGID_X_EN: 1
; COMPUTE_PGM_RSRC2:TGID_Y_EN: 0
; COMPUTE_PGM_RSRC2:TGID_Z_EN: 0
; COMPUTE_PGM_RSRC2:TIDIG_COMP_CNT: 1
; COMPUTE_PGM_RSRC3_GFX90A:ACCUM_OFFSET: 12
; COMPUTE_PGM_RSRC3_GFX90A:TG_SPLIT: 0
	.section	.text._ZN4vllm3moe17topkGatingSoftmaxItLi16ELi32ELi8ELi32ELb0ELi2ELNS0_23SharedExpertScoringFuncE1EEEvPKT_PKbPfiPiS9_iiiiii,"axG",@progbits,_ZN4vllm3moe17topkGatingSoftmaxItLi16ELi32ELi8ELi32ELb0ELi2ELNS0_23SharedExpertScoringFuncE1EEEvPKT_PKbPfiPiS9_iiiiii,comdat
	.protected	_ZN4vllm3moe17topkGatingSoftmaxItLi16ELi32ELi8ELi32ELb0ELi2ELNS0_23SharedExpertScoringFuncE1EEEvPKT_PKbPfiPiS9_iiiiii ; -- Begin function _ZN4vllm3moe17topkGatingSoftmaxItLi16ELi32ELi8ELi32ELb0ELi2ELNS0_23SharedExpertScoringFuncE1EEEvPKT_PKbPfiPiS9_iiiiii
	.globl	_ZN4vllm3moe17topkGatingSoftmaxItLi16ELi32ELi8ELi32ELb0ELi2ELNS0_23SharedExpertScoringFuncE1EEEvPKT_PKbPfiPiS9_iiiiii
	.p2align	8
	.type	_ZN4vllm3moe17topkGatingSoftmaxItLi16ELi32ELi8ELi32ELb0ELi2ELNS0_23SharedExpertScoringFuncE1EEEvPKT_PKbPfiPiS9_iiiiii,@function
_ZN4vllm3moe17topkGatingSoftmaxItLi16ELi32ELi8ELi32ELb0ELi2ELNS0_23SharedExpertScoringFuncE1EEEvPKT_PKbPfiPiS9_iiiiii: ; @_ZN4vllm3moe17topkGatingSoftmaxItLi16ELi32ELi8ELi32ELb0ELi2ELNS0_23SharedExpertScoringFuncE1EEEvPKT_PKbPfiPiS9_iiiiii
; %bb.0:
	s_load_dword s33, s[4:5], 0x18
	v_bfe_u32 v1, v0, 10, 10
	v_and_b32_e32 v0, 0x3ff, v0
	s_lshl_b32 s50, s6, 8
	v_lshlrev_b32_e32 v22, 5, v1
	v_lshrrev_b32_e32 v23, 1, v0
	v_add3_u32 v43, s50, v22, v23
	s_waitcnt lgkmcnt(0)
	v_cmp_gt_i32_e32 vcc, s33, v43
	s_and_saveexec_b64 s[0:1], vcc
	s_cbranch_execz .LBB263_29
; %bb.1:
	s_load_dwordx4 s[0:3], s[4:5], 0x0
	s_load_dwordx2 s[34:35], s[4:5], 0x10
	s_waitcnt lgkmcnt(0)
	s_cmp_eq_u64 s[2:3], 0
	s_cbranch_scc1 .LBB263_3
; %bb.2:
	v_ashrrev_i32_e32 v1, 31, v43
	v_mov_b32_e32 v3, s3
	v_add_co_u32_e32 v2, vcc, s2, v43
	v_addc_co_u32_e32 v3, vcc, v3, v1, vcc
	global_load_ubyte v1, v[2:3], off
	s_waitcnt vmcnt(0)
	v_and_b32_e32 v1, 1, v1
	v_cmp_eq_u32_e32 vcc, 1, v1
	s_xor_b64 s[2:3], vcc, -1
	s_orn2_b64 s[46:47], s[2:3], exec
	s_branch .LBB263_4
.LBB263_3:
	s_mov_b64 s[46:47], -1
.LBB263_4:
	s_load_dwordx2 s[6:7], s[4:5], 0x40
	s_load_dwordx4 s[36:39], s[4:5], 0x30
	v_mov_b32_e32 v1, s1
	v_and_b32_e32 v24, 1, v0
	v_lshlrev_b32_e32 v0, 1, v24
	s_waitcnt lgkmcnt(0)
	v_mul_lo_u32 v2, v43, s7
	v_ashrrev_i32_e32 v3, 31, v2
	v_lshlrev_b64 v[2:3], 1, v[2:3]
	v_add_co_u32_e32 v2, vcc, s0, v2
	v_addc_co_u32_e32 v3, vcc, v1, v3, vcc
	v_add_co_u32_e32 v0, vcc, v2, v0
	v_addc_co_u32_e32 v1, vcc, 0, v3, vcc
	global_load_ushort v8, v[0:1], off offset:64
	v_lshlrev_b32_e32 v4, 5, v24
	v_add_co_u32_e32 v0, vcc, v2, v4
	v_addc_co_u32_e32 v1, vcc, 0, v3, vcc
	global_load_dwordx4 v[4:7], v[0:1], off
	global_load_dwordx4 v[12:15], v[0:1], off offset:16
	v_mul_lo_u32 v16, v43, s39
	v_add3_u32 v0, v16, s36, v24
	v_ashrrev_i32_e32 v1, 31, v0
	s_mov_b32 s0, 0xbfb8aa3b
	v_lshlrev_b64 v[2:3], 2, v[0:1]
	s_mov_b32 s1, 0x42ce8ed0
	s_mov_b32 s2, 0xc2b17218
	v_mov_b32_e32 v9, 0x7f800000
	v_mov_b32_e32 v10, s35
	v_add_co_u32_e32 v2, vcc, s34, v2
	v_lshlrev_b32_e32 v27, 4, v24
	v_addc_co_u32_e32 v3, vcc, v10, v3, vcc
	v_or_b32_e32 v28, 1, v27
	v_or_b32_e32 v29, 2, v27
	;; [unrolled: 1-line block ×15, first 2 shown]
	v_mov_b32_e32 v26, 0
	s_waitcnt vmcnt(2)
	v_cvt_f32_u32_e32 v8, v8
	s_waitcnt vmcnt(1)
	v_cvt_f32_u32_sdwa v1, v4 dst_sel:DWORD dst_unused:UNUSED_PAD src0_sel:WORD_1
	v_cvt_f32_u32_sdwa v0, v4 dst_sel:DWORD dst_unused:UNUSED_PAD src0_sel:WORD_0
	v_mul_f32_e32 v4, 0xbfb8aa3b, v8
	v_fma_f32 v11, v8, s0, -v4
	v_rndne_f32_e32 v17, v4
	v_fmac_f32_e32 v11, 0xb2a5705f, v8
	v_sub_f32_e32 v4, v4, v17
	v_add_f32_e32 v4, v4, v11
	v_cvt_i32_f32_e32 v17, v17
	v_exp_f32_e32 v4, v4
	v_cmp_nlt_f32_e64 s[0:1], s1, v8
	v_cmp_lt_f32_e32 vcc, v0, v1
	v_cndmask_b32_e32 v10, v27, v28, vcc
	v_ldexp_f32 v4, v4, v17
	v_cndmask_b32_e64 v4, 0, v4, s[0:1]
	v_cmp_ngt_f32_e64 s[0:1], s2, v8
	v_cndmask_b32_e64 v4, v9, v4, s[0:1]
	v_add_f32_e32 v4, 1.0, v4
	v_div_scale_f32 v8, s[0:1], v4, v4, 1.0
	v_rcp_f32_e32 v9, v8
	v_cndmask_b32_e32 v11, v0, v1, vcc
	v_div_scale_f32 v17, vcc, 1.0, v4, 1.0
	v_fma_f32 v18, -v8, v9, 1.0
	v_fmac_f32_e32 v9, v18, v9
	v_mul_f32_e32 v18, v17, v9
	v_fma_f32 v19, -v8, v18, v17
	v_fmac_f32_e32 v18, v19, v9
	v_fma_f32 v8, -v8, v18, v17
	v_div_fmas_f32 v8, v8, v9, v18
	v_div_fixup_f32 v4, v8, v4, 1.0
	global_store_dword v[2:3], v4, off
	v_cvt_f32_u32_sdwa v2, v5 dst_sel:DWORD dst_unused:UNUSED_PAD src0_sel:WORD_0
	v_cvt_f32_u32_sdwa v3, v5 dst_sel:DWORD dst_unused:UNUSED_PAD src0_sel:WORD_1
	v_cmp_lt_f32_e32 vcc, v11, v2
	v_cndmask_b32_e32 v8, v11, v2, vcc
	v_cndmask_b32_e32 v4, v10, v29, vcc
	v_cmp_lt_f32_e32 vcc, v8, v3
	v_cndmask_b32_e32 v5, v4, v30, vcc
	v_cvt_f32_u32_sdwa v4, v6 dst_sel:DWORD dst_unused:UNUSED_PAD src0_sel:WORD_0
	v_cndmask_b32_e32 v8, v8, v3, vcc
	v_cmp_lt_f32_e32 vcc, v8, v4
	v_cndmask_b32_e32 v9, v5, v31, vcc
	v_cvt_f32_u32_sdwa v5, v6 dst_sel:DWORD dst_unused:UNUSED_PAD src0_sel:WORD_1
	v_cvt_f32_u32_sdwa v6, v7 dst_sel:DWORD dst_unused:UNUSED_PAD src0_sel:WORD_0
	v_cndmask_b32_e32 v8, v8, v4, vcc
	v_cvt_f32_u32_sdwa v7, v7 dst_sel:DWORD dst_unused:UNUSED_PAD src0_sel:WORD_1
	v_cmp_lt_f32_e32 vcc, v8, v5
	v_cndmask_b32_e32 v8, v8, v5, vcc
	v_cndmask_b32_e32 v9, v9, v32, vcc
	v_cmp_lt_f32_e32 vcc, v8, v6
	v_cndmask_b32_e32 v8, v8, v6, vcc
	v_cndmask_b32_e32 v9, v9, v33, vcc
	v_cmp_lt_f32_e32 vcc, v8, v7
	v_cndmask_b32_e32 v10, v8, v7, vcc
	s_waitcnt vmcnt(1)
	v_cvt_f32_u32_sdwa v8, v12 dst_sel:DWORD dst_unused:UNUSED_PAD src0_sel:WORD_0
	v_cndmask_b32_e32 v9, v9, v34, vcc
	v_cmp_lt_f32_e32 vcc, v10, v8
	v_cndmask_b32_e32 v11, v9, v35, vcc
	v_cvt_f32_u32_sdwa v9, v12 dst_sel:DWORD dst_unused:UNUSED_PAD src0_sel:WORD_1
	v_cndmask_b32_e32 v10, v10, v8, vcc
	v_cmp_lt_f32_e32 vcc, v10, v9
	v_cndmask_b32_e32 v12, v10, v9, vcc
	v_cvt_f32_u32_sdwa v10, v13 dst_sel:DWORD dst_unused:UNUSED_PAD src0_sel:WORD_0
	v_cndmask_b32_e32 v11, v11, v36, vcc
	v_cmp_lt_f32_e32 vcc, v12, v10
	v_cndmask_b32_e32 v17, v11, v37, vcc
	v_cvt_f32_u32_sdwa v11, v13 dst_sel:DWORD dst_unused:UNUSED_PAD src0_sel:WORD_1
	v_cndmask_b32_e32 v12, v12, v10, vcc
	v_cmp_lt_f32_e32 vcc, v12, v11
	v_cndmask_b32_e32 v13, v17, v38, vcc
	v_cndmask_b32_e32 v17, v12, v11, vcc
	v_cvt_f32_u32_sdwa v12, v14 dst_sel:DWORD dst_unused:UNUSED_PAD src0_sel:WORD_0
	v_cmp_lt_f32_e32 vcc, v17, v12
	v_cndmask_b32_e32 v18, v13, v39, vcc
	v_cvt_f32_u32_sdwa v13, v14 dst_sel:DWORD dst_unused:UNUSED_PAD src0_sel:WORD_1
	v_cvt_f32_u32_sdwa v14, v15 dst_sel:DWORD dst_unused:UNUSED_PAD src0_sel:WORD_0
	v_cndmask_b32_e32 v17, v17, v12, vcc
	v_cvt_f32_u32_sdwa v15, v15 dst_sel:DWORD dst_unused:UNUSED_PAD src0_sel:WORD_1
	v_cmp_lt_f32_e32 vcc, v17, v13
	v_cndmask_b32_e32 v17, v17, v13, vcc
	v_cndmask_b32_e32 v18, v18, v40, vcc
	v_cmp_lt_f32_e32 vcc, v17, v14
	v_cndmask_b32_e32 v19, v17, v14, vcc
	v_cndmask_b32_e32 v18, v18, v41, vcc
	;; [unrolled: 3-line block ×3, first 2 shown]
	s_nop 0
	v_mov_b32_dpp v18, v17 quad_perm:[1,0,3,2] row_mask:0xf bank_mask:0xf
	v_mov_b32_dpp v20, v19 quad_perm:[1,0,3,2] row_mask:0xf bank_mask:0xf
	v_cmp_eq_f32_e64 s[0:1], v19, v20
	v_cmp_lt_i32_e64 s[2:3], v18, v17
	v_cmp_lt_f32_e32 vcc, v19, v20
	s_and_b64 s[0:1], s[0:1], s[2:3]
	s_or_b64 s[0:1], vcc, s[0:1]
	s_cmp_gt_i32 s36, 0
	v_cndmask_b32_e64 v25, v19, v20, s[0:1]
	s_cselect_b64 s[44:45], -1, 0
	s_cmp_lt_i32 s36, 1
	v_cmp_eq_u32_e32 vcc, 0, v24
	s_cbranch_scc1 .LBB263_16
; %bb.5:
	s_load_dwordx4 s[40:43], s[4:5], 0x20
	v_cndmask_b32_e64 v44, v17, v18, s[0:1]
	v_mul_lo_u32 v20, v43, s6
	v_mul_lo_u32 v18, v43, s36
	v_mov_b32_e32 v26, 0
	s_and_saveexec_b64 s[4:5], vcc
	s_cbranch_execz .LBB263_7
; %bb.6:
	v_sub_f32_e32 v17, v25, v25
	v_mul_f32_e32 v19, 0x3fb8aa3b, v17
	s_mov_b32 s0, 0x3fb8aa3b
	v_rndne_f32_e32 v21, v19
	v_sub_f32_e32 v26, v19, v21
	v_fma_f32 v19, v17, s0, -v19
	v_fmac_f32_e32 v19, 0x32a5705f, v17
	v_add_f32_e32 v19, v26, v19
	v_exp_f32_e32 v19, v19
	v_cvt_i32_f32_e32 v21, v21
	v_cmp_le_i32_e64 s[0:1], s37, v44
	v_cmp_gt_i32_e64 s[2:3], s38, v44
	s_and_b64 s[2:3], s[0:1], s[2:3]
	s_mov_b32 s0, 0xc2ce8ed0
	v_ldexp_f32 v19, v19, v21
	v_cmp_ngt_f32_e64 s[0:1], s0, v17
	v_cndmask_b32_e64 v19, 0, v19, s[0:1]
	s_mov_b32 s0, 0x42b17218
	v_cmp_nlt_f32_e64 s[0:1], s0, v17
	v_ashrrev_i32_e32 v17, 31, v16
	v_mov_b32_e32 v21, 0x7f800000
	v_lshlrev_b64 v[46:47], 2, v[16:17]
	v_cndmask_b32_e64 v26, v21, v19, s[0:1]
	v_mov_b32_e32 v17, s35
	v_add_co_u32_e64 v46, s[0:1], s34, v46
	v_addc_co_u32_e64 v47, s[0:1], v17, v47, s[0:1]
	v_ashrrev_i32_e32 v21, 31, v20
	global_store_dword v[46:47], v26, off
	v_subrev_u32_e32 v17, s37, v44
	s_and_b64 s[0:1], s[46:47], s[2:3]
	v_lshlrev_b64 v[46:47], 2, v[20:21]
	v_cndmask_b32_e64 v17, 32, v17, s[0:1]
	s_waitcnt lgkmcnt(0)
	v_mov_b32_e32 v19, s41
	v_add_co_u32_e64 v46, s[0:1], s40, v46
	v_addc_co_u32_e64 v47, s[0:1], v19, v47, s[0:1]
	v_ashrrev_i32_e32 v19, 31, v18
	global_store_dword v[46:47], v17, off
	v_lshlrev_b64 v[46:47], 2, v[18:19]
	v_mov_b32_e32 v17, s43
	v_add_co_u32_e64 v46, s[0:1], s42, v46
	v_addc_co_u32_e64 v47, s[0:1], v17, v47, s[0:1]
	global_store_dword v[46:47], v43, off
.LBB263_7:
	s_or_b64 exec, exec, s[4:5]
	v_ashrrev_i32_e32 v19, 31, v44
	v_lshrrev_b32_e32 v17, 28, v19
	v_add_u32_e32 v21, v44, v17
	v_ashrrev_i32_e32 v17, 4, v21
	v_lshrrev_b32_e32 v21, 31, v21
	v_add_u32_e32 v21, v17, v21
	v_and_b32_e32 v21, -2, v21
	v_sub_u32_e32 v21, v17, v21
	v_cmp_eq_u32_e64 s[0:1], v24, v21
	s_and_saveexec_b64 s[48:49], s[0:1]
	s_cbranch_execz .LBB263_9
; %bb.8:
	v_lshrrev_b32_e32 v19, 27, v19
	v_add_u32_e32 v19, v44, v19
	v_lshlrev_b32_e32 v17, 4, v17
	v_sub_u32_e32 v17, v44, v17
	v_ashrrev_i32_e32 v19, 5, v19
	v_lshl_add_u32 v17, v19, 4, v17
	v_mov_b32_e32 v19, 0xff800000
	v_cmp_ne_u32_e64 s[0:1], 14, v17
	v_cmp_ne_u32_e64 s[2:3], 13, v17
	;; [unrolled: 1-line block ×16, first 2 shown]
	v_cndmask_b32_e64 v15, v19, v15, s[30:31]
	v_cndmask_b32_e64 v14, v19, v14, s[0:1]
	;; [unrolled: 1-line block ×16, first 2 shown]
.LBB263_9:
	s_or_b64 exec, exec, s[48:49]
	s_cmp_eq_u32 s36, 1
	s_cbranch_scc1 .LBB263_16
; %bb.10:
	s_add_i32 s50, s50, s33
	s_add_i32 s39, s36, -1
	v_add3_u32 v17, s50, v23, v22
	v_add_u32_e32 v18, 1, v18
	v_add_u32_e32 v20, 1, v20
	;; [unrolled: 1-line block ×3, first 2 shown]
	s_mov_b32 s50, 0x3fb8aa3b
	s_mov_b32 s51, 0xc2ce8ed0
	;; [unrolled: 1-line block ×3, first 2 shown]
	v_mov_b32_e32 v43, 0x7f800000
	v_mov_b32_e32 v44, 0xff800000
	s_branch .LBB263_12
.LBB263_11:                             ;   in Loop: Header=BB263_12 Depth=1
	s_or_b64 exec, exec, s[48:49]
	s_add_i32 s39, s39, -1
	v_add_u32_e32 v17, s33, v17
	v_add_u32_e32 v18, 1, v18
	;; [unrolled: 1-line block ×3, first 2 shown]
	s_cmp_eq_u32 s39, 0
	v_add_u32_e32 v22, 1, v22
	s_cbranch_scc1 .LBB263_16
.LBB263_12:                             ; =>This Inner Loop Header: Depth=1
	v_cmp_gt_f32_e64 s[0:1], v1, v0
	v_cndmask_b32_e64 v21, v0, v1, s[0:1]
	v_cndmask_b32_e64 v19, v27, v28, s[0:1]
	v_cmp_gt_f32_e64 s[0:1], v2, v21
	v_cndmask_b32_e64 v21, v21, v2, s[0:1]
	v_cndmask_b32_e64 v19, v19, v29, s[0:1]
	v_cmp_gt_f32_e64 s[0:1], v3, v21
	v_cndmask_b32_e64 v21, v21, v3, s[0:1]
	v_cndmask_b32_e64 v19, v19, v30, s[0:1]
	v_cmp_gt_f32_e64 s[0:1], v4, v21
	v_cndmask_b32_e64 v21, v21, v4, s[0:1]
	v_cndmask_b32_e64 v19, v19, v31, s[0:1]
	v_cmp_gt_f32_e64 s[0:1], v5, v21
	v_cndmask_b32_e64 v21, v21, v5, s[0:1]
	v_cndmask_b32_e64 v19, v19, v32, s[0:1]
	v_cmp_gt_f32_e64 s[0:1], v6, v21
	v_cndmask_b32_e64 v21, v21, v6, s[0:1]
	v_cndmask_b32_e64 v19, v19, v33, s[0:1]
	v_cmp_gt_f32_e64 s[0:1], v7, v21
	v_cndmask_b32_e64 v21, v21, v7, s[0:1]
	v_cndmask_b32_e64 v19, v19, v34, s[0:1]
	v_cmp_gt_f32_e64 s[0:1], v8, v21
	v_cndmask_b32_e64 v21, v21, v8, s[0:1]
	v_cndmask_b32_e64 v19, v19, v35, s[0:1]
	v_cmp_gt_f32_e64 s[0:1], v9, v21
	v_cndmask_b32_e64 v21, v21, v9, s[0:1]
	v_cndmask_b32_e64 v19, v19, v36, s[0:1]
	v_cmp_gt_f32_e64 s[0:1], v10, v21
	v_cndmask_b32_e64 v21, v21, v10, s[0:1]
	v_cndmask_b32_e64 v19, v19, v37, s[0:1]
	v_cmp_gt_f32_e64 s[0:1], v11, v21
	v_cndmask_b32_e64 v21, v21, v11, s[0:1]
	v_cndmask_b32_e64 v19, v19, v38, s[0:1]
	v_cmp_gt_f32_e64 s[0:1], v12, v21
	v_cndmask_b32_e64 v21, v21, v12, s[0:1]
	v_cndmask_b32_e64 v19, v19, v39, s[0:1]
	v_cmp_gt_f32_e64 s[0:1], v13, v21
	v_cndmask_b32_e64 v21, v21, v13, s[0:1]
	v_cndmask_b32_e64 v19, v19, v40, s[0:1]
	v_cmp_gt_f32_e64 s[0:1], v14, v21
	v_cndmask_b32_e64 v21, v21, v14, s[0:1]
	v_cndmask_b32_e64 v19, v19, v41, s[0:1]
	v_cmp_gt_f32_e64 s[0:1], v15, v21
	v_cndmask_b32_e64 v23, v19, v42, s[0:1]
	v_cndmask_b32_e64 v19, v21, v15, s[0:1]
	s_nop 0
	v_mov_b32_dpp v45, v23 quad_perm:[1,0,3,2] row_mask:0xf bank_mask:0xf
	v_mov_b32_dpp v21, v19 quad_perm:[1,0,3,2] row_mask:0xf bank_mask:0xf
	v_cmp_eq_f32_e64 s[2:3], v19, v21
	v_cmp_lt_i32_e64 s[4:5], v45, v23
	v_cmp_lt_f32_e64 s[0:1], v19, v21
	s_and_b64 s[2:3], s[2:3], s[4:5]
	s_or_b64 s[0:1], s[0:1], s[2:3]
	v_cndmask_b32_e64 v45, v23, v45, s[0:1]
	s_and_saveexec_b64 s[4:5], vcc
	s_cbranch_execz .LBB263_14
; %bb.13:                               ;   in Loop: Header=BB263_12 Depth=1
	v_cndmask_b32_e64 v19, v19, v21, s[0:1]
	v_sub_f32_e32 v19, v19, v25
	v_mul_f32_e32 v21, 0x3fb8aa3b, v19
	v_fma_f32 v23, v19, s50, -v21
	v_rndne_f32_e32 v46, v21
	v_fmac_f32_e32 v23, 0x32a5705f, v19
	v_sub_f32_e32 v21, v21, v46
	v_add_f32_e32 v21, v21, v23
	v_exp_f32_e32 v21, v21
	v_cvt_i32_f32_e32 v23, v46
	v_cmp_le_i32_e64 s[0:1], s37, v45
	v_cmp_gt_i32_e64 s[2:3], s38, v45
	s_and_b64 s[2:3], s[0:1], s[2:3]
	v_ldexp_f32 v21, v21, v23
	v_cmp_ngt_f32_e64 s[0:1], s51, v19
	v_ashrrev_i32_e32 v23, 31, v22
	v_cndmask_b32_e64 v21, 0, v21, s[0:1]
	v_cmp_nlt_f32_e64 s[0:1], s52, v19
	v_lshlrev_b64 v[46:47], 2, v[22:23]
	v_cndmask_b32_e64 v48, v43, v21, s[0:1]
	v_mov_b32_e32 v19, s35
	v_add_co_u32_e64 v46, s[0:1], s34, v46
	v_addc_co_u32_e64 v47, s[0:1], v19, v47, s[0:1]
	v_ashrrev_i32_e32 v21, 31, v20
	global_store_dword v[46:47], v48, off
	v_subrev_u32_e32 v19, s37, v45
	s_and_b64 s[0:1], s[46:47], s[2:3]
	v_lshlrev_b64 v[46:47], 2, v[20:21]
	v_cndmask_b32_e64 v19, 32, v19, s[0:1]
	s_waitcnt lgkmcnt(0)
	v_mov_b32_e32 v21, s41
	v_add_co_u32_e64 v46, s[0:1], s40, v46
	v_addc_co_u32_e64 v47, s[0:1], v21, v47, s[0:1]
	global_store_dword v[46:47], v19, off
	v_ashrrev_i32_e32 v19, 31, v18
	v_lshlrev_b64 v[46:47], 2, v[18:19]
	v_mov_b32_e32 v19, s43
	v_add_co_u32_e64 v46, s[0:1], s42, v46
	v_addc_co_u32_e64 v47, s[0:1], v19, v47, s[0:1]
	v_add_f32_e32 v26, v26, v48
	global_store_dword v[46:47], v17, off
.LBB263_14:                             ;   in Loop: Header=BB263_12 Depth=1
	s_or_b64 exec, exec, s[4:5]
	v_ashrrev_i32_e32 v21, 31, v45
	v_lshrrev_b32_e32 v19, 28, v21
	v_add_u32_e32 v23, v45, v19
	v_ashrrev_i32_e32 v19, 4, v23
	v_lshrrev_b32_e32 v23, 31, v23
	v_add_u32_e32 v23, v19, v23
	v_and_b32_e32 v23, -2, v23
	v_sub_u32_e32 v23, v19, v23
	v_cmp_eq_u32_e64 s[0:1], v24, v23
	s_and_saveexec_b64 s[48:49], s[0:1]
	s_cbranch_execz .LBB263_11
; %bb.15:                               ;   in Loop: Header=BB263_12 Depth=1
	v_lshrrev_b32_e32 v21, 27, v21
	v_add_u32_e32 v21, v45, v21
	v_lshlrev_b32_e32 v19, 4, v19
	v_sub_u32_e32 v19, v45, v19
	v_ashrrev_i32_e32 v21, 5, v21
	v_lshl_add_u32 v19, v21, 4, v19
	v_cmp_ne_u32_e64 s[0:1], 14, v19
	v_cmp_ne_u32_e64 s[2:3], 13, v19
	;; [unrolled: 1-line block ×16, first 2 shown]
	v_cndmask_b32_e64 v15, v44, v15, s[30:31]
	v_cndmask_b32_e64 v14, v44, v14, s[0:1]
	;; [unrolled: 1-line block ×16, first 2 shown]
	s_branch .LBB263_11
.LBB263_16:
	v_sub_f32_e32 v0, v0, v25
	s_mov_b32 s2, 0x3fb8aa3b
	v_mul_f32_e32 v17, 0x3fb8aa3b, v0
	v_fma_f32 v18, v0, s2, -v17
	v_rndne_f32_e32 v19, v17
	v_fmac_f32_e32 v18, 0x32a5705f, v0
	v_sub_f32_e32 v17, v17, v19
	v_add_f32_e32 v17, v17, v18
	v_exp_f32_e32 v17, v17
	v_cvt_i32_f32_e32 v18, v19
	v_sub_f32_e32 v1, v1, v25
	s_mov_b32 s4, 0xc2ce8ed0
	s_mov_b32 s3, 0x42b17218
	v_ldexp_f32 v17, v17, v18
	v_mul_f32_e32 v18, 0x3fb8aa3b, v1
	v_fma_f32 v19, v1, s2, -v18
	v_rndne_f32_e32 v20, v18
	v_fmac_f32_e32 v19, 0x32a5705f, v1
	v_sub_f32_e32 v18, v18, v20
	v_add_f32_e32 v18, v18, v19
	v_exp_f32_e32 v18, v18
	v_cvt_i32_f32_e32 v19, v20
	v_cmp_ngt_f32_e32 vcc, s4, v1
	v_cmp_ngt_f32_e64 s[0:1], s4, v0
	v_sub_f32_e32 v2, v2, v25
	v_ldexp_f32 v18, v18, v19
	v_cndmask_b32_e32 v18, 0, v18, vcc
	v_mov_b32_e32 v19, 0x7f800000
	v_cmp_nlt_f32_e32 vcc, s3, v1
	v_cndmask_b32_e64 v1, 0, v17, s[0:1]
	v_cmp_nlt_f32_e64 s[0:1], s3, v0
	v_cndmask_b32_e64 v0, v19, v1, s[0:1]
	v_cndmask_b32_e32 v1, v19, v18, vcc
	v_add_f32_e32 v0, v0, v1
	v_mul_f32_e32 v1, 0x3fb8aa3b, v2
	v_fma_f32 v17, v2, s2, -v1
	v_rndne_f32_e32 v18, v1
	v_fmac_f32_e32 v17, 0x32a5705f, v2
	v_sub_f32_e32 v1, v1, v18
	v_add_f32_e32 v1, v1, v17
	v_exp_f32_e32 v1, v1
	v_cvt_i32_f32_e32 v17, v18
	v_cmp_ngt_f32_e32 vcc, s4, v2
	v_sub_f32_e32 v3, v3, v25
	v_sub_f32_e32 v4, v4, v25
	v_ldexp_f32 v1, v1, v17
	v_cndmask_b32_e32 v1, 0, v1, vcc
	v_cmp_nlt_f32_e32 vcc, s3, v2
	v_cndmask_b32_e32 v1, v19, v1, vcc
	v_add_f32_e32 v0, v0, v1
	v_mul_f32_e32 v1, 0x3fb8aa3b, v3
	v_fma_f32 v2, v3, s2, -v1
	v_rndne_f32_e32 v17, v1
	v_fmac_f32_e32 v2, 0x32a5705f, v3
	v_sub_f32_e32 v1, v1, v17
	v_add_f32_e32 v1, v1, v2
	v_exp_f32_e32 v1, v1
	v_cvt_i32_f32_e32 v2, v17
	v_cmp_ngt_f32_e32 vcc, s4, v3
	v_sub_f32_e32 v5, v5, v25
	v_sub_f32_e32 v6, v6, v25
	v_ldexp_f32 v1, v1, v2
	v_cndmask_b32_e32 v1, 0, v1, vcc
	v_cmp_nlt_f32_e32 vcc, s3, v3
	;; [unrolled: 16-line block ×5, first 2 shown]
	v_cndmask_b32_e32 v1, v19, v1, vcc
	v_add_f32_e32 v0, v0, v1
	v_mul_f32_e32 v1, 0x3fb8aa3b, v7
	v_fma_f32 v2, v7, s2, -v1
	v_rndne_f32_e32 v3, v1
	v_fmac_f32_e32 v2, 0x32a5705f, v7
	v_sub_f32_e32 v1, v1, v3
	v_add_f32_e32 v1, v1, v2
	v_exp_f32_e32 v1, v1
	v_cvt_i32_f32_e32 v2, v3
	v_cmp_ngt_f32_e32 vcc, s4, v7
	v_ldexp_f32 v1, v1, v2
	v_mul_f32_e32 v2, 0x3fb8aa3b, v8
	v_fma_f32 v3, v8, s2, -v2
	v_rndne_f32_e32 v4, v2
	v_fmac_f32_e32 v3, 0x32a5705f, v8
	v_sub_f32_e32 v2, v2, v4
	v_add_f32_e32 v2, v2, v3
	v_exp_f32_e32 v2, v2
	v_cvt_i32_f32_e32 v3, v4
	v_cndmask_b32_e32 v1, 0, v1, vcc
	v_cmp_nlt_f32_e32 vcc, s3, v7
	v_cndmask_b32_e32 v1, v19, v1, vcc
	v_add_f32_e32 v0, v0, v1
	v_ldexp_f32 v1, v2, v3
	v_mul_f32_e32 v2, 0x3fb8aa3b, v9
	v_fma_f32 v3, v9, s2, -v2
	v_rndne_f32_e32 v4, v2
	v_fmac_f32_e32 v3, 0x32a5705f, v9
	v_sub_f32_e32 v2, v2, v4
	v_add_f32_e32 v2, v2, v3
	v_exp_f32_e32 v2, v2
	v_cvt_i32_f32_e32 v3, v4
	v_cmp_ngt_f32_e32 vcc, s4, v8
	v_cndmask_b32_e32 v1, 0, v1, vcc
	v_cmp_nlt_f32_e32 vcc, s3, v8
	v_cndmask_b32_e32 v1, v19, v1, vcc
	v_add_f32_e32 v0, v0, v1
	v_ldexp_f32 v1, v2, v3
	v_mul_f32_e32 v2, 0x3fb8aa3b, v10
	v_fma_f32 v3, v10, s2, -v2
	v_rndne_f32_e32 v4, v2
	v_fmac_f32_e32 v3, 0x32a5705f, v10
	v_sub_f32_e32 v2, v2, v4
	v_add_f32_e32 v2, v2, v3
	v_exp_f32_e32 v2, v2
	v_cvt_i32_f32_e32 v3, v4
	v_cmp_ngt_f32_e32 vcc, s4, v9
	;; [unrolled: 14-line block ×4, first 2 shown]
	v_cndmask_b32_e32 v1, 0, v1, vcc
	v_cmp_nlt_f32_e32 vcc, s3, v11
	v_cndmask_b32_e32 v1, v19, v1, vcc
	v_add_f32_e32 v0, v0, v1
	v_ldexp_f32 v1, v2, v3
	v_sub_f32_e32 v2, v13, v25
	v_mul_f32_e32 v3, 0x3fb8aa3b, v2
	v_fma_f32 v4, v2, s2, -v3
	v_rndne_f32_e32 v5, v3
	v_fmac_f32_e32 v4, 0x32a5705f, v2
	v_sub_f32_e32 v3, v3, v5
	v_add_f32_e32 v3, v3, v4
	v_exp_f32_e32 v3, v3
	v_cvt_i32_f32_e32 v4, v5
	v_cmp_ngt_f32_e32 vcc, s4, v12
	v_cndmask_b32_e32 v1, 0, v1, vcc
	v_cmp_nlt_f32_e32 vcc, s3, v12
	v_cndmask_b32_e32 v1, v19, v1, vcc
	v_add_f32_e32 v0, v0, v1
	v_ldexp_f32 v1, v3, v4
	v_sub_f32_e32 v3, v14, v25
	v_mul_f32_e32 v4, 0x3fb8aa3b, v3
	v_fma_f32 v5, v3, s2, -v4
	v_rndne_f32_e32 v6, v4
	v_fmac_f32_e32 v5, 0x32a5705f, v3
	v_sub_f32_e32 v4, v4, v6
	v_add_f32_e32 v4, v4, v5
	v_exp_f32_e32 v4, v4
	v_cvt_i32_f32_e32 v5, v6
	v_cmp_ngt_f32_e32 vcc, s4, v2
	v_cndmask_b32_e32 v1, 0, v1, vcc
	v_cmp_nlt_f32_e32 vcc, s3, v2
	v_cndmask_b32_e32 v1, v19, v1, vcc
	v_sub_f32_e32 v2, v15, v25
	v_add_f32_e32 v0, v0, v1
	v_ldexp_f32 v1, v4, v5
	v_mul_f32_e32 v4, 0x3fb8aa3b, v2
	v_fma_f32 v5, v2, s2, -v4
	v_rndne_f32_e32 v6, v4
	v_fmac_f32_e32 v5, 0x32a5705f, v2
	v_sub_f32_e32 v4, v4, v6
	v_add_f32_e32 v4, v4, v5
	v_exp_f32_e32 v4, v4
	v_cvt_i32_f32_e32 v5, v6
	v_cmp_ngt_f32_e32 vcc, s4, v3
	v_cndmask_b32_e32 v1, 0, v1, vcc
	v_cmp_nlt_f32_e32 vcc, s3, v3
	v_cndmask_b32_e32 v1, v19, v1, vcc
	v_add_f32_e32 v0, v0, v1
	v_ldexp_f32 v1, v4, v5
	v_cmp_ngt_f32_e32 vcc, s4, v2
	v_cndmask_b32_e32 v1, 0, v1, vcc
	v_cmp_nlt_f32_e32 vcc, s3, v2
	v_cndmask_b32_e32 v1, v19, v1, vcc
	v_add_f32_e32 v0, v0, v1
	v_cmp_eq_u32_e32 vcc, 0, v24
	s_nop 0
	v_mov_b32_dpp v1, v0 quad_perm:[1,0,3,2] row_mask:0xf bank_mask:0xf
	s_and_b64 exec, exec, vcc
	s_cbranch_execz .LBB263_29
; %bb.17:
	v_add_f32_e32 v0, v0, v1
	v_add_f32_e32 v0, v26, v0
	v_cmp_neq_f32_e32 vcc, 0, v0
	s_and_b64 exec, exec, vcc
	s_cbranch_execz .LBB263_29
; %bb.18:
	s_andn2_b64 vcc, exec, s[44:45]
	s_cbranch_vccnz .LBB263_29
; %bb.19:
	v_div_scale_f32 v1, s[0:1], v0, v0, 1.0
	v_rcp_f32_e32 v2, v1
	v_div_scale_f32 v3, vcc, 1.0, v0, 1.0
	s_cmp_gt_u32 s36, 3
	v_fma_f32 v4, -v1, v2, 1.0
	v_fmac_f32_e32 v2, v4, v2
	v_mul_f32_e32 v4, v3, v2
	v_fma_f32 v5, -v1, v4, v3
	v_fmac_f32_e32 v4, v5, v2
	v_fma_f32 v1, -v1, v4, v3
	v_div_fmas_f32 v1, v1, v2, v4
	v_div_fixup_f32 v0, v1, v0, 1.0
	v_ashrrev_i32_e32 v17, 31, v16
	s_cbranch_scc0 .LBB263_23
; %bb.20:
	v_lshlrev_b64 v[2:3], 2, v[16:17]
	v_mov_b32_e32 v4, s35
	v_add_co_u32_e32 v2, vcc, s34, v2
	v_addc_co_u32_e32 v3, vcc, v3, v4, vcc
	s_and_b32 s4, s36, 0x7ffffffc
	v_add_co_u32_e32 v2, vcc, 8, v2
	v_mov_b32_e32 v1, v0
	v_addc_co_u32_e32 v3, vcc, 0, v3, vcc
	s_mov_b32 s0, s4
.LBB263_21:                             ; =>This Inner Loop Header: Depth=1
	global_load_dwordx4 v[4:7], v[2:3], off offset:-8
	s_add_i32 s0, s0, -4
	s_cmp_lg_u32 s0, 0
	s_waitcnt vmcnt(0)
	v_pk_mul_f32 v[4:5], v[0:1], v[4:5]
	v_pk_mul_f32 v[6:7], v[0:1], v[6:7]
	global_store_dwordx4 v[2:3], v[4:7], off offset:-8
	v_add_co_u32_e32 v2, vcc, 16, v2
	v_addc_co_u32_e32 v3, vcc, 0, v3, vcc
	s_cbranch_scc1 .LBB263_21
; %bb.22:
	s_cmp_lg_u32 s4, s36
	s_mov_b64 s[2:3], 0
	s_cselect_b64 s[0:1], -1, 0
	s_branch .LBB263_24
.LBB263_23:
	s_mov_b64 s[2:3], -1
	s_mov_b64 s[0:1], 0
                                        ; implicit-def: $sgpr4
.LBB263_24:
	s_and_b64 vcc, exec, s[2:3]
	s_cbranch_vccz .LBB263_26
; %bb.25:
	s_mov_b64 s[0:1], -1
	s_mov_b32 s4, 0
.LBB263_26:
	s_andn2_b64 vcc, exec, s[0:1]
	s_cbranch_vccnz .LBB263_29
; %bb.27:
	v_add_co_u32_e32 v2, vcc, s4, v16
	v_addc_co_u32_e32 v3, vcc, 0, v17, vcc
	v_lshlrev_b64 v[2:3], 2, v[2:3]
	v_mov_b32_e32 v1, s35
	v_add_co_u32_e32 v2, vcc, s34, v2
	s_sub_i32 s0, s36, s4
	v_addc_co_u32_e32 v3, vcc, v1, v3, vcc
.LBB263_28:                             ; =>This Inner Loop Header: Depth=1
	global_load_dword v1, v[2:3], off
	s_add_i32 s0, s0, -1
	s_cmp_lg_u32 s0, 0
	s_waitcnt vmcnt(0)
	v_mul_f32_e32 v1, v0, v1
	global_store_dword v[2:3], v1, off
	v_add_co_u32_e32 v2, vcc, 4, v2
	v_addc_co_u32_e32 v3, vcc, 0, v3, vcc
	s_cbranch_scc1 .LBB263_28
.LBB263_29:
	s_endpgm
	.section	.rodata,"a",@progbits
	.p2align	6, 0x0
	.amdhsa_kernel _ZN4vllm3moe17topkGatingSoftmaxItLi16ELi32ELi8ELi32ELb0ELi2ELNS0_23SharedExpertScoringFuncE1EEEvPKT_PKbPfiPiS9_iiiiii
		.amdhsa_group_segment_fixed_size 0
		.amdhsa_private_segment_fixed_size 0
		.amdhsa_kernarg_size 72
		.amdhsa_user_sgpr_count 6
		.amdhsa_user_sgpr_private_segment_buffer 1
		.amdhsa_user_sgpr_dispatch_ptr 0
		.amdhsa_user_sgpr_queue_ptr 0
		.amdhsa_user_sgpr_kernarg_segment_ptr 1
		.amdhsa_user_sgpr_dispatch_id 0
		.amdhsa_user_sgpr_flat_scratch_init 0
		.amdhsa_user_sgpr_kernarg_preload_length 0
		.amdhsa_user_sgpr_kernarg_preload_offset 0
		.amdhsa_user_sgpr_private_segment_size 0
		.amdhsa_uses_dynamic_stack 0
		.amdhsa_system_sgpr_private_segment_wavefront_offset 0
		.amdhsa_system_sgpr_workgroup_id_x 1
		.amdhsa_system_sgpr_workgroup_id_y 0
		.amdhsa_system_sgpr_workgroup_id_z 0
		.amdhsa_system_sgpr_workgroup_info 0
		.amdhsa_system_vgpr_workitem_id 1
		.amdhsa_next_free_vgpr 49
		.amdhsa_next_free_sgpr 53
		.amdhsa_accum_offset 52
		.amdhsa_reserve_vcc 1
		.amdhsa_reserve_flat_scratch 0
		.amdhsa_float_round_mode_32 0
		.amdhsa_float_round_mode_16_64 0
		.amdhsa_float_denorm_mode_32 3
		.amdhsa_float_denorm_mode_16_64 3
		.amdhsa_dx10_clamp 1
		.amdhsa_ieee_mode 1
		.amdhsa_fp16_overflow 0
		.amdhsa_tg_split 0
		.amdhsa_exception_fp_ieee_invalid_op 0
		.amdhsa_exception_fp_denorm_src 0
		.amdhsa_exception_fp_ieee_div_zero 0
		.amdhsa_exception_fp_ieee_overflow 0
		.amdhsa_exception_fp_ieee_underflow 0
		.amdhsa_exception_fp_ieee_inexact 0
		.amdhsa_exception_int_div_zero 0
	.end_amdhsa_kernel
	.section	.text._ZN4vllm3moe17topkGatingSoftmaxItLi16ELi32ELi8ELi32ELb0ELi2ELNS0_23SharedExpertScoringFuncE1EEEvPKT_PKbPfiPiS9_iiiiii,"axG",@progbits,_ZN4vllm3moe17topkGatingSoftmaxItLi16ELi32ELi8ELi32ELb0ELi2ELNS0_23SharedExpertScoringFuncE1EEEvPKT_PKbPfiPiS9_iiiiii,comdat
.Lfunc_end263:
	.size	_ZN4vllm3moe17topkGatingSoftmaxItLi16ELi32ELi8ELi32ELb0ELi2ELNS0_23SharedExpertScoringFuncE1EEEvPKT_PKbPfiPiS9_iiiiii, .Lfunc_end263-_ZN4vllm3moe17topkGatingSoftmaxItLi16ELi32ELi8ELi32ELb0ELi2ELNS0_23SharedExpertScoringFuncE1EEEvPKT_PKbPfiPiS9_iiiiii
                                        ; -- End function
	.section	.AMDGPU.csdata,"",@progbits
; Kernel info:
; codeLenInByte = 4388
; NumSgprs: 57
; NumVgprs: 49
; NumAgprs: 0
; TotalNumVgprs: 49
; ScratchSize: 0
; MemoryBound: 0
; FloatMode: 240
; IeeeMode: 1
; LDSByteSize: 0 bytes/workgroup (compile time only)
; SGPRBlocks: 7
; VGPRBlocks: 6
; NumSGPRsForWavesPerEU: 57
; NumVGPRsForWavesPerEU: 49
; AccumOffset: 52
; Occupancy: 8
; WaveLimiterHint : 0
; COMPUTE_PGM_RSRC2:SCRATCH_EN: 0
; COMPUTE_PGM_RSRC2:USER_SGPR: 6
; COMPUTE_PGM_RSRC2:TRAP_HANDLER: 0
; COMPUTE_PGM_RSRC2:TGID_X_EN: 1
; COMPUTE_PGM_RSRC2:TGID_Y_EN: 0
; COMPUTE_PGM_RSRC2:TGID_Z_EN: 0
; COMPUTE_PGM_RSRC2:TIDIG_COMP_CNT: 1
; COMPUTE_PGM_RSRC3_GFX90A:ACCUM_OFFSET: 12
; COMPUTE_PGM_RSRC3_GFX90A:TG_SPLIT: 0
	.section	.text._ZN4vllm3moe17topkGatingSoftmaxItLi16ELi32ELi8ELi32ELb1ELi4ELNS0_23SharedExpertScoringFuncE1EEEvPKT_PKbPfiPiS9_iiiiii,"axG",@progbits,_ZN4vllm3moe17topkGatingSoftmaxItLi16ELi32ELi8ELi32ELb1ELi4ELNS0_23SharedExpertScoringFuncE1EEEvPKT_PKbPfiPiS9_iiiiii,comdat
	.protected	_ZN4vllm3moe17topkGatingSoftmaxItLi16ELi32ELi8ELi32ELb1ELi4ELNS0_23SharedExpertScoringFuncE1EEEvPKT_PKbPfiPiS9_iiiiii ; -- Begin function _ZN4vllm3moe17topkGatingSoftmaxItLi16ELi32ELi8ELi32ELb1ELi4ELNS0_23SharedExpertScoringFuncE1EEEvPKT_PKbPfiPiS9_iiiiii
	.globl	_ZN4vllm3moe17topkGatingSoftmaxItLi16ELi32ELi8ELi32ELb1ELi4ELNS0_23SharedExpertScoringFuncE1EEEvPKT_PKbPfiPiS9_iiiiii
	.p2align	8
	.type	_ZN4vllm3moe17topkGatingSoftmaxItLi16ELi32ELi8ELi32ELb1ELi4ELNS0_23SharedExpertScoringFuncE1EEEvPKT_PKbPfiPiS9_iiiiii,@function
_ZN4vllm3moe17topkGatingSoftmaxItLi16ELi32ELi8ELi32ELb1ELi4ELNS0_23SharedExpertScoringFuncE1EEEvPKT_PKbPfiPiS9_iiiiii: ; @_ZN4vllm3moe17topkGatingSoftmaxItLi16ELi32ELi8ELi32ELb1ELi4ELNS0_23SharedExpertScoringFuncE1EEEvPKT_PKbPfiPiS9_iiiiii
; %bb.0:
	s_load_dword s33, s[4:5], 0x18
	v_bfe_u32 v1, v0, 10, 10
	v_and_b32_e32 v0, 0x3ff, v0
	s_lshl_b32 s50, s6, 8
	v_lshlrev_b32_e32 v22, 5, v1
	v_lshrrev_b32_e32 v23, 1, v0
	v_add3_u32 v43, s50, v22, v23
	s_waitcnt lgkmcnt(0)
	v_cmp_gt_i32_e32 vcc, s33, v43
	s_and_saveexec_b64 s[0:1], vcc
	s_cbranch_execz .LBB264_30
; %bb.1:
	s_load_dwordx4 s[0:3], s[4:5], 0x0
	s_load_dwordx2 s[34:35], s[4:5], 0x10
	s_mov_b64 s[6:7], 0
	s_waitcnt lgkmcnt(0)
	s_cmp_eq_u64 s[2:3], 0
	s_cbranch_scc1 .LBB264_3
; %bb.2:
	v_ashrrev_i32_e32 v1, 31, v43
	v_mov_b32_e32 v3, s3
	v_add_co_u32_e32 v2, vcc, s2, v43
	v_addc_co_u32_e32 v3, vcc, v3, v1, vcc
	global_load_ubyte v1, v[2:3], off
	s_waitcnt vmcnt(0)
	v_and_b32_e32 v1, 1, v1
	v_cmp_eq_u32_e32 vcc, 1, v1
	s_xor_b64 s[2:3], vcc, -1
	s_orn2_b64 s[44:45], s[2:3], exec
	s_branch .LBB264_4
.LBB264_3:
	s_mov_b64 s[44:45], -1
.LBB264_4:
	s_load_dwordx2 s[8:9], s[4:5], 0x40
	s_load_dwordx4 s[36:39], s[4:5], 0x30
	v_mov_b32_e32 v1, s1
	v_and_b32_e32 v24, 1, v0
	v_lshlrev_b32_e32 v0, 5, v24
	s_waitcnt lgkmcnt(0)
	v_mul_lo_u32 v2, v43, s9
	v_ashrrev_i32_e32 v3, 31, v2
	v_lshlrev_b64 v[8:9], 1, v[2:3]
	v_add_co_u32_e32 v2, vcc, s0, v8
	v_addc_co_u32_e32 v1, vcc, v1, v9, vcc
	v_add_co_u32_e32 v0, vcc, v2, v0
	v_addc_co_u32_e32 v1, vcc, 0, v1, vcc
	global_load_dwordx4 v[12:15], v[0:1], off offset:16
	global_load_dwordx4 v[4:7], v[0:1], off
	v_lshlrev_b32_e32 v0, 1, v24
	v_add_co_u32_e32 v0, vcc, v8, v0
	v_addc_co_u32_e32 v1, vcc, 0, v9, vcc
	v_mov_b32_e32 v3, s1
	v_add_co_u32_e32 v0, vcc, s0, v0
	v_addc_co_u32_e32 v1, vcc, v1, v3, vcc
	v_mul_lo_u32 v16, v43, s39
	v_add_co_u32_e32 v0, vcc, 64, v0
	v_lshlrev_b32_e32 v25, 4, v24
	v_add_u32_e32 v2, s36, v16
	v_addc_co_u32_e32 v1, vcc, 0, v1, vcc
	s_mov_b32 s0, 0xbfb8aa3b
	s_mov_b32 s1, 0x42ce8ed0
	s_mov_b32 s2, 0xc2b17218
	v_mov_b32_e32 v3, 0x7f800000
	v_mov_b32_e32 v8, s35
	v_mov_b32_e32 v9, v24
.LBB264_5:                              ; =>This Inner Loop Header: Depth=1
	global_load_ushort v17, v[0:1], off
	v_add_co_u32_e32 v0, vcc, 4, v0
	v_add_u32_e32 v18, 2, v9
	v_addc_co_u32_e32 v1, vcc, 0, v1, vcc
	v_add_u32_e32 v10, v2, v9
	v_cmp_lt_u32_e32 vcc, 1, v9
	v_mov_b32_e32 v9, v18
	v_ashrrev_i32_e32 v11, 31, v10
	v_lshlrev_b64 v[10:11], 2, v[10:11]
	s_or_b64 s[6:7], vcc, s[6:7]
	v_add_co_u32_e32 v10, vcc, s34, v10
	v_addc_co_u32_e32 v11, vcc, v8, v11, vcc
	s_waitcnt vmcnt(0)
	v_cvt_f32_u32_e32 v17, v17
	v_mul_f32_e32 v18, 0xbfb8aa3b, v17
	v_rndne_f32_e32 v19, v18
	v_fma_f32 v20, v17, s0, -v18
	v_sub_f32_e32 v18, v18, v19
	v_fmac_f32_e32 v20, 0xb2a5705f, v17
	v_add_f32_e32 v18, v18, v20
	v_cvt_i32_f32_e32 v19, v19
	v_exp_f32_e32 v18, v18
	v_cmp_nlt_f32_e32 vcc, s1, v17
	v_ldexp_f32 v18, v18, v19
	v_cndmask_b32_e32 v18, 0, v18, vcc
	v_cmp_ngt_f32_e32 vcc, s2, v17
	v_cndmask_b32_e32 v17, v3, v18, vcc
	v_add_f32_e32 v17, 1.0, v17
	v_div_scale_f32 v18, s[10:11], v17, v17, 1.0
	v_rcp_f32_e32 v19, v18
	v_div_scale_f32 v20, vcc, 1.0, v17, 1.0
	v_fma_f32 v21, -v18, v19, 1.0
	v_fmac_f32_e32 v19, v21, v19
	v_mul_f32_e32 v21, v20, v19
	v_fma_f32 v26, -v18, v21, v20
	v_fmac_f32_e32 v21, v26, v19
	v_fma_f32 v18, -v18, v21, v20
	v_div_fmas_f32 v18, v18, v19, v21
	v_div_fixup_f32 v17, v18, v17, 1.0
	global_store_dword v[10:11], v17, off
	s_andn2_b64 exec, exec, s[6:7]
	s_cbranch_execnz .LBB264_5
; %bb.6:
	s_or_b64 exec, exec, s[6:7]
	v_cvt_f32_u32_sdwa v1, v4 dst_sel:DWORD dst_unused:UNUSED_PAD src0_sel:WORD_1
	v_cvt_f32_u32_sdwa v0, v4 dst_sel:DWORD dst_unused:UNUSED_PAD src0_sel:WORD_0
	v_cvt_f32_u32_sdwa v2, v5 dst_sel:DWORD dst_unused:UNUSED_PAD src0_sel:WORD_0
	v_or_b32_e32 v26, 1, v25
	v_or_b32_e32 v27, 2, v25
	v_cmp_lt_f32_e32 vcc, v0, v1
	v_cndmask_b32_e32 v4, v0, v1, vcc
	v_cndmask_b32_e32 v3, v25, v26, vcc
	v_cmp_lt_f32_e32 vcc, v4, v2
	v_cndmask_b32_e32 v8, v3, v27, vcc
	v_cvt_f32_u32_sdwa v3, v5 dst_sel:DWORD dst_unused:UNUSED_PAD src0_sel:WORD_1
	v_cndmask_b32_e32 v4, v4, v2, vcc
	v_or_b32_e32 v28, 3, v25
	v_or_b32_e32 v29, 4, v25
	v_cmp_lt_f32_e32 vcc, v4, v3
	v_cndmask_b32_e32 v5, v8, v28, vcc
	v_cndmask_b32_e32 v8, v4, v3, vcc
	v_cvt_f32_u32_sdwa v4, v6 dst_sel:DWORD dst_unused:UNUSED_PAD src0_sel:WORD_0
	v_or_b32_e32 v30, 5, v25
	v_or_b32_e32 v31, 6, v25
	;; [unrolled: 1-line block ×3, first 2 shown]
	v_cmp_lt_f32_e32 vcc, v8, v4
	v_cndmask_b32_e32 v9, v5, v29, vcc
	v_cvt_f32_u32_sdwa v5, v6 dst_sel:DWORD dst_unused:UNUSED_PAD src0_sel:WORD_1
	v_cvt_f32_u32_sdwa v6, v7 dst_sel:DWORD dst_unused:UNUSED_PAD src0_sel:WORD_0
	v_cndmask_b32_e32 v8, v8, v4, vcc
	v_cvt_f32_u32_sdwa v7, v7 dst_sel:DWORD dst_unused:UNUSED_PAD src0_sel:WORD_1
	v_cmp_lt_f32_e32 vcc, v8, v5
	v_cndmask_b32_e32 v8, v8, v5, vcc
	v_cndmask_b32_e32 v9, v9, v30, vcc
	v_cmp_lt_f32_e32 vcc, v8, v6
	v_cndmask_b32_e32 v8, v8, v6, vcc
	v_cndmask_b32_e32 v9, v9, v31, vcc
	v_cmp_lt_f32_e32 vcc, v8, v7
	v_cndmask_b32_e32 v10, v8, v7, vcc
	v_cvt_f32_u32_sdwa v8, v12 dst_sel:DWORD dst_unused:UNUSED_PAD src0_sel:WORD_0
	v_cndmask_b32_e32 v9, v9, v32, vcc
	v_or_b32_e32 v33, 8, v25
	v_or_b32_e32 v34, 9, v25
	v_cmp_lt_f32_e32 vcc, v10, v8
	v_cndmask_b32_e32 v11, v9, v33, vcc
	v_cvt_f32_u32_sdwa v9, v12 dst_sel:DWORD dst_unused:UNUSED_PAD src0_sel:WORD_1
	v_cndmask_b32_e32 v10, v10, v8, vcc
	v_or_b32_e32 v35, 10, v25
	v_or_b32_e32 v36, 11, v25
	v_cmp_lt_f32_e32 vcc, v10, v9
	v_cndmask_b32_e32 v12, v10, v9, vcc
	v_cvt_f32_u32_sdwa v10, v13 dst_sel:DWORD dst_unused:UNUSED_PAD src0_sel:WORD_0
	v_cndmask_b32_e32 v11, v11, v34, vcc
	v_or_b32_e32 v37, 12, v25
	v_or_b32_e32 v38, 13, v25
	v_cmp_lt_f32_e32 vcc, v12, v10
	v_cndmask_b32_e32 v17, v11, v35, vcc
	v_cvt_f32_u32_sdwa v11, v13 dst_sel:DWORD dst_unused:UNUSED_PAD src0_sel:WORD_1
	v_cndmask_b32_e32 v12, v12, v10, vcc
	v_or_b32_e32 v39, 14, v25
	v_or_b32_e32 v40, 15, v25
	v_cmp_lt_f32_e32 vcc, v12, v11
	v_cndmask_b32_e32 v13, v17, v36, vcc
	v_cndmask_b32_e32 v17, v12, v11, vcc
	v_cvt_f32_u32_sdwa v12, v14 dst_sel:DWORD dst_unused:UNUSED_PAD src0_sel:WORD_0
	s_cmp_gt_i32 s36, 0
	s_cselect_b64 s[46:47], -1, 0
	v_cmp_eq_u32_e64 s[0:1], 0, v24
	v_cmp_lt_f32_e32 vcc, v17, v12
	v_cndmask_b32_e32 v18, v13, v37, vcc
	v_cvt_f32_u32_sdwa v13, v14 dst_sel:DWORD dst_unused:UNUSED_PAD src0_sel:WORD_1
	v_cvt_f32_u32_sdwa v14, v15 dst_sel:DWORD dst_unused:UNUSED_PAD src0_sel:WORD_0
	v_cndmask_b32_e32 v17, v17, v12, vcc
	v_cvt_f32_u32_sdwa v15, v15 dst_sel:DWORD dst_unused:UNUSED_PAD src0_sel:WORD_1
	v_cmp_lt_f32_e32 vcc, v17, v13
	v_cndmask_b32_e32 v17, v17, v13, vcc
	v_cndmask_b32_e32 v18, v18, v38, vcc
	v_cmp_lt_f32_e32 vcc, v17, v14
	v_cndmask_b32_e32 v17, v17, v14, vcc
	v_cndmask_b32_e32 v18, v18, v39, vcc
	;; [unrolled: 3-line block ×3, first 2 shown]
	s_and_b64 vcc, exec, s[46:47]
	v_mov_b32_dpp v20, v18 quad_perm:[1,0,3,2] row_mask:0xf bank_mask:0xf
	v_mov_b32_dpp v19, v17 quad_perm:[1,0,3,2] row_mask:0xf bank_mask:0xf
	s_cbranch_vccz .LBB264_18
; %bb.7:
	s_load_dwordx4 s[40:43], s[4:5], 0x20
	v_cmp_eq_f32_e64 s[2:3], v17, v19
	v_cmp_lt_i32_e64 s[6:7], v20, v18
	v_cmp_lt_f32_e32 vcc, v17, v19
	s_and_b64 s[2:3], s[2:3], s[6:7]
	s_or_b64 vcc, vcc, s[2:3]
	v_cndmask_b32_e32 v44, v18, v20, vcc
	v_cndmask_b32_e32 v42, v17, v19, vcc
	v_mul_lo_u32 v20, v43, s8
	v_mul_lo_u32 v18, v43, s36
	v_mov_b32_e32 v41, 0
	s_and_saveexec_b64 s[4:5], s[0:1]
	s_cbranch_execz .LBB264_9
; %bb.8:
	v_sub_f32_e32 v17, v42, v42
	v_mul_f32_e32 v19, 0x3fb8aa3b, v17
	s_mov_b32 s2, 0x3fb8aa3b
	v_rndne_f32_e32 v21, v19
	v_sub_f32_e32 v41, v19, v21
	v_fma_f32 v19, v17, s2, -v19
	v_fmac_f32_e32 v19, 0x32a5705f, v17
	v_add_f32_e32 v19, v41, v19
	v_exp_f32_e32 v19, v19
	v_cvt_i32_f32_e32 v21, v21
	v_cmp_le_i32_e32 vcc, s37, v44
	v_cmp_gt_i32_e64 s[2:3], s38, v44
	s_mov_b32 s6, 0xc2ce8ed0
	s_and_b64 s[2:3], vcc, s[2:3]
	v_ldexp_f32 v19, v19, v21
	v_cmp_ngt_f32_e32 vcc, s6, v17
	s_mov_b32 s6, 0x42b17218
	v_cndmask_b32_e32 v19, 0, v19, vcc
	v_cmp_nlt_f32_e32 vcc, s6, v17
	v_ashrrev_i32_e32 v17, 31, v16
	v_mov_b32_e32 v21, 0x7f800000
	v_lshlrev_b64 v[46:47], 2, v[16:17]
	v_cndmask_b32_e32 v41, v21, v19, vcc
	v_mov_b32_e32 v17, s35
	v_add_co_u32_e32 v46, vcc, s34, v46
	v_addc_co_u32_e32 v47, vcc, v17, v47, vcc
	v_ashrrev_i32_e32 v21, 31, v20
	global_store_dword v[46:47], v41, off
	v_subrev_u32_e32 v17, s37, v44
	s_and_b64 vcc, s[44:45], s[2:3]
	v_lshlrev_b64 v[46:47], 2, v[20:21]
	v_cndmask_b32_e32 v17, 32, v17, vcc
	s_waitcnt lgkmcnt(0)
	v_mov_b32_e32 v19, s41
	v_add_co_u32_e32 v46, vcc, s40, v46
	v_addc_co_u32_e32 v47, vcc, v19, v47, vcc
	v_ashrrev_i32_e32 v19, 31, v18
	global_store_dword v[46:47], v17, off
	v_lshlrev_b64 v[46:47], 2, v[18:19]
	v_mov_b32_e32 v17, s43
	v_add_co_u32_e32 v46, vcc, s42, v46
	v_addc_co_u32_e32 v47, vcc, v17, v47, vcc
	global_store_dword v[46:47], v43, off
.LBB264_9:
	s_or_b64 exec, exec, s[4:5]
	v_ashrrev_i32_e32 v19, 31, v44
	v_lshrrev_b32_e32 v17, 28, v19
	v_add_u32_e32 v21, v44, v17
	v_ashrrev_i32_e32 v17, 4, v21
	v_lshrrev_b32_e32 v21, 31, v21
	v_add_u32_e32 v21, v17, v21
	v_and_b32_e32 v21, -2, v21
	v_sub_u32_e32 v21, v17, v21
	v_cmp_eq_u32_e32 vcc, v24, v21
	s_and_saveexec_b64 s[48:49], vcc
	s_cbranch_execz .LBB264_11
; %bb.10:
	v_lshrrev_b32_e32 v19, 27, v19
	v_add_u32_e32 v19, v44, v19
	v_lshlrev_b32_e32 v17, 4, v17
	v_sub_u32_e32 v17, v44, v17
	v_ashrrev_i32_e32 v19, 5, v19
	v_lshl_add_u32 v17, v19, 4, v17
	v_mov_b32_e32 v19, 0xff800000
	v_cmp_ne_u32_e32 vcc, 14, v17
	v_cmp_ne_u32_e64 s[2:3], 13, v17
	v_cmp_ne_u32_e64 s[4:5], 12, v17
	v_cmp_ne_u32_e64 s[6:7], 11, v17
	v_cmp_ne_u32_e64 s[8:9], 10, v17
	v_cmp_ne_u32_e64 s[10:11], 9, v17
	v_cmp_ne_u32_e64 s[12:13], 8, v17
	v_cmp_ne_u32_e64 s[14:15], 7, v17
	v_cmp_ne_u32_e64 s[16:17], 6, v17
	v_cmp_ne_u32_e64 s[18:19], 5, v17
	v_cmp_ne_u32_e64 s[20:21], 4, v17
	v_cmp_ne_u32_e64 s[22:23], 3, v17
	v_cmp_ne_u32_e64 s[24:25], 2, v17
	v_cmp_ne_u32_e64 s[26:27], 1, v17
	v_cmp_ne_u32_e64 s[28:29], 0, v17
	v_cmp_ne_u32_e64 s[30:31], 15, v17
	v_cndmask_b32_e64 v15, v19, v15, s[30:31]
	v_cndmask_b32_e32 v14, v19, v14, vcc
	v_cndmask_b32_e64 v13, v19, v13, s[2:3]
	v_cndmask_b32_e64 v12, v19, v12, s[4:5]
	;; [unrolled: 1-line block ×14, first 2 shown]
.LBB264_11:
	s_or_b64 exec, exec, s[48:49]
	s_cmp_eq_u32 s36, 1
	s_cbranch_scc1 .LBB264_19
; %bb.12:
	s_add_i32 s50, s50, s33
	s_add_i32 s39, s36, -1
	v_add3_u32 v17, s50, v23, v22
	v_add_u32_e32 v18, 1, v18
	v_add_u32_e32 v20, 1, v20
	;; [unrolled: 1-line block ×3, first 2 shown]
	s_mov_b32 s50, 0x3fb8aa3b
	s_mov_b32 s51, 0xc2ce8ed0
	;; [unrolled: 1-line block ×3, first 2 shown]
	v_mov_b32_e32 v43, 0x7f800000
	v_mov_b32_e32 v44, 0xff800000
	s_branch .LBB264_14
.LBB264_13:                             ;   in Loop: Header=BB264_14 Depth=1
	s_or_b64 exec, exec, s[48:49]
	s_add_i32 s39, s39, -1
	v_add_u32_e32 v17, s33, v17
	v_add_u32_e32 v18, 1, v18
	;; [unrolled: 1-line block ×3, first 2 shown]
	s_cmp_eq_u32 s39, 0
	v_add_u32_e32 v22, 1, v22
	s_cbranch_scc1 .LBB264_19
.LBB264_14:                             ; =>This Inner Loop Header: Depth=1
	v_cmp_gt_f32_e32 vcc, v1, v0
	v_cndmask_b32_e32 v21, v0, v1, vcc
	v_cndmask_b32_e32 v19, v25, v26, vcc
	v_cmp_gt_f32_e32 vcc, v2, v21
	v_cndmask_b32_e32 v21, v21, v2, vcc
	v_cndmask_b32_e32 v19, v19, v27, vcc
	;; [unrolled: 3-line block ×15, first 2 shown]
	s_nop 0
	v_mov_b32_dpp v45, v23 quad_perm:[1,0,3,2] row_mask:0xf bank_mask:0xf
	v_mov_b32_dpp v21, v19 quad_perm:[1,0,3,2] row_mask:0xf bank_mask:0xf
	v_cmp_eq_f32_e64 s[2:3], v19, v21
	v_cmp_lt_i32_e64 s[4:5], v45, v23
	v_cmp_lt_f32_e32 vcc, v19, v21
	s_and_b64 s[2:3], s[2:3], s[4:5]
	s_or_b64 vcc, vcc, s[2:3]
	v_cndmask_b32_e32 v45, v23, v45, vcc
	s_and_saveexec_b64 s[4:5], s[0:1]
	s_cbranch_execz .LBB264_16
; %bb.15:                               ;   in Loop: Header=BB264_14 Depth=1
	v_cndmask_b32_e32 v19, v19, v21, vcc
	v_sub_f32_e32 v19, v19, v42
	v_mul_f32_e32 v21, 0x3fb8aa3b, v19
	v_fma_f32 v23, v19, s50, -v21
	v_rndne_f32_e32 v46, v21
	v_fmac_f32_e32 v23, 0x32a5705f, v19
	v_sub_f32_e32 v21, v21, v46
	v_add_f32_e32 v21, v21, v23
	v_exp_f32_e32 v21, v21
	v_cvt_i32_f32_e32 v23, v46
	v_cmp_le_i32_e32 vcc, s37, v45
	v_cmp_gt_i32_e64 s[2:3], s38, v45
	s_and_b64 s[2:3], vcc, s[2:3]
	v_ldexp_f32 v21, v21, v23
	v_cmp_ngt_f32_e32 vcc, s51, v19
	v_ashrrev_i32_e32 v23, 31, v22
	v_cndmask_b32_e32 v21, 0, v21, vcc
	v_cmp_nlt_f32_e32 vcc, s52, v19
	v_lshlrev_b64 v[46:47], 2, v[22:23]
	v_cndmask_b32_e32 v48, v43, v21, vcc
	v_mov_b32_e32 v19, s35
	v_add_co_u32_e32 v46, vcc, s34, v46
	v_addc_co_u32_e32 v47, vcc, v19, v47, vcc
	v_ashrrev_i32_e32 v21, 31, v20
	global_store_dword v[46:47], v48, off
	v_subrev_u32_e32 v19, s37, v45
	s_and_b64 vcc, s[44:45], s[2:3]
	v_lshlrev_b64 v[46:47], 2, v[20:21]
	v_cndmask_b32_e32 v19, 32, v19, vcc
	s_waitcnt lgkmcnt(0)
	v_mov_b32_e32 v21, s41
	v_add_co_u32_e32 v46, vcc, s40, v46
	v_addc_co_u32_e32 v47, vcc, v21, v47, vcc
	global_store_dword v[46:47], v19, off
	v_ashrrev_i32_e32 v19, 31, v18
	v_lshlrev_b64 v[46:47], 2, v[18:19]
	v_mov_b32_e32 v19, s43
	v_add_co_u32_e32 v46, vcc, s42, v46
	v_addc_co_u32_e32 v47, vcc, v19, v47, vcc
	v_add_f32_e32 v41, v41, v48
	global_store_dword v[46:47], v17, off
.LBB264_16:                             ;   in Loop: Header=BB264_14 Depth=1
	s_or_b64 exec, exec, s[4:5]
	v_ashrrev_i32_e32 v21, 31, v45
	v_lshrrev_b32_e32 v19, 28, v21
	v_add_u32_e32 v23, v45, v19
	v_ashrrev_i32_e32 v19, 4, v23
	v_lshrrev_b32_e32 v23, 31, v23
	v_add_u32_e32 v23, v19, v23
	v_and_b32_e32 v23, -2, v23
	v_sub_u32_e32 v23, v19, v23
	v_cmp_eq_u32_e32 vcc, v24, v23
	s_and_saveexec_b64 s[48:49], vcc
	s_cbranch_execz .LBB264_13
; %bb.17:                               ;   in Loop: Header=BB264_14 Depth=1
	v_lshrrev_b32_e32 v21, 27, v21
	v_add_u32_e32 v21, v45, v21
	v_lshlrev_b32_e32 v19, 4, v19
	v_sub_u32_e32 v19, v45, v19
	v_ashrrev_i32_e32 v21, 5, v21
	v_lshl_add_u32 v19, v21, 4, v19
	v_cmp_ne_u32_e32 vcc, 14, v19
	v_cmp_ne_u32_e64 s[2:3], 13, v19
	v_cmp_ne_u32_e64 s[4:5], 12, v19
	;; [unrolled: 1-line block ×15, first 2 shown]
	v_cndmask_b32_e64 v15, v44, v15, s[30:31]
	v_cndmask_b32_e32 v14, v44, v14, vcc
	v_cndmask_b32_e64 v13, v44, v13, s[2:3]
	v_cndmask_b32_e64 v12, v44, v12, s[4:5]
	;; [unrolled: 1-line block ×14, first 2 shown]
	s_branch .LBB264_13
.LBB264_18:
	v_mov_b32_e32 v41, 0
.LBB264_19:
	v_cmp_eq_u32_e32 vcc, 0, v24
	v_cmp_neq_f32_e64 s[0:1], 0, v41
	s_and_b64 s[0:1], vcc, s[0:1]
	s_and_b64 exec, exec, s[0:1]
	s_cbranch_execz .LBB264_30
; %bb.20:
	s_andn2_b64 vcc, exec, s[46:47]
	s_cbranch_vccnz .LBB264_30
; %bb.21:
	v_div_scale_f32 v0, s[0:1], v41, v41, 1.0
	v_rcp_f32_e32 v1, v0
	v_div_scale_f32 v2, vcc, 1.0, v41, 1.0
	s_cmp_gt_u32 s36, 3
	v_fma_f32 v3, -v0, v1, 1.0
	v_fmac_f32_e32 v1, v3, v1
	v_mul_f32_e32 v3, v2, v1
	v_fma_f32 v4, -v0, v3, v2
	v_fmac_f32_e32 v3, v4, v1
	v_fma_f32 v0, -v0, v3, v2
	v_div_fmas_f32 v0, v0, v1, v3
	v_div_fixup_f32 v0, v0, v41, 1.0
	v_ashrrev_i32_e32 v17, 31, v16
	s_cbranch_scc0 .LBB264_25
; %bb.22:
	v_lshlrev_b64 v[2:3], 2, v[16:17]
	v_mov_b32_e32 v4, s35
	v_add_co_u32_e32 v2, vcc, s34, v2
	v_addc_co_u32_e32 v3, vcc, v3, v4, vcc
	s_and_b32 s4, s36, 0x7ffffffc
	v_add_co_u32_e32 v2, vcc, 8, v2
	v_mov_b32_e32 v1, v0
	v_addc_co_u32_e32 v3, vcc, 0, v3, vcc
	s_mov_b32 s0, s4
.LBB264_23:                             ; =>This Inner Loop Header: Depth=1
	global_load_dwordx4 v[4:7], v[2:3], off offset:-8
	s_add_i32 s0, s0, -4
	s_cmp_lg_u32 s0, 0
	s_waitcnt vmcnt(0)
	v_pk_mul_f32 v[4:5], v[0:1], v[4:5]
	v_pk_mul_f32 v[6:7], v[0:1], v[6:7]
	global_store_dwordx4 v[2:3], v[4:7], off offset:-8
	v_add_co_u32_e32 v2, vcc, 16, v2
	v_addc_co_u32_e32 v3, vcc, 0, v3, vcc
	s_cbranch_scc1 .LBB264_23
; %bb.24:
	s_cmp_lg_u32 s4, s36
	s_cselect_b64 s[0:1], -1, 0
	s_branch .LBB264_27
.LBB264_25:
	s_mov_b64 s[0:1], 0
                                        ; implicit-def: $sgpr4
	s_cbranch_execz .LBB264_27
; %bb.26:
	s_mov_b64 s[0:1], -1
	s_mov_b32 s4, 0
.LBB264_27:
	s_andn2_b64 vcc, exec, s[0:1]
	s_cbranch_vccnz .LBB264_30
; %bb.28:
	v_add_co_u32_e32 v2, vcc, s4, v16
	v_addc_co_u32_e32 v3, vcc, 0, v17, vcc
	v_lshlrev_b64 v[2:3], 2, v[2:3]
	v_mov_b32_e32 v1, s35
	v_add_co_u32_e32 v2, vcc, s34, v2
	s_sub_i32 s0, s36, s4
	v_addc_co_u32_e32 v3, vcc, v1, v3, vcc
.LBB264_29:                             ; =>This Inner Loop Header: Depth=1
	global_load_dword v1, v[2:3], off
	s_add_i32 s0, s0, -1
	s_cmp_lg_u32 s0, 0
	s_waitcnt vmcnt(0)
	v_mul_f32_e32 v1, v0, v1
	global_store_dword v[2:3], v1, off
	v_add_co_u32_e32 v2, vcc, 4, v2
	v_addc_co_u32_e32 v3, vcc, 0, v3, vcc
	s_cbranch_scc1 .LBB264_29
.LBB264_30:
	s_endpgm
	.section	.rodata,"a",@progbits
	.p2align	6, 0x0
	.amdhsa_kernel _ZN4vllm3moe17topkGatingSoftmaxItLi16ELi32ELi8ELi32ELb1ELi4ELNS0_23SharedExpertScoringFuncE1EEEvPKT_PKbPfiPiS9_iiiiii
		.amdhsa_group_segment_fixed_size 0
		.amdhsa_private_segment_fixed_size 0
		.amdhsa_kernarg_size 72
		.amdhsa_user_sgpr_count 6
		.amdhsa_user_sgpr_private_segment_buffer 1
		.amdhsa_user_sgpr_dispatch_ptr 0
		.amdhsa_user_sgpr_queue_ptr 0
		.amdhsa_user_sgpr_kernarg_segment_ptr 1
		.amdhsa_user_sgpr_dispatch_id 0
		.amdhsa_user_sgpr_flat_scratch_init 0
		.amdhsa_user_sgpr_kernarg_preload_length 0
		.amdhsa_user_sgpr_kernarg_preload_offset 0
		.amdhsa_user_sgpr_private_segment_size 0
		.amdhsa_uses_dynamic_stack 0
		.amdhsa_system_sgpr_private_segment_wavefront_offset 0
		.amdhsa_system_sgpr_workgroup_id_x 1
		.amdhsa_system_sgpr_workgroup_id_y 0
		.amdhsa_system_sgpr_workgroup_id_z 0
		.amdhsa_system_sgpr_workgroup_info 0
		.amdhsa_system_vgpr_workitem_id 1
		.amdhsa_next_free_vgpr 49
		.amdhsa_next_free_sgpr 53
		.amdhsa_accum_offset 52
		.amdhsa_reserve_vcc 1
		.amdhsa_reserve_flat_scratch 0
		.amdhsa_float_round_mode_32 0
		.amdhsa_float_round_mode_16_64 0
		.amdhsa_float_denorm_mode_32 3
		.amdhsa_float_denorm_mode_16_64 3
		.amdhsa_dx10_clamp 1
		.amdhsa_ieee_mode 1
		.amdhsa_fp16_overflow 0
		.amdhsa_tg_split 0
		.amdhsa_exception_fp_ieee_invalid_op 0
		.amdhsa_exception_fp_denorm_src 0
		.amdhsa_exception_fp_ieee_div_zero 0
		.amdhsa_exception_fp_ieee_overflow 0
		.amdhsa_exception_fp_ieee_underflow 0
		.amdhsa_exception_fp_ieee_inexact 0
		.amdhsa_exception_int_div_zero 0
	.end_amdhsa_kernel
	.section	.text._ZN4vllm3moe17topkGatingSoftmaxItLi16ELi32ELi8ELi32ELb1ELi4ELNS0_23SharedExpertScoringFuncE1EEEvPKT_PKbPfiPiS9_iiiiii,"axG",@progbits,_ZN4vllm3moe17topkGatingSoftmaxItLi16ELi32ELi8ELi32ELb1ELi4ELNS0_23SharedExpertScoringFuncE1EEEvPKT_PKbPfiPiS9_iiiiii,comdat
.Lfunc_end264:
	.size	_ZN4vllm3moe17topkGatingSoftmaxItLi16ELi32ELi8ELi32ELb1ELi4ELNS0_23SharedExpertScoringFuncE1EEEvPKT_PKbPfiPiS9_iiiiii, .Lfunc_end264-_ZN4vllm3moe17topkGatingSoftmaxItLi16ELi32ELi8ELi32ELb1ELi4ELNS0_23SharedExpertScoringFuncE1EEEvPKT_PKbPfiPiS9_iiiiii
                                        ; -- End function
	.section	.AMDGPU.csdata,"",@progbits
; Kernel info:
; codeLenInByte = 2816
; NumSgprs: 57
; NumVgprs: 49
; NumAgprs: 0
; TotalNumVgprs: 49
; ScratchSize: 0
; MemoryBound: 0
; FloatMode: 240
; IeeeMode: 1
; LDSByteSize: 0 bytes/workgroup (compile time only)
; SGPRBlocks: 7
; VGPRBlocks: 6
; NumSGPRsForWavesPerEU: 57
; NumVGPRsForWavesPerEU: 49
; AccumOffset: 52
; Occupancy: 8
; WaveLimiterHint : 0
; COMPUTE_PGM_RSRC2:SCRATCH_EN: 0
; COMPUTE_PGM_RSRC2:USER_SGPR: 6
; COMPUTE_PGM_RSRC2:TRAP_HANDLER: 0
; COMPUTE_PGM_RSRC2:TGID_X_EN: 1
; COMPUTE_PGM_RSRC2:TGID_Y_EN: 0
; COMPUTE_PGM_RSRC2:TGID_Z_EN: 0
; COMPUTE_PGM_RSRC2:TIDIG_COMP_CNT: 1
; COMPUTE_PGM_RSRC3_GFX90A:ACCUM_OFFSET: 12
; COMPUTE_PGM_RSRC3_GFX90A:TG_SPLIT: 0
	.section	.text._ZN4vllm3moe17topkGatingSoftmaxItLi16ELi32ELi8ELi32ELb0ELi4ELNS0_23SharedExpertScoringFuncE1EEEvPKT_PKbPfiPiS9_iiiiii,"axG",@progbits,_ZN4vllm3moe17topkGatingSoftmaxItLi16ELi32ELi8ELi32ELb0ELi4ELNS0_23SharedExpertScoringFuncE1EEEvPKT_PKbPfiPiS9_iiiiii,comdat
	.protected	_ZN4vllm3moe17topkGatingSoftmaxItLi16ELi32ELi8ELi32ELb0ELi4ELNS0_23SharedExpertScoringFuncE1EEEvPKT_PKbPfiPiS9_iiiiii ; -- Begin function _ZN4vllm3moe17topkGatingSoftmaxItLi16ELi32ELi8ELi32ELb0ELi4ELNS0_23SharedExpertScoringFuncE1EEEvPKT_PKbPfiPiS9_iiiiii
	.globl	_ZN4vllm3moe17topkGatingSoftmaxItLi16ELi32ELi8ELi32ELb0ELi4ELNS0_23SharedExpertScoringFuncE1EEEvPKT_PKbPfiPiS9_iiiiii
	.p2align	8
	.type	_ZN4vllm3moe17topkGatingSoftmaxItLi16ELi32ELi8ELi32ELb0ELi4ELNS0_23SharedExpertScoringFuncE1EEEvPKT_PKbPfiPiS9_iiiiii,@function
_ZN4vllm3moe17topkGatingSoftmaxItLi16ELi32ELi8ELi32ELb0ELi4ELNS0_23SharedExpertScoringFuncE1EEEvPKT_PKbPfiPiS9_iiiiii: ; @_ZN4vllm3moe17topkGatingSoftmaxItLi16ELi32ELi8ELi32ELb0ELi4ELNS0_23SharedExpertScoringFuncE1EEEvPKT_PKbPfiPiS9_iiiiii
; %bb.0:
	s_load_dword s33, s[4:5], 0x18
	v_bfe_u32 v1, v0, 10, 10
	v_and_b32_e32 v0, 0x3ff, v0
	s_lshl_b32 s50, s6, 8
	v_lshlrev_b32_e32 v22, 5, v1
	v_lshrrev_b32_e32 v23, 1, v0
	v_add3_u32 v43, s50, v22, v23
	s_waitcnt lgkmcnt(0)
	v_cmp_gt_i32_e32 vcc, s33, v43
	s_and_saveexec_b64 s[0:1], vcc
	s_cbranch_execz .LBB265_32
; %bb.1:
	s_load_dwordx4 s[0:3], s[4:5], 0x0
	s_load_dwordx2 s[34:35], s[4:5], 0x10
	s_mov_b64 s[8:9], 0
	s_waitcnt lgkmcnt(0)
	s_cmp_eq_u64 s[2:3], 0
	s_cbranch_scc1 .LBB265_3
; %bb.2:
	v_ashrrev_i32_e32 v1, 31, v43
	v_mov_b32_e32 v3, s3
	v_add_co_u32_e32 v2, vcc, s2, v43
	v_addc_co_u32_e32 v3, vcc, v3, v1, vcc
	global_load_ubyte v1, v[2:3], off
	s_waitcnt vmcnt(0)
	v_and_b32_e32 v1, 1, v1
	v_cmp_eq_u32_e32 vcc, 1, v1
	s_xor_b64 s[2:3], vcc, -1
	s_orn2_b64 s[46:47], s[2:3], exec
	s_branch .LBB265_4
.LBB265_3:
	s_mov_b64 s[46:47], -1
.LBB265_4:
	s_load_dwordx2 s[6:7], s[4:5], 0x40
	s_load_dwordx4 s[36:39], s[4:5], 0x30
	v_mov_b32_e32 v1, s1
	v_and_b32_e32 v24, 1, v0
	v_lshlrev_b32_e32 v0, 5, v24
	s_waitcnt lgkmcnt(0)
	v_mul_lo_u32 v2, v43, s7
	v_ashrrev_i32_e32 v3, 31, v2
	v_lshlrev_b64 v[8:9], 1, v[2:3]
	v_add_co_u32_e32 v2, vcc, s0, v8
	v_addc_co_u32_e32 v1, vcc, v1, v9, vcc
	v_add_co_u32_e32 v0, vcc, v2, v0
	v_addc_co_u32_e32 v1, vcc, 0, v1, vcc
	global_load_dwordx4 v[12:15], v[0:1], off offset:16
	global_load_dwordx4 v[4:7], v[0:1], off
	v_lshlrev_b32_e32 v0, 1, v24
	v_add_co_u32_e32 v0, vcc, v8, v0
	v_addc_co_u32_e32 v1, vcc, 0, v9, vcc
	v_mov_b32_e32 v3, s1
	v_add_co_u32_e32 v0, vcc, s0, v0
	v_addc_co_u32_e32 v1, vcc, v1, v3, vcc
	v_mul_lo_u32 v16, v43, s39
	v_add_co_u32_e32 v0, vcc, 64, v0
	v_lshlrev_b32_e32 v27, 4, v24
	v_add_u32_e32 v2, s36, v16
	v_addc_co_u32_e32 v1, vcc, 0, v1, vcc
	s_mov_b32 s0, 0xbfb8aa3b
	s_mov_b32 s1, 0x42ce8ed0
	;; [unrolled: 1-line block ×3, first 2 shown]
	v_mov_b32_e32 v3, 0x7f800000
	v_mov_b32_e32 v8, s35
	;; [unrolled: 1-line block ×3, first 2 shown]
.LBB265_5:                              ; =>This Inner Loop Header: Depth=1
	global_load_ushort v17, v[0:1], off
	v_add_co_u32_e32 v0, vcc, 4, v0
	v_add_u32_e32 v18, 2, v9
	v_addc_co_u32_e32 v1, vcc, 0, v1, vcc
	v_add_u32_e32 v10, v2, v9
	v_cmp_lt_u32_e32 vcc, 1, v9
	v_mov_b32_e32 v9, v18
	v_ashrrev_i32_e32 v11, 31, v10
	v_lshlrev_b64 v[10:11], 2, v[10:11]
	s_or_b64 s[8:9], vcc, s[8:9]
	v_add_co_u32_e32 v10, vcc, s34, v10
	v_addc_co_u32_e32 v11, vcc, v8, v11, vcc
	s_waitcnt vmcnt(0)
	v_cvt_f32_u32_e32 v17, v17
	v_mul_f32_e32 v18, 0xbfb8aa3b, v17
	v_rndne_f32_e32 v19, v18
	v_fma_f32 v20, v17, s0, -v18
	v_sub_f32_e32 v18, v18, v19
	v_fmac_f32_e32 v20, 0xb2a5705f, v17
	v_add_f32_e32 v18, v18, v20
	v_cvt_i32_f32_e32 v19, v19
	v_exp_f32_e32 v18, v18
	v_cmp_nlt_f32_e32 vcc, s1, v17
	v_ldexp_f32 v18, v18, v19
	v_cndmask_b32_e32 v18, 0, v18, vcc
	v_cmp_ngt_f32_e32 vcc, s2, v17
	v_cndmask_b32_e32 v17, v3, v18, vcc
	v_add_f32_e32 v17, 1.0, v17
	v_div_scale_f32 v18, s[10:11], v17, v17, 1.0
	v_rcp_f32_e32 v19, v18
	v_div_scale_f32 v20, vcc, 1.0, v17, 1.0
	v_fma_f32 v21, -v18, v19, 1.0
	v_fmac_f32_e32 v19, v21, v19
	v_mul_f32_e32 v21, v20, v19
	v_fma_f32 v25, -v18, v21, v20
	v_fmac_f32_e32 v21, v25, v19
	v_fma_f32 v18, -v18, v21, v20
	v_div_fmas_f32 v18, v18, v19, v21
	v_div_fixup_f32 v17, v18, v17, 1.0
	global_store_dword v[10:11], v17, off
	s_andn2_b64 exec, exec, s[8:9]
	s_cbranch_execnz .LBB265_5
; %bb.6:
	s_or_b64 exec, exec, s[8:9]
	v_cvt_f32_u32_sdwa v1, v4 dst_sel:DWORD dst_unused:UNUSED_PAD src0_sel:WORD_1
	v_cvt_f32_u32_sdwa v0, v4 dst_sel:DWORD dst_unused:UNUSED_PAD src0_sel:WORD_0
	v_cvt_f32_u32_sdwa v2, v5 dst_sel:DWORD dst_unused:UNUSED_PAD src0_sel:WORD_0
	v_or_b32_e32 v28, 1, v27
	v_or_b32_e32 v29, 2, v27
	v_cmp_lt_f32_e32 vcc, v0, v1
	v_cndmask_b32_e32 v4, v0, v1, vcc
	v_cndmask_b32_e32 v3, v27, v28, vcc
	v_cmp_lt_f32_e32 vcc, v4, v2
	v_cndmask_b32_e32 v8, v3, v29, vcc
	v_cvt_f32_u32_sdwa v3, v5 dst_sel:DWORD dst_unused:UNUSED_PAD src0_sel:WORD_1
	v_cndmask_b32_e32 v4, v4, v2, vcc
	v_or_b32_e32 v30, 3, v27
	v_or_b32_e32 v31, 4, v27
	v_cmp_lt_f32_e32 vcc, v4, v3
	v_cndmask_b32_e32 v5, v8, v30, vcc
	v_cndmask_b32_e32 v8, v4, v3, vcc
	v_cvt_f32_u32_sdwa v4, v6 dst_sel:DWORD dst_unused:UNUSED_PAD src0_sel:WORD_0
	v_or_b32_e32 v32, 5, v27
	v_or_b32_e32 v33, 6, v27
	;; [unrolled: 1-line block ×3, first 2 shown]
	v_cmp_lt_f32_e32 vcc, v8, v4
	v_cndmask_b32_e32 v9, v5, v31, vcc
	v_cvt_f32_u32_sdwa v5, v6 dst_sel:DWORD dst_unused:UNUSED_PAD src0_sel:WORD_1
	v_cvt_f32_u32_sdwa v6, v7 dst_sel:DWORD dst_unused:UNUSED_PAD src0_sel:WORD_0
	v_cndmask_b32_e32 v8, v8, v4, vcc
	v_cvt_f32_u32_sdwa v7, v7 dst_sel:DWORD dst_unused:UNUSED_PAD src0_sel:WORD_1
	v_cmp_lt_f32_e32 vcc, v8, v5
	v_cndmask_b32_e32 v8, v8, v5, vcc
	v_cndmask_b32_e32 v9, v9, v32, vcc
	v_cmp_lt_f32_e32 vcc, v8, v6
	v_cndmask_b32_e32 v8, v8, v6, vcc
	v_cndmask_b32_e32 v9, v9, v33, vcc
	v_cmp_lt_f32_e32 vcc, v8, v7
	v_cndmask_b32_e32 v10, v8, v7, vcc
	v_cvt_f32_u32_sdwa v8, v12 dst_sel:DWORD dst_unused:UNUSED_PAD src0_sel:WORD_0
	v_cndmask_b32_e32 v9, v9, v34, vcc
	v_or_b32_e32 v35, 8, v27
	v_or_b32_e32 v36, 9, v27
	v_cmp_lt_f32_e32 vcc, v10, v8
	v_cndmask_b32_e32 v11, v9, v35, vcc
	v_cvt_f32_u32_sdwa v9, v12 dst_sel:DWORD dst_unused:UNUSED_PAD src0_sel:WORD_1
	v_cndmask_b32_e32 v10, v10, v8, vcc
	v_or_b32_e32 v37, 10, v27
	v_or_b32_e32 v38, 11, v27
	v_cmp_lt_f32_e32 vcc, v10, v9
	v_cndmask_b32_e32 v12, v10, v9, vcc
	v_cvt_f32_u32_sdwa v10, v13 dst_sel:DWORD dst_unused:UNUSED_PAD src0_sel:WORD_0
	v_cndmask_b32_e32 v11, v11, v36, vcc
	v_or_b32_e32 v39, 12, v27
	v_or_b32_e32 v40, 13, v27
	v_cmp_lt_f32_e32 vcc, v12, v10
	v_cndmask_b32_e32 v17, v11, v37, vcc
	v_cvt_f32_u32_sdwa v11, v13 dst_sel:DWORD dst_unused:UNUSED_PAD src0_sel:WORD_1
	v_cndmask_b32_e32 v12, v12, v10, vcc
	v_or_b32_e32 v41, 14, v27
	v_or_b32_e32 v42, 15, v27
	v_cmp_lt_f32_e32 vcc, v12, v11
	v_cndmask_b32_e32 v13, v17, v38, vcc
	v_cndmask_b32_e32 v17, v12, v11, vcc
	v_cvt_f32_u32_sdwa v12, v14 dst_sel:DWORD dst_unused:UNUSED_PAD src0_sel:WORD_0
	v_cmp_lt_f32_e32 vcc, v17, v12
	v_cndmask_b32_e32 v18, v13, v39, vcc
	v_cvt_f32_u32_sdwa v13, v14 dst_sel:DWORD dst_unused:UNUSED_PAD src0_sel:WORD_1
	v_cvt_f32_u32_sdwa v14, v15 dst_sel:DWORD dst_unused:UNUSED_PAD src0_sel:WORD_0
	v_cndmask_b32_e32 v17, v17, v12, vcc
	v_cvt_f32_u32_sdwa v15, v15 dst_sel:DWORD dst_unused:UNUSED_PAD src0_sel:WORD_1
	v_cmp_lt_f32_e32 vcc, v17, v13
	v_cndmask_b32_e32 v17, v17, v13, vcc
	v_cndmask_b32_e32 v18, v18, v40, vcc
	v_cmp_lt_f32_e32 vcc, v17, v14
	v_cndmask_b32_e32 v19, v17, v14, vcc
	v_cndmask_b32_e32 v18, v18, v41, vcc
	;; [unrolled: 3-line block ×3, first 2 shown]
	s_nop 0
	v_mov_b32_dpp v18, v17 quad_perm:[1,0,3,2] row_mask:0xf bank_mask:0xf
	v_mov_b32_dpp v20, v19 quad_perm:[1,0,3,2] row_mask:0xf bank_mask:0xf
	v_cmp_eq_f32_e64 s[0:1], v19, v20
	v_cmp_lt_i32_e64 s[2:3], v18, v17
	v_cmp_lt_f32_e32 vcc, v19, v20
	s_and_b64 s[0:1], s[0:1], s[2:3]
	s_or_b64 s[2:3], vcc, s[0:1]
	s_cmp_gt_i32 s36, 0
	s_cselect_b64 s[44:45], -1, 0
	v_cndmask_b32_e64 v25, v19, v20, s[2:3]
	s_and_b64 vcc, exec, s[44:45]
	v_cmp_eq_u32_e64 s[0:1], 0, v24
	s_cbranch_vccz .LBB265_18
; %bb.7:
	s_load_dwordx4 s[40:43], s[4:5], 0x20
	v_cndmask_b32_e64 v44, v17, v18, s[2:3]
	v_mul_lo_u32 v20, v43, s6
	v_mul_lo_u32 v18, v43, s36
	v_mov_b32_e32 v26, 0
	s_and_saveexec_b64 s[4:5], s[0:1]
	s_cbranch_execz .LBB265_9
; %bb.8:
	v_sub_f32_e32 v17, v25, v25
	v_mul_f32_e32 v19, 0x3fb8aa3b, v17
	s_mov_b32 s2, 0x3fb8aa3b
	v_rndne_f32_e32 v21, v19
	v_sub_f32_e32 v26, v19, v21
	v_fma_f32 v19, v17, s2, -v19
	v_fmac_f32_e32 v19, 0x32a5705f, v17
	v_add_f32_e32 v19, v26, v19
	v_exp_f32_e32 v19, v19
	v_cvt_i32_f32_e32 v21, v21
	v_cmp_le_i32_e32 vcc, s37, v44
	v_cmp_gt_i32_e64 s[2:3], s38, v44
	s_mov_b32 s6, 0xc2ce8ed0
	s_and_b64 s[2:3], vcc, s[2:3]
	v_ldexp_f32 v19, v19, v21
	v_cmp_ngt_f32_e32 vcc, s6, v17
	s_mov_b32 s6, 0x42b17218
	v_cndmask_b32_e32 v19, 0, v19, vcc
	v_cmp_nlt_f32_e32 vcc, s6, v17
	v_ashrrev_i32_e32 v17, 31, v16
	v_mov_b32_e32 v21, 0x7f800000
	v_lshlrev_b64 v[46:47], 2, v[16:17]
	v_cndmask_b32_e32 v26, v21, v19, vcc
	v_mov_b32_e32 v17, s35
	v_add_co_u32_e32 v46, vcc, s34, v46
	v_addc_co_u32_e32 v47, vcc, v17, v47, vcc
	v_ashrrev_i32_e32 v21, 31, v20
	global_store_dword v[46:47], v26, off
	v_subrev_u32_e32 v17, s37, v44
	s_and_b64 vcc, s[46:47], s[2:3]
	v_lshlrev_b64 v[46:47], 2, v[20:21]
	v_cndmask_b32_e32 v17, 32, v17, vcc
	s_waitcnt lgkmcnt(0)
	v_mov_b32_e32 v19, s41
	v_add_co_u32_e32 v46, vcc, s40, v46
	v_addc_co_u32_e32 v47, vcc, v19, v47, vcc
	v_ashrrev_i32_e32 v19, 31, v18
	global_store_dword v[46:47], v17, off
	v_lshlrev_b64 v[46:47], 2, v[18:19]
	v_mov_b32_e32 v17, s43
	v_add_co_u32_e32 v46, vcc, s42, v46
	v_addc_co_u32_e32 v47, vcc, v17, v47, vcc
	global_store_dword v[46:47], v43, off
.LBB265_9:
	s_or_b64 exec, exec, s[4:5]
	v_ashrrev_i32_e32 v19, 31, v44
	v_lshrrev_b32_e32 v17, 28, v19
	v_add_u32_e32 v21, v44, v17
	v_ashrrev_i32_e32 v17, 4, v21
	v_lshrrev_b32_e32 v21, 31, v21
	v_add_u32_e32 v21, v17, v21
	v_and_b32_e32 v21, -2, v21
	v_sub_u32_e32 v21, v17, v21
	v_cmp_eq_u32_e32 vcc, v24, v21
	s_and_saveexec_b64 s[48:49], vcc
	s_cbranch_execz .LBB265_11
; %bb.10:
	v_lshrrev_b32_e32 v19, 27, v19
	v_add_u32_e32 v19, v44, v19
	v_lshlrev_b32_e32 v17, 4, v17
	v_sub_u32_e32 v17, v44, v17
	v_ashrrev_i32_e32 v19, 5, v19
	v_lshl_add_u32 v17, v19, 4, v17
	v_mov_b32_e32 v19, 0xff800000
	v_cmp_ne_u32_e32 vcc, 14, v17
	v_cmp_ne_u32_e64 s[2:3], 13, v17
	v_cmp_ne_u32_e64 s[4:5], 12, v17
	;; [unrolled: 1-line block ×15, first 2 shown]
	v_cndmask_b32_e64 v15, v19, v15, s[30:31]
	v_cndmask_b32_e32 v14, v19, v14, vcc
	v_cndmask_b32_e64 v13, v19, v13, s[2:3]
	v_cndmask_b32_e64 v12, v19, v12, s[4:5]
	;; [unrolled: 1-line block ×14, first 2 shown]
.LBB265_11:
	s_or_b64 exec, exec, s[48:49]
	s_cmp_eq_u32 s36, 1
	s_cbranch_scc1 .LBB265_19
; %bb.12:
	s_add_i32 s50, s50, s33
	s_add_i32 s39, s36, -1
	v_add3_u32 v17, s50, v23, v22
	v_add_u32_e32 v18, 1, v18
	v_add_u32_e32 v20, 1, v20
	;; [unrolled: 1-line block ×3, first 2 shown]
	s_mov_b32 s50, 0x3fb8aa3b
	s_mov_b32 s51, 0xc2ce8ed0
	;; [unrolled: 1-line block ×3, first 2 shown]
	v_mov_b32_e32 v43, 0x7f800000
	v_mov_b32_e32 v44, 0xff800000
	s_branch .LBB265_14
.LBB265_13:                             ;   in Loop: Header=BB265_14 Depth=1
	s_or_b64 exec, exec, s[48:49]
	s_add_i32 s39, s39, -1
	v_add_u32_e32 v17, s33, v17
	v_add_u32_e32 v18, 1, v18
	;; [unrolled: 1-line block ×3, first 2 shown]
	s_cmp_eq_u32 s39, 0
	v_add_u32_e32 v22, 1, v22
	s_cbranch_scc1 .LBB265_19
.LBB265_14:                             ; =>This Inner Loop Header: Depth=1
	v_cmp_gt_f32_e32 vcc, v1, v0
	v_cndmask_b32_e32 v21, v0, v1, vcc
	v_cndmask_b32_e32 v19, v27, v28, vcc
	v_cmp_gt_f32_e32 vcc, v2, v21
	v_cndmask_b32_e32 v21, v21, v2, vcc
	v_cndmask_b32_e32 v19, v19, v29, vcc
	;; [unrolled: 3-line block ×15, first 2 shown]
	s_nop 0
	v_mov_b32_dpp v45, v23 quad_perm:[1,0,3,2] row_mask:0xf bank_mask:0xf
	v_mov_b32_dpp v21, v19 quad_perm:[1,0,3,2] row_mask:0xf bank_mask:0xf
	v_cmp_eq_f32_e64 s[2:3], v19, v21
	v_cmp_lt_i32_e64 s[4:5], v45, v23
	v_cmp_lt_f32_e32 vcc, v19, v21
	s_and_b64 s[2:3], s[2:3], s[4:5]
	s_or_b64 vcc, vcc, s[2:3]
	v_cndmask_b32_e32 v45, v23, v45, vcc
	s_and_saveexec_b64 s[4:5], s[0:1]
	s_cbranch_execz .LBB265_16
; %bb.15:                               ;   in Loop: Header=BB265_14 Depth=1
	v_cndmask_b32_e32 v19, v19, v21, vcc
	v_sub_f32_e32 v19, v19, v25
	v_mul_f32_e32 v21, 0x3fb8aa3b, v19
	v_fma_f32 v23, v19, s50, -v21
	v_rndne_f32_e32 v46, v21
	v_fmac_f32_e32 v23, 0x32a5705f, v19
	v_sub_f32_e32 v21, v21, v46
	v_add_f32_e32 v21, v21, v23
	v_exp_f32_e32 v21, v21
	v_cvt_i32_f32_e32 v23, v46
	v_cmp_le_i32_e32 vcc, s37, v45
	v_cmp_gt_i32_e64 s[2:3], s38, v45
	s_and_b64 s[2:3], vcc, s[2:3]
	v_ldexp_f32 v21, v21, v23
	v_cmp_ngt_f32_e32 vcc, s51, v19
	v_ashrrev_i32_e32 v23, 31, v22
	v_cndmask_b32_e32 v21, 0, v21, vcc
	v_cmp_nlt_f32_e32 vcc, s52, v19
	v_lshlrev_b64 v[46:47], 2, v[22:23]
	v_cndmask_b32_e32 v48, v43, v21, vcc
	v_mov_b32_e32 v19, s35
	v_add_co_u32_e32 v46, vcc, s34, v46
	v_addc_co_u32_e32 v47, vcc, v19, v47, vcc
	v_ashrrev_i32_e32 v21, 31, v20
	global_store_dword v[46:47], v48, off
	v_subrev_u32_e32 v19, s37, v45
	s_and_b64 vcc, s[46:47], s[2:3]
	v_lshlrev_b64 v[46:47], 2, v[20:21]
	v_cndmask_b32_e32 v19, 32, v19, vcc
	s_waitcnt lgkmcnt(0)
	v_mov_b32_e32 v21, s41
	v_add_co_u32_e32 v46, vcc, s40, v46
	v_addc_co_u32_e32 v47, vcc, v21, v47, vcc
	global_store_dword v[46:47], v19, off
	v_ashrrev_i32_e32 v19, 31, v18
	v_lshlrev_b64 v[46:47], 2, v[18:19]
	v_mov_b32_e32 v19, s43
	v_add_co_u32_e32 v46, vcc, s42, v46
	v_addc_co_u32_e32 v47, vcc, v19, v47, vcc
	v_add_f32_e32 v26, v26, v48
	global_store_dword v[46:47], v17, off
.LBB265_16:                             ;   in Loop: Header=BB265_14 Depth=1
	s_or_b64 exec, exec, s[4:5]
	v_ashrrev_i32_e32 v21, 31, v45
	v_lshrrev_b32_e32 v19, 28, v21
	v_add_u32_e32 v23, v45, v19
	v_ashrrev_i32_e32 v19, 4, v23
	v_lshrrev_b32_e32 v23, 31, v23
	v_add_u32_e32 v23, v19, v23
	v_and_b32_e32 v23, -2, v23
	v_sub_u32_e32 v23, v19, v23
	v_cmp_eq_u32_e32 vcc, v24, v23
	s_and_saveexec_b64 s[48:49], vcc
	s_cbranch_execz .LBB265_13
; %bb.17:                               ;   in Loop: Header=BB265_14 Depth=1
	v_lshrrev_b32_e32 v21, 27, v21
	v_add_u32_e32 v21, v45, v21
	v_lshlrev_b32_e32 v19, 4, v19
	v_sub_u32_e32 v19, v45, v19
	v_ashrrev_i32_e32 v21, 5, v21
	v_lshl_add_u32 v19, v21, 4, v19
	v_cmp_ne_u32_e32 vcc, 14, v19
	v_cmp_ne_u32_e64 s[2:3], 13, v19
	v_cmp_ne_u32_e64 s[4:5], 12, v19
	;; [unrolled: 1-line block ×15, first 2 shown]
	v_cndmask_b32_e64 v15, v44, v15, s[30:31]
	v_cndmask_b32_e32 v14, v44, v14, vcc
	v_cndmask_b32_e64 v13, v44, v13, s[2:3]
	v_cndmask_b32_e64 v12, v44, v12, s[4:5]
	;; [unrolled: 1-line block ×14, first 2 shown]
	s_branch .LBB265_13
.LBB265_18:
	v_mov_b32_e32 v26, 0
.LBB265_19:
	v_sub_f32_e32 v0, v0, v25
	s_mov_b32 s2, 0x3fb8aa3b
	v_mul_f32_e32 v17, 0x3fb8aa3b, v0
	v_fma_f32 v18, v0, s2, -v17
	v_rndne_f32_e32 v19, v17
	v_fmac_f32_e32 v18, 0x32a5705f, v0
	v_sub_f32_e32 v17, v17, v19
	v_add_f32_e32 v17, v17, v18
	v_exp_f32_e32 v17, v17
	v_cvt_i32_f32_e32 v18, v19
	v_sub_f32_e32 v1, v1, v25
	s_mov_b32 s4, 0xc2ce8ed0
	s_mov_b32 s3, 0x42b17218
	v_ldexp_f32 v17, v17, v18
	v_mul_f32_e32 v18, 0x3fb8aa3b, v1
	v_fma_f32 v19, v1, s2, -v18
	v_rndne_f32_e32 v20, v18
	v_fmac_f32_e32 v19, 0x32a5705f, v1
	v_sub_f32_e32 v18, v18, v20
	v_add_f32_e32 v18, v18, v19
	v_exp_f32_e32 v18, v18
	v_cvt_i32_f32_e32 v19, v20
	v_cmp_ngt_f32_e32 vcc, s4, v1
	v_cmp_ngt_f32_e64 s[0:1], s4, v0
	v_sub_f32_e32 v2, v2, v25
	v_ldexp_f32 v18, v18, v19
	v_cndmask_b32_e32 v18, 0, v18, vcc
	v_mov_b32_e32 v19, 0x7f800000
	v_cmp_nlt_f32_e32 vcc, s3, v1
	v_cndmask_b32_e64 v1, 0, v17, s[0:1]
	v_cmp_nlt_f32_e64 s[0:1], s3, v0
	v_cndmask_b32_e64 v0, v19, v1, s[0:1]
	v_cndmask_b32_e32 v1, v19, v18, vcc
	v_add_f32_e32 v0, v0, v1
	v_mul_f32_e32 v1, 0x3fb8aa3b, v2
	v_fma_f32 v17, v2, s2, -v1
	v_rndne_f32_e32 v18, v1
	v_fmac_f32_e32 v17, 0x32a5705f, v2
	v_sub_f32_e32 v1, v1, v18
	v_add_f32_e32 v1, v1, v17
	v_exp_f32_e32 v1, v1
	v_cvt_i32_f32_e32 v17, v18
	v_cmp_ngt_f32_e32 vcc, s4, v2
	v_sub_f32_e32 v3, v3, v25
	v_sub_f32_e32 v4, v4, v25
	v_ldexp_f32 v1, v1, v17
	v_cndmask_b32_e32 v1, 0, v1, vcc
	v_cmp_nlt_f32_e32 vcc, s3, v2
	v_cndmask_b32_e32 v1, v19, v1, vcc
	v_add_f32_e32 v0, v0, v1
	v_mul_f32_e32 v1, 0x3fb8aa3b, v3
	v_fma_f32 v2, v3, s2, -v1
	v_rndne_f32_e32 v17, v1
	v_fmac_f32_e32 v2, 0x32a5705f, v3
	v_sub_f32_e32 v1, v1, v17
	v_add_f32_e32 v1, v1, v2
	v_exp_f32_e32 v1, v1
	v_cvt_i32_f32_e32 v2, v17
	v_cmp_ngt_f32_e32 vcc, s4, v3
	v_sub_f32_e32 v5, v5, v25
	v_sub_f32_e32 v6, v6, v25
	v_ldexp_f32 v1, v1, v2
	v_cndmask_b32_e32 v1, 0, v1, vcc
	v_cmp_nlt_f32_e32 vcc, s3, v3
	;; [unrolled: 16-line block ×5, first 2 shown]
	v_cndmask_b32_e32 v1, v19, v1, vcc
	v_add_f32_e32 v0, v0, v1
	v_mul_f32_e32 v1, 0x3fb8aa3b, v7
	v_fma_f32 v2, v7, s2, -v1
	v_rndne_f32_e32 v3, v1
	v_fmac_f32_e32 v2, 0x32a5705f, v7
	v_sub_f32_e32 v1, v1, v3
	v_add_f32_e32 v1, v1, v2
	v_exp_f32_e32 v1, v1
	v_cvt_i32_f32_e32 v2, v3
	v_cmp_ngt_f32_e32 vcc, s4, v7
	v_ldexp_f32 v1, v1, v2
	v_mul_f32_e32 v2, 0x3fb8aa3b, v8
	v_fma_f32 v3, v8, s2, -v2
	v_rndne_f32_e32 v4, v2
	v_fmac_f32_e32 v3, 0x32a5705f, v8
	v_sub_f32_e32 v2, v2, v4
	v_add_f32_e32 v2, v2, v3
	v_exp_f32_e32 v2, v2
	v_cvt_i32_f32_e32 v3, v4
	v_cndmask_b32_e32 v1, 0, v1, vcc
	v_cmp_nlt_f32_e32 vcc, s3, v7
	v_cndmask_b32_e32 v1, v19, v1, vcc
	v_add_f32_e32 v0, v0, v1
	v_ldexp_f32 v1, v2, v3
	v_mul_f32_e32 v2, 0x3fb8aa3b, v9
	v_fma_f32 v3, v9, s2, -v2
	v_rndne_f32_e32 v4, v2
	v_fmac_f32_e32 v3, 0x32a5705f, v9
	v_sub_f32_e32 v2, v2, v4
	v_add_f32_e32 v2, v2, v3
	v_exp_f32_e32 v2, v2
	v_cvt_i32_f32_e32 v3, v4
	v_cmp_ngt_f32_e32 vcc, s4, v8
	v_cndmask_b32_e32 v1, 0, v1, vcc
	v_cmp_nlt_f32_e32 vcc, s3, v8
	v_cndmask_b32_e32 v1, v19, v1, vcc
	v_add_f32_e32 v0, v0, v1
	v_ldexp_f32 v1, v2, v3
	v_mul_f32_e32 v2, 0x3fb8aa3b, v10
	v_fma_f32 v3, v10, s2, -v2
	v_rndne_f32_e32 v4, v2
	v_fmac_f32_e32 v3, 0x32a5705f, v10
	v_sub_f32_e32 v2, v2, v4
	v_add_f32_e32 v2, v2, v3
	v_exp_f32_e32 v2, v2
	v_cvt_i32_f32_e32 v3, v4
	v_cmp_ngt_f32_e32 vcc, s4, v9
	;; [unrolled: 14-line block ×4, first 2 shown]
	v_cndmask_b32_e32 v1, 0, v1, vcc
	v_cmp_nlt_f32_e32 vcc, s3, v11
	v_cndmask_b32_e32 v1, v19, v1, vcc
	v_add_f32_e32 v0, v0, v1
	v_ldexp_f32 v1, v2, v3
	v_sub_f32_e32 v2, v13, v25
	v_mul_f32_e32 v3, 0x3fb8aa3b, v2
	v_fma_f32 v4, v2, s2, -v3
	v_rndne_f32_e32 v5, v3
	v_fmac_f32_e32 v4, 0x32a5705f, v2
	v_sub_f32_e32 v3, v3, v5
	v_add_f32_e32 v3, v3, v4
	v_exp_f32_e32 v3, v3
	v_cvt_i32_f32_e32 v4, v5
	v_cmp_ngt_f32_e32 vcc, s4, v12
	v_cndmask_b32_e32 v1, 0, v1, vcc
	v_cmp_nlt_f32_e32 vcc, s3, v12
	v_cndmask_b32_e32 v1, v19, v1, vcc
	v_add_f32_e32 v0, v0, v1
	v_ldexp_f32 v1, v3, v4
	v_sub_f32_e32 v3, v14, v25
	v_mul_f32_e32 v4, 0x3fb8aa3b, v3
	v_fma_f32 v5, v3, s2, -v4
	v_rndne_f32_e32 v6, v4
	v_fmac_f32_e32 v5, 0x32a5705f, v3
	v_sub_f32_e32 v4, v4, v6
	v_add_f32_e32 v4, v4, v5
	v_exp_f32_e32 v4, v4
	v_cvt_i32_f32_e32 v5, v6
	v_cmp_ngt_f32_e32 vcc, s4, v2
	v_cndmask_b32_e32 v1, 0, v1, vcc
	v_cmp_nlt_f32_e32 vcc, s3, v2
	v_cndmask_b32_e32 v1, v19, v1, vcc
	v_sub_f32_e32 v2, v15, v25
	v_add_f32_e32 v0, v0, v1
	v_ldexp_f32 v1, v4, v5
	v_mul_f32_e32 v4, 0x3fb8aa3b, v2
	v_fma_f32 v5, v2, s2, -v4
	v_rndne_f32_e32 v6, v4
	v_fmac_f32_e32 v5, 0x32a5705f, v2
	v_sub_f32_e32 v4, v4, v6
	v_add_f32_e32 v4, v4, v5
	v_exp_f32_e32 v4, v4
	v_cvt_i32_f32_e32 v5, v6
	v_cmp_ngt_f32_e32 vcc, s4, v3
	v_cndmask_b32_e32 v1, 0, v1, vcc
	v_cmp_nlt_f32_e32 vcc, s3, v3
	v_cndmask_b32_e32 v1, v19, v1, vcc
	v_add_f32_e32 v0, v0, v1
	v_ldexp_f32 v1, v4, v5
	v_cmp_ngt_f32_e32 vcc, s4, v2
	v_cndmask_b32_e32 v1, 0, v1, vcc
	v_cmp_nlt_f32_e32 vcc, s3, v2
	v_cndmask_b32_e32 v1, v19, v1, vcc
	v_add_f32_e32 v0, v0, v1
	v_cmp_eq_u32_e32 vcc, 0, v24
	s_nop 0
	v_mov_b32_dpp v1, v0 quad_perm:[1,0,3,2] row_mask:0xf bank_mask:0xf
	s_and_b64 exec, exec, vcc
	s_cbranch_execz .LBB265_32
; %bb.20:
	v_add_f32_e32 v0, v0, v1
	v_add_f32_e32 v0, v26, v0
	v_cmp_neq_f32_e32 vcc, 0, v0
	s_and_b64 exec, exec, vcc
	s_cbranch_execz .LBB265_32
; %bb.21:
	s_andn2_b64 vcc, exec, s[44:45]
	s_cbranch_vccnz .LBB265_32
; %bb.22:
	v_div_scale_f32 v1, s[0:1], v0, v0, 1.0
	v_rcp_f32_e32 v2, v1
	v_div_scale_f32 v3, vcc, 1.0, v0, 1.0
	s_cmp_gt_u32 s36, 3
	v_fma_f32 v4, -v1, v2, 1.0
	v_fmac_f32_e32 v2, v4, v2
	v_mul_f32_e32 v4, v3, v2
	v_fma_f32 v5, -v1, v4, v3
	v_fmac_f32_e32 v4, v5, v2
	v_fma_f32 v1, -v1, v4, v3
	v_div_fmas_f32 v1, v1, v2, v4
	v_div_fixup_f32 v0, v1, v0, 1.0
	v_ashrrev_i32_e32 v17, 31, v16
	s_cbranch_scc0 .LBB265_26
; %bb.23:
	v_lshlrev_b64 v[2:3], 2, v[16:17]
	v_mov_b32_e32 v4, s35
	v_add_co_u32_e32 v2, vcc, s34, v2
	v_addc_co_u32_e32 v3, vcc, v3, v4, vcc
	s_and_b32 s4, s36, 0x7ffffffc
	v_add_co_u32_e32 v2, vcc, 8, v2
	v_mov_b32_e32 v1, v0
	v_addc_co_u32_e32 v3, vcc, 0, v3, vcc
	s_mov_b32 s0, s4
.LBB265_24:                             ; =>This Inner Loop Header: Depth=1
	global_load_dwordx4 v[4:7], v[2:3], off offset:-8
	s_add_i32 s0, s0, -4
	s_cmp_lg_u32 s0, 0
	s_waitcnt vmcnt(0)
	v_pk_mul_f32 v[4:5], v[0:1], v[4:5]
	v_pk_mul_f32 v[6:7], v[0:1], v[6:7]
	global_store_dwordx4 v[2:3], v[4:7], off offset:-8
	v_add_co_u32_e32 v2, vcc, 16, v2
	v_addc_co_u32_e32 v3, vcc, 0, v3, vcc
	s_cbranch_scc1 .LBB265_24
; %bb.25:
	s_cmp_lg_u32 s4, s36
	s_mov_b64 s[2:3], 0
	s_cselect_b64 s[0:1], -1, 0
	s_branch .LBB265_27
.LBB265_26:
	s_mov_b64 s[2:3], -1
	s_mov_b64 s[0:1], 0
                                        ; implicit-def: $sgpr4
.LBB265_27:
	s_and_b64 vcc, exec, s[2:3]
	s_cbranch_vccz .LBB265_29
; %bb.28:
	s_mov_b64 s[0:1], -1
	s_mov_b32 s4, 0
.LBB265_29:
	s_andn2_b64 vcc, exec, s[0:1]
	s_cbranch_vccnz .LBB265_32
; %bb.30:
	v_add_co_u32_e32 v2, vcc, s4, v16
	v_addc_co_u32_e32 v3, vcc, 0, v17, vcc
	v_lshlrev_b64 v[2:3], 2, v[2:3]
	v_mov_b32_e32 v1, s35
	v_add_co_u32_e32 v2, vcc, s34, v2
	s_sub_i32 s0, s36, s4
	v_addc_co_u32_e32 v3, vcc, v1, v3, vcc
.LBB265_31:                             ; =>This Inner Loop Header: Depth=1
	global_load_dword v1, v[2:3], off
	s_add_i32 s0, s0, -1
	s_cmp_lg_u32 s0, 0
	s_waitcnt vmcnt(0)
	v_mul_f32_e32 v1, v0, v1
	global_store_dword v[2:3], v1, off
	v_add_co_u32_e32 v2, vcc, 4, v2
	v_addc_co_u32_e32 v3, vcc, 0, v3, vcc
	s_cbranch_scc1 .LBB265_31
.LBB265_32:
	s_endpgm
	.section	.rodata,"a",@progbits
	.p2align	6, 0x0
	.amdhsa_kernel _ZN4vllm3moe17topkGatingSoftmaxItLi16ELi32ELi8ELi32ELb0ELi4ELNS0_23SharedExpertScoringFuncE1EEEvPKT_PKbPfiPiS9_iiiiii
		.amdhsa_group_segment_fixed_size 0
		.amdhsa_private_segment_fixed_size 0
		.amdhsa_kernarg_size 72
		.amdhsa_user_sgpr_count 6
		.amdhsa_user_sgpr_private_segment_buffer 1
		.amdhsa_user_sgpr_dispatch_ptr 0
		.amdhsa_user_sgpr_queue_ptr 0
		.amdhsa_user_sgpr_kernarg_segment_ptr 1
		.amdhsa_user_sgpr_dispatch_id 0
		.amdhsa_user_sgpr_flat_scratch_init 0
		.amdhsa_user_sgpr_kernarg_preload_length 0
		.amdhsa_user_sgpr_kernarg_preload_offset 0
		.amdhsa_user_sgpr_private_segment_size 0
		.amdhsa_uses_dynamic_stack 0
		.amdhsa_system_sgpr_private_segment_wavefront_offset 0
		.amdhsa_system_sgpr_workgroup_id_x 1
		.amdhsa_system_sgpr_workgroup_id_y 0
		.amdhsa_system_sgpr_workgroup_id_z 0
		.amdhsa_system_sgpr_workgroup_info 0
		.amdhsa_system_vgpr_workitem_id 1
		.amdhsa_next_free_vgpr 49
		.amdhsa_next_free_sgpr 53
		.amdhsa_accum_offset 52
		.amdhsa_reserve_vcc 1
		.amdhsa_reserve_flat_scratch 0
		.amdhsa_float_round_mode_32 0
		.amdhsa_float_round_mode_16_64 0
		.amdhsa_float_denorm_mode_32 3
		.amdhsa_float_denorm_mode_16_64 3
		.amdhsa_dx10_clamp 1
		.amdhsa_ieee_mode 1
		.amdhsa_fp16_overflow 0
		.amdhsa_tg_split 0
		.amdhsa_exception_fp_ieee_invalid_op 0
		.amdhsa_exception_fp_denorm_src 0
		.amdhsa_exception_fp_ieee_div_zero 0
		.amdhsa_exception_fp_ieee_overflow 0
		.amdhsa_exception_fp_ieee_underflow 0
		.amdhsa_exception_fp_ieee_inexact 0
		.amdhsa_exception_int_div_zero 0
	.end_amdhsa_kernel
	.section	.text._ZN4vllm3moe17topkGatingSoftmaxItLi16ELi32ELi8ELi32ELb0ELi4ELNS0_23SharedExpertScoringFuncE1EEEvPKT_PKbPfiPiS9_iiiiii,"axG",@progbits,_ZN4vllm3moe17topkGatingSoftmaxItLi16ELi32ELi8ELi32ELb0ELi4ELNS0_23SharedExpertScoringFuncE1EEEvPKT_PKbPfiPiS9_iiiiii,comdat
.Lfunc_end265:
	.size	_ZN4vllm3moe17topkGatingSoftmaxItLi16ELi32ELi8ELi32ELb0ELi4ELNS0_23SharedExpertScoringFuncE1EEEvPKT_PKbPfiPiS9_iiiiii, .Lfunc_end265-_ZN4vllm3moe17topkGatingSoftmaxItLi16ELi32ELi8ELi32ELb0ELi4ELNS0_23SharedExpertScoringFuncE1EEEvPKT_PKbPfiPiS9_iiiiii
                                        ; -- End function
	.section	.AMDGPU.csdata,"",@progbits
; Kernel info:
; codeLenInByte = 4120
; NumSgprs: 57
; NumVgprs: 49
; NumAgprs: 0
; TotalNumVgprs: 49
; ScratchSize: 0
; MemoryBound: 0
; FloatMode: 240
; IeeeMode: 1
; LDSByteSize: 0 bytes/workgroup (compile time only)
; SGPRBlocks: 7
; VGPRBlocks: 6
; NumSGPRsForWavesPerEU: 57
; NumVGPRsForWavesPerEU: 49
; AccumOffset: 52
; Occupancy: 8
; WaveLimiterHint : 0
; COMPUTE_PGM_RSRC2:SCRATCH_EN: 0
; COMPUTE_PGM_RSRC2:USER_SGPR: 6
; COMPUTE_PGM_RSRC2:TRAP_HANDLER: 0
; COMPUTE_PGM_RSRC2:TGID_X_EN: 1
; COMPUTE_PGM_RSRC2:TGID_Y_EN: 0
; COMPUTE_PGM_RSRC2:TGID_Z_EN: 0
; COMPUTE_PGM_RSRC2:TIDIG_COMP_CNT: 1
; COMPUTE_PGM_RSRC3_GFX90A:ACCUM_OFFSET: 12
; COMPUTE_PGM_RSRC3_GFX90A:TG_SPLIT: 0
	.section	.text._ZN4vllm3moe17topkGatingSoftmaxItLi16ELi32ELi8ELi32ELb1ELi8ELNS0_23SharedExpertScoringFuncE1EEEvPKT_PKbPfiPiS9_iiiiii,"axG",@progbits,_ZN4vllm3moe17topkGatingSoftmaxItLi16ELi32ELi8ELi32ELb1ELi8ELNS0_23SharedExpertScoringFuncE1EEEvPKT_PKbPfiPiS9_iiiiii,comdat
	.protected	_ZN4vllm3moe17topkGatingSoftmaxItLi16ELi32ELi8ELi32ELb1ELi8ELNS0_23SharedExpertScoringFuncE1EEEvPKT_PKbPfiPiS9_iiiiii ; -- Begin function _ZN4vllm3moe17topkGatingSoftmaxItLi16ELi32ELi8ELi32ELb1ELi8ELNS0_23SharedExpertScoringFuncE1EEEvPKT_PKbPfiPiS9_iiiiii
	.globl	_ZN4vllm3moe17topkGatingSoftmaxItLi16ELi32ELi8ELi32ELb1ELi8ELNS0_23SharedExpertScoringFuncE1EEEvPKT_PKbPfiPiS9_iiiiii
	.p2align	8
	.type	_ZN4vllm3moe17topkGatingSoftmaxItLi16ELi32ELi8ELi32ELb1ELi8ELNS0_23SharedExpertScoringFuncE1EEEvPKT_PKbPfiPiS9_iiiiii,@function
_ZN4vllm3moe17topkGatingSoftmaxItLi16ELi32ELi8ELi32ELb1ELi8ELNS0_23SharedExpertScoringFuncE1EEEvPKT_PKbPfiPiS9_iiiiii: ; @_ZN4vllm3moe17topkGatingSoftmaxItLi16ELi32ELi8ELi32ELb1ELi8ELNS0_23SharedExpertScoringFuncE1EEEvPKT_PKbPfiPiS9_iiiiii
; %bb.0:
	s_load_dword s33, s[4:5], 0x18
	v_bfe_u32 v1, v0, 10, 10
	v_and_b32_e32 v0, 0x3ff, v0
	s_lshl_b32 s50, s6, 8
	v_lshlrev_b32_e32 v22, 5, v1
	v_lshrrev_b32_e32 v23, 1, v0
	v_add3_u32 v43, s50, v22, v23
	s_waitcnt lgkmcnt(0)
	v_cmp_gt_i32_e32 vcc, s33, v43
	s_and_saveexec_b64 s[0:1], vcc
	s_cbranch_execz .LBB266_30
; %bb.1:
	s_load_dwordx4 s[0:3], s[4:5], 0x0
	s_load_dwordx2 s[34:35], s[4:5], 0x10
	s_mov_b64 s[6:7], 0
	s_waitcnt lgkmcnt(0)
	s_cmp_eq_u64 s[2:3], 0
	s_cbranch_scc1 .LBB266_3
; %bb.2:
	v_ashrrev_i32_e32 v1, 31, v43
	v_mov_b32_e32 v3, s3
	v_add_co_u32_e32 v2, vcc, s2, v43
	v_addc_co_u32_e32 v3, vcc, v3, v1, vcc
	global_load_ubyte v1, v[2:3], off
	s_waitcnt vmcnt(0)
	v_and_b32_e32 v1, 1, v1
	v_cmp_eq_u32_e32 vcc, 1, v1
	s_xor_b64 s[2:3], vcc, -1
	s_orn2_b64 s[44:45], s[2:3], exec
	s_branch .LBB266_4
.LBB266_3:
	s_mov_b64 s[44:45], -1
.LBB266_4:
	s_load_dwordx2 s[8:9], s[4:5], 0x40
	s_load_dwordx4 s[36:39], s[4:5], 0x30
	v_mov_b32_e32 v1, s1
	v_and_b32_e32 v24, 1, v0
	v_lshlrev_b32_e32 v0, 5, v24
	s_waitcnt lgkmcnt(0)
	v_mul_lo_u32 v2, v43, s9
	v_ashrrev_i32_e32 v3, 31, v2
	v_lshlrev_b64 v[8:9], 1, v[2:3]
	v_add_co_u32_e32 v2, vcc, s0, v8
	v_addc_co_u32_e32 v1, vcc, v1, v9, vcc
	v_add_co_u32_e32 v0, vcc, v2, v0
	v_addc_co_u32_e32 v1, vcc, 0, v1, vcc
	global_load_dwordx4 v[12:15], v[0:1], off offset:16
	global_load_dwordx4 v[4:7], v[0:1], off
	v_lshlrev_b32_e32 v0, 1, v24
	v_add_co_u32_e32 v0, vcc, v8, v0
	v_addc_co_u32_e32 v1, vcc, 0, v9, vcc
	v_mov_b32_e32 v3, s1
	v_add_co_u32_e32 v0, vcc, s0, v0
	v_addc_co_u32_e32 v1, vcc, v1, v3, vcc
	v_mul_lo_u32 v16, v43, s39
	v_add_co_u32_e32 v0, vcc, 64, v0
	v_lshlrev_b32_e32 v25, 4, v24
	v_add_u32_e32 v2, s36, v16
	v_addc_co_u32_e32 v1, vcc, 0, v1, vcc
	s_mov_b32 s0, 0xbfb8aa3b
	s_mov_b32 s1, 0x42ce8ed0
	;; [unrolled: 1-line block ×3, first 2 shown]
	v_mov_b32_e32 v3, 0x7f800000
	v_mov_b32_e32 v8, s35
	;; [unrolled: 1-line block ×3, first 2 shown]
.LBB266_5:                              ; =>This Inner Loop Header: Depth=1
	global_load_ushort v17, v[0:1], off
	v_add_co_u32_e32 v0, vcc, 4, v0
	v_add_u32_e32 v18, 2, v9
	v_addc_co_u32_e32 v1, vcc, 0, v1, vcc
	v_add_u32_e32 v10, v2, v9
	v_cmp_lt_u32_e32 vcc, 5, v9
	v_mov_b32_e32 v9, v18
	v_ashrrev_i32_e32 v11, 31, v10
	v_lshlrev_b64 v[10:11], 2, v[10:11]
	s_or_b64 s[6:7], vcc, s[6:7]
	v_add_co_u32_e32 v10, vcc, s34, v10
	v_addc_co_u32_e32 v11, vcc, v8, v11, vcc
	s_waitcnt vmcnt(0)
	v_cvt_f32_u32_e32 v17, v17
	v_mul_f32_e32 v18, 0xbfb8aa3b, v17
	v_rndne_f32_e32 v19, v18
	v_fma_f32 v20, v17, s0, -v18
	v_sub_f32_e32 v18, v18, v19
	v_fmac_f32_e32 v20, 0xb2a5705f, v17
	v_add_f32_e32 v18, v18, v20
	v_cvt_i32_f32_e32 v19, v19
	v_exp_f32_e32 v18, v18
	v_cmp_nlt_f32_e32 vcc, s1, v17
	v_ldexp_f32 v18, v18, v19
	v_cndmask_b32_e32 v18, 0, v18, vcc
	v_cmp_ngt_f32_e32 vcc, s2, v17
	v_cndmask_b32_e32 v17, v3, v18, vcc
	v_add_f32_e32 v17, 1.0, v17
	v_div_scale_f32 v18, s[10:11], v17, v17, 1.0
	v_rcp_f32_e32 v19, v18
	v_div_scale_f32 v20, vcc, 1.0, v17, 1.0
	v_fma_f32 v21, -v18, v19, 1.0
	v_fmac_f32_e32 v19, v21, v19
	v_mul_f32_e32 v21, v20, v19
	v_fma_f32 v26, -v18, v21, v20
	v_fmac_f32_e32 v21, v26, v19
	v_fma_f32 v18, -v18, v21, v20
	v_div_fmas_f32 v18, v18, v19, v21
	v_div_fixup_f32 v17, v18, v17, 1.0
	global_store_dword v[10:11], v17, off
	s_andn2_b64 exec, exec, s[6:7]
	s_cbranch_execnz .LBB266_5
; %bb.6:
	s_or_b64 exec, exec, s[6:7]
	v_cvt_f32_u32_sdwa v1, v4 dst_sel:DWORD dst_unused:UNUSED_PAD src0_sel:WORD_1
	v_cvt_f32_u32_sdwa v0, v4 dst_sel:DWORD dst_unused:UNUSED_PAD src0_sel:WORD_0
	v_cvt_f32_u32_sdwa v2, v5 dst_sel:DWORD dst_unused:UNUSED_PAD src0_sel:WORD_0
	v_or_b32_e32 v26, 1, v25
	v_or_b32_e32 v27, 2, v25
	v_cmp_lt_f32_e32 vcc, v0, v1
	v_cndmask_b32_e32 v4, v0, v1, vcc
	v_cndmask_b32_e32 v3, v25, v26, vcc
	v_cmp_lt_f32_e32 vcc, v4, v2
	v_cndmask_b32_e32 v8, v3, v27, vcc
	v_cvt_f32_u32_sdwa v3, v5 dst_sel:DWORD dst_unused:UNUSED_PAD src0_sel:WORD_1
	v_cndmask_b32_e32 v4, v4, v2, vcc
	v_or_b32_e32 v28, 3, v25
	v_or_b32_e32 v29, 4, v25
	v_cmp_lt_f32_e32 vcc, v4, v3
	v_cndmask_b32_e32 v5, v8, v28, vcc
	v_cndmask_b32_e32 v8, v4, v3, vcc
	v_cvt_f32_u32_sdwa v4, v6 dst_sel:DWORD dst_unused:UNUSED_PAD src0_sel:WORD_0
	v_or_b32_e32 v30, 5, v25
	v_or_b32_e32 v31, 6, v25
	;; [unrolled: 1-line block ×3, first 2 shown]
	v_cmp_lt_f32_e32 vcc, v8, v4
	v_cndmask_b32_e32 v9, v5, v29, vcc
	v_cvt_f32_u32_sdwa v5, v6 dst_sel:DWORD dst_unused:UNUSED_PAD src0_sel:WORD_1
	v_cvt_f32_u32_sdwa v6, v7 dst_sel:DWORD dst_unused:UNUSED_PAD src0_sel:WORD_0
	v_cndmask_b32_e32 v8, v8, v4, vcc
	v_cvt_f32_u32_sdwa v7, v7 dst_sel:DWORD dst_unused:UNUSED_PAD src0_sel:WORD_1
	v_cmp_lt_f32_e32 vcc, v8, v5
	v_cndmask_b32_e32 v8, v8, v5, vcc
	v_cndmask_b32_e32 v9, v9, v30, vcc
	v_cmp_lt_f32_e32 vcc, v8, v6
	v_cndmask_b32_e32 v8, v8, v6, vcc
	v_cndmask_b32_e32 v9, v9, v31, vcc
	v_cmp_lt_f32_e32 vcc, v8, v7
	v_cndmask_b32_e32 v10, v8, v7, vcc
	v_cvt_f32_u32_sdwa v8, v12 dst_sel:DWORD dst_unused:UNUSED_PAD src0_sel:WORD_0
	v_cndmask_b32_e32 v9, v9, v32, vcc
	v_or_b32_e32 v33, 8, v25
	v_or_b32_e32 v34, 9, v25
	v_cmp_lt_f32_e32 vcc, v10, v8
	v_cndmask_b32_e32 v11, v9, v33, vcc
	v_cvt_f32_u32_sdwa v9, v12 dst_sel:DWORD dst_unused:UNUSED_PAD src0_sel:WORD_1
	v_cndmask_b32_e32 v10, v10, v8, vcc
	v_or_b32_e32 v35, 10, v25
	v_or_b32_e32 v36, 11, v25
	v_cmp_lt_f32_e32 vcc, v10, v9
	v_cndmask_b32_e32 v12, v10, v9, vcc
	v_cvt_f32_u32_sdwa v10, v13 dst_sel:DWORD dst_unused:UNUSED_PAD src0_sel:WORD_0
	v_cndmask_b32_e32 v11, v11, v34, vcc
	v_or_b32_e32 v37, 12, v25
	v_or_b32_e32 v38, 13, v25
	v_cmp_lt_f32_e32 vcc, v12, v10
	v_cndmask_b32_e32 v17, v11, v35, vcc
	v_cvt_f32_u32_sdwa v11, v13 dst_sel:DWORD dst_unused:UNUSED_PAD src0_sel:WORD_1
	v_cndmask_b32_e32 v12, v12, v10, vcc
	v_or_b32_e32 v39, 14, v25
	v_or_b32_e32 v40, 15, v25
	v_cmp_lt_f32_e32 vcc, v12, v11
	v_cndmask_b32_e32 v13, v17, v36, vcc
	v_cndmask_b32_e32 v17, v12, v11, vcc
	v_cvt_f32_u32_sdwa v12, v14 dst_sel:DWORD dst_unused:UNUSED_PAD src0_sel:WORD_0
	s_cmp_gt_i32 s36, 0
	s_cselect_b64 s[46:47], -1, 0
	v_cmp_eq_u32_e64 s[0:1], 0, v24
	v_cmp_lt_f32_e32 vcc, v17, v12
	v_cndmask_b32_e32 v18, v13, v37, vcc
	v_cvt_f32_u32_sdwa v13, v14 dst_sel:DWORD dst_unused:UNUSED_PAD src0_sel:WORD_1
	v_cvt_f32_u32_sdwa v14, v15 dst_sel:DWORD dst_unused:UNUSED_PAD src0_sel:WORD_0
	v_cndmask_b32_e32 v17, v17, v12, vcc
	v_cvt_f32_u32_sdwa v15, v15 dst_sel:DWORD dst_unused:UNUSED_PAD src0_sel:WORD_1
	v_cmp_lt_f32_e32 vcc, v17, v13
	v_cndmask_b32_e32 v17, v17, v13, vcc
	v_cndmask_b32_e32 v18, v18, v38, vcc
	v_cmp_lt_f32_e32 vcc, v17, v14
	v_cndmask_b32_e32 v17, v17, v14, vcc
	v_cndmask_b32_e32 v18, v18, v39, vcc
	;; [unrolled: 3-line block ×3, first 2 shown]
	s_and_b64 vcc, exec, s[46:47]
	v_mov_b32_dpp v20, v18 quad_perm:[1,0,3,2] row_mask:0xf bank_mask:0xf
	v_mov_b32_dpp v19, v17 quad_perm:[1,0,3,2] row_mask:0xf bank_mask:0xf
	s_cbranch_vccz .LBB266_18
; %bb.7:
	s_load_dwordx4 s[40:43], s[4:5], 0x20
	v_cmp_eq_f32_e64 s[2:3], v17, v19
	v_cmp_lt_i32_e64 s[6:7], v20, v18
	v_cmp_lt_f32_e32 vcc, v17, v19
	s_and_b64 s[2:3], s[2:3], s[6:7]
	s_or_b64 vcc, vcc, s[2:3]
	v_cndmask_b32_e32 v44, v18, v20, vcc
	v_cndmask_b32_e32 v42, v17, v19, vcc
	v_mul_lo_u32 v20, v43, s8
	v_mul_lo_u32 v18, v43, s36
	v_mov_b32_e32 v41, 0
	s_and_saveexec_b64 s[4:5], s[0:1]
	s_cbranch_execz .LBB266_9
; %bb.8:
	v_sub_f32_e32 v17, v42, v42
	v_mul_f32_e32 v19, 0x3fb8aa3b, v17
	s_mov_b32 s2, 0x3fb8aa3b
	v_rndne_f32_e32 v21, v19
	v_sub_f32_e32 v41, v19, v21
	v_fma_f32 v19, v17, s2, -v19
	v_fmac_f32_e32 v19, 0x32a5705f, v17
	v_add_f32_e32 v19, v41, v19
	v_exp_f32_e32 v19, v19
	v_cvt_i32_f32_e32 v21, v21
	v_cmp_le_i32_e32 vcc, s37, v44
	v_cmp_gt_i32_e64 s[2:3], s38, v44
	s_mov_b32 s6, 0xc2ce8ed0
	s_and_b64 s[2:3], vcc, s[2:3]
	v_ldexp_f32 v19, v19, v21
	v_cmp_ngt_f32_e32 vcc, s6, v17
	s_mov_b32 s6, 0x42b17218
	v_cndmask_b32_e32 v19, 0, v19, vcc
	v_cmp_nlt_f32_e32 vcc, s6, v17
	v_ashrrev_i32_e32 v17, 31, v16
	v_mov_b32_e32 v21, 0x7f800000
	v_lshlrev_b64 v[46:47], 2, v[16:17]
	v_cndmask_b32_e32 v41, v21, v19, vcc
	v_mov_b32_e32 v17, s35
	v_add_co_u32_e32 v46, vcc, s34, v46
	v_addc_co_u32_e32 v47, vcc, v17, v47, vcc
	v_ashrrev_i32_e32 v21, 31, v20
	global_store_dword v[46:47], v41, off
	v_subrev_u32_e32 v17, s37, v44
	s_and_b64 vcc, s[44:45], s[2:3]
	v_lshlrev_b64 v[46:47], 2, v[20:21]
	v_cndmask_b32_e32 v17, 32, v17, vcc
	s_waitcnt lgkmcnt(0)
	v_mov_b32_e32 v19, s41
	v_add_co_u32_e32 v46, vcc, s40, v46
	v_addc_co_u32_e32 v47, vcc, v19, v47, vcc
	v_ashrrev_i32_e32 v19, 31, v18
	global_store_dword v[46:47], v17, off
	v_lshlrev_b64 v[46:47], 2, v[18:19]
	v_mov_b32_e32 v17, s43
	v_add_co_u32_e32 v46, vcc, s42, v46
	v_addc_co_u32_e32 v47, vcc, v17, v47, vcc
	global_store_dword v[46:47], v43, off
.LBB266_9:
	s_or_b64 exec, exec, s[4:5]
	v_ashrrev_i32_e32 v19, 31, v44
	v_lshrrev_b32_e32 v17, 28, v19
	v_add_u32_e32 v21, v44, v17
	v_ashrrev_i32_e32 v17, 4, v21
	v_lshrrev_b32_e32 v21, 31, v21
	v_add_u32_e32 v21, v17, v21
	v_and_b32_e32 v21, -2, v21
	v_sub_u32_e32 v21, v17, v21
	v_cmp_eq_u32_e32 vcc, v24, v21
	s_and_saveexec_b64 s[48:49], vcc
	s_cbranch_execz .LBB266_11
; %bb.10:
	v_lshrrev_b32_e32 v19, 27, v19
	v_add_u32_e32 v19, v44, v19
	v_lshlrev_b32_e32 v17, 4, v17
	v_sub_u32_e32 v17, v44, v17
	v_ashrrev_i32_e32 v19, 5, v19
	v_lshl_add_u32 v17, v19, 4, v17
	v_mov_b32_e32 v19, 0xff800000
	v_cmp_ne_u32_e32 vcc, 14, v17
	v_cmp_ne_u32_e64 s[2:3], 13, v17
	v_cmp_ne_u32_e64 s[4:5], 12, v17
	;; [unrolled: 1-line block ×15, first 2 shown]
	v_cndmask_b32_e64 v15, v19, v15, s[30:31]
	v_cndmask_b32_e32 v14, v19, v14, vcc
	v_cndmask_b32_e64 v13, v19, v13, s[2:3]
	v_cndmask_b32_e64 v12, v19, v12, s[4:5]
	;; [unrolled: 1-line block ×14, first 2 shown]
.LBB266_11:
	s_or_b64 exec, exec, s[48:49]
	s_cmp_eq_u32 s36, 1
	s_cbranch_scc1 .LBB266_19
; %bb.12:
	s_add_i32 s50, s50, s33
	s_add_i32 s39, s36, -1
	v_add3_u32 v17, s50, v23, v22
	v_add_u32_e32 v18, 1, v18
	v_add_u32_e32 v20, 1, v20
	;; [unrolled: 1-line block ×3, first 2 shown]
	s_mov_b32 s50, 0x3fb8aa3b
	s_mov_b32 s51, 0xc2ce8ed0
	;; [unrolled: 1-line block ×3, first 2 shown]
	v_mov_b32_e32 v43, 0x7f800000
	v_mov_b32_e32 v44, 0xff800000
	s_branch .LBB266_14
.LBB266_13:                             ;   in Loop: Header=BB266_14 Depth=1
	s_or_b64 exec, exec, s[48:49]
	s_add_i32 s39, s39, -1
	v_add_u32_e32 v17, s33, v17
	v_add_u32_e32 v18, 1, v18
	;; [unrolled: 1-line block ×3, first 2 shown]
	s_cmp_eq_u32 s39, 0
	v_add_u32_e32 v22, 1, v22
	s_cbranch_scc1 .LBB266_19
.LBB266_14:                             ; =>This Inner Loop Header: Depth=1
	v_cmp_gt_f32_e32 vcc, v1, v0
	v_cndmask_b32_e32 v21, v0, v1, vcc
	v_cndmask_b32_e32 v19, v25, v26, vcc
	v_cmp_gt_f32_e32 vcc, v2, v21
	v_cndmask_b32_e32 v21, v21, v2, vcc
	v_cndmask_b32_e32 v19, v19, v27, vcc
	;; [unrolled: 3-line block ×15, first 2 shown]
	s_nop 0
	v_mov_b32_dpp v45, v23 quad_perm:[1,0,3,2] row_mask:0xf bank_mask:0xf
	v_mov_b32_dpp v21, v19 quad_perm:[1,0,3,2] row_mask:0xf bank_mask:0xf
	v_cmp_eq_f32_e64 s[2:3], v19, v21
	v_cmp_lt_i32_e64 s[4:5], v45, v23
	v_cmp_lt_f32_e32 vcc, v19, v21
	s_and_b64 s[2:3], s[2:3], s[4:5]
	s_or_b64 vcc, vcc, s[2:3]
	v_cndmask_b32_e32 v45, v23, v45, vcc
	s_and_saveexec_b64 s[4:5], s[0:1]
	s_cbranch_execz .LBB266_16
; %bb.15:                               ;   in Loop: Header=BB266_14 Depth=1
	v_cndmask_b32_e32 v19, v19, v21, vcc
	v_sub_f32_e32 v19, v19, v42
	v_mul_f32_e32 v21, 0x3fb8aa3b, v19
	v_fma_f32 v23, v19, s50, -v21
	v_rndne_f32_e32 v46, v21
	v_fmac_f32_e32 v23, 0x32a5705f, v19
	v_sub_f32_e32 v21, v21, v46
	v_add_f32_e32 v21, v21, v23
	v_exp_f32_e32 v21, v21
	v_cvt_i32_f32_e32 v23, v46
	v_cmp_le_i32_e32 vcc, s37, v45
	v_cmp_gt_i32_e64 s[2:3], s38, v45
	s_and_b64 s[2:3], vcc, s[2:3]
	v_ldexp_f32 v21, v21, v23
	v_cmp_ngt_f32_e32 vcc, s51, v19
	v_ashrrev_i32_e32 v23, 31, v22
	v_cndmask_b32_e32 v21, 0, v21, vcc
	v_cmp_nlt_f32_e32 vcc, s52, v19
	v_lshlrev_b64 v[46:47], 2, v[22:23]
	v_cndmask_b32_e32 v48, v43, v21, vcc
	v_mov_b32_e32 v19, s35
	v_add_co_u32_e32 v46, vcc, s34, v46
	v_addc_co_u32_e32 v47, vcc, v19, v47, vcc
	v_ashrrev_i32_e32 v21, 31, v20
	global_store_dword v[46:47], v48, off
	v_subrev_u32_e32 v19, s37, v45
	s_and_b64 vcc, s[44:45], s[2:3]
	v_lshlrev_b64 v[46:47], 2, v[20:21]
	v_cndmask_b32_e32 v19, 32, v19, vcc
	s_waitcnt lgkmcnt(0)
	v_mov_b32_e32 v21, s41
	v_add_co_u32_e32 v46, vcc, s40, v46
	v_addc_co_u32_e32 v47, vcc, v21, v47, vcc
	global_store_dword v[46:47], v19, off
	v_ashrrev_i32_e32 v19, 31, v18
	v_lshlrev_b64 v[46:47], 2, v[18:19]
	v_mov_b32_e32 v19, s43
	v_add_co_u32_e32 v46, vcc, s42, v46
	v_addc_co_u32_e32 v47, vcc, v19, v47, vcc
	v_add_f32_e32 v41, v41, v48
	global_store_dword v[46:47], v17, off
.LBB266_16:                             ;   in Loop: Header=BB266_14 Depth=1
	s_or_b64 exec, exec, s[4:5]
	v_ashrrev_i32_e32 v21, 31, v45
	v_lshrrev_b32_e32 v19, 28, v21
	v_add_u32_e32 v23, v45, v19
	v_ashrrev_i32_e32 v19, 4, v23
	v_lshrrev_b32_e32 v23, 31, v23
	v_add_u32_e32 v23, v19, v23
	v_and_b32_e32 v23, -2, v23
	v_sub_u32_e32 v23, v19, v23
	v_cmp_eq_u32_e32 vcc, v24, v23
	s_and_saveexec_b64 s[48:49], vcc
	s_cbranch_execz .LBB266_13
; %bb.17:                               ;   in Loop: Header=BB266_14 Depth=1
	v_lshrrev_b32_e32 v21, 27, v21
	v_add_u32_e32 v21, v45, v21
	v_lshlrev_b32_e32 v19, 4, v19
	v_sub_u32_e32 v19, v45, v19
	v_ashrrev_i32_e32 v21, 5, v21
	v_lshl_add_u32 v19, v21, 4, v19
	v_cmp_ne_u32_e32 vcc, 14, v19
	v_cmp_ne_u32_e64 s[2:3], 13, v19
	v_cmp_ne_u32_e64 s[4:5], 12, v19
	;; [unrolled: 1-line block ×15, first 2 shown]
	v_cndmask_b32_e64 v15, v44, v15, s[30:31]
	v_cndmask_b32_e32 v14, v44, v14, vcc
	v_cndmask_b32_e64 v13, v44, v13, s[2:3]
	v_cndmask_b32_e64 v12, v44, v12, s[4:5]
	;; [unrolled: 1-line block ×14, first 2 shown]
	s_branch .LBB266_13
.LBB266_18:
	v_mov_b32_e32 v41, 0
.LBB266_19:
	v_cmp_eq_u32_e32 vcc, 0, v24
	v_cmp_neq_f32_e64 s[0:1], 0, v41
	s_and_b64 s[0:1], vcc, s[0:1]
	s_and_b64 exec, exec, s[0:1]
	s_cbranch_execz .LBB266_30
; %bb.20:
	s_andn2_b64 vcc, exec, s[46:47]
	s_cbranch_vccnz .LBB266_30
; %bb.21:
	v_div_scale_f32 v0, s[0:1], v41, v41, 1.0
	v_rcp_f32_e32 v1, v0
	v_div_scale_f32 v2, vcc, 1.0, v41, 1.0
	s_cmp_gt_u32 s36, 3
	v_fma_f32 v3, -v0, v1, 1.0
	v_fmac_f32_e32 v1, v3, v1
	v_mul_f32_e32 v3, v2, v1
	v_fma_f32 v4, -v0, v3, v2
	v_fmac_f32_e32 v3, v4, v1
	v_fma_f32 v0, -v0, v3, v2
	v_div_fmas_f32 v0, v0, v1, v3
	v_div_fixup_f32 v0, v0, v41, 1.0
	v_ashrrev_i32_e32 v17, 31, v16
	s_cbranch_scc0 .LBB266_25
; %bb.22:
	v_lshlrev_b64 v[2:3], 2, v[16:17]
	v_mov_b32_e32 v4, s35
	v_add_co_u32_e32 v2, vcc, s34, v2
	v_addc_co_u32_e32 v3, vcc, v3, v4, vcc
	s_and_b32 s4, s36, 0x7ffffffc
	v_add_co_u32_e32 v2, vcc, 8, v2
	v_mov_b32_e32 v1, v0
	v_addc_co_u32_e32 v3, vcc, 0, v3, vcc
	s_mov_b32 s0, s4
.LBB266_23:                             ; =>This Inner Loop Header: Depth=1
	global_load_dwordx4 v[4:7], v[2:3], off offset:-8
	s_add_i32 s0, s0, -4
	s_cmp_lg_u32 s0, 0
	s_waitcnt vmcnt(0)
	v_pk_mul_f32 v[4:5], v[0:1], v[4:5]
	v_pk_mul_f32 v[6:7], v[0:1], v[6:7]
	global_store_dwordx4 v[2:3], v[4:7], off offset:-8
	v_add_co_u32_e32 v2, vcc, 16, v2
	v_addc_co_u32_e32 v3, vcc, 0, v3, vcc
	s_cbranch_scc1 .LBB266_23
; %bb.24:
	s_cmp_lg_u32 s4, s36
	s_cselect_b64 s[0:1], -1, 0
	s_branch .LBB266_27
.LBB266_25:
	s_mov_b64 s[0:1], 0
                                        ; implicit-def: $sgpr4
	s_cbranch_execz .LBB266_27
; %bb.26:
	s_mov_b64 s[0:1], -1
	s_mov_b32 s4, 0
.LBB266_27:
	s_andn2_b64 vcc, exec, s[0:1]
	s_cbranch_vccnz .LBB266_30
; %bb.28:
	v_add_co_u32_e32 v2, vcc, s4, v16
	v_addc_co_u32_e32 v3, vcc, 0, v17, vcc
	v_lshlrev_b64 v[2:3], 2, v[2:3]
	v_mov_b32_e32 v1, s35
	v_add_co_u32_e32 v2, vcc, s34, v2
	s_sub_i32 s0, s36, s4
	v_addc_co_u32_e32 v3, vcc, v1, v3, vcc
.LBB266_29:                             ; =>This Inner Loop Header: Depth=1
	global_load_dword v1, v[2:3], off
	s_add_i32 s0, s0, -1
	s_cmp_lg_u32 s0, 0
	s_waitcnt vmcnt(0)
	v_mul_f32_e32 v1, v0, v1
	global_store_dword v[2:3], v1, off
	v_add_co_u32_e32 v2, vcc, 4, v2
	v_addc_co_u32_e32 v3, vcc, 0, v3, vcc
	s_cbranch_scc1 .LBB266_29
.LBB266_30:
	s_endpgm
	.section	.rodata,"a",@progbits
	.p2align	6, 0x0
	.amdhsa_kernel _ZN4vllm3moe17topkGatingSoftmaxItLi16ELi32ELi8ELi32ELb1ELi8ELNS0_23SharedExpertScoringFuncE1EEEvPKT_PKbPfiPiS9_iiiiii
		.amdhsa_group_segment_fixed_size 0
		.amdhsa_private_segment_fixed_size 0
		.amdhsa_kernarg_size 72
		.amdhsa_user_sgpr_count 6
		.amdhsa_user_sgpr_private_segment_buffer 1
		.amdhsa_user_sgpr_dispatch_ptr 0
		.amdhsa_user_sgpr_queue_ptr 0
		.amdhsa_user_sgpr_kernarg_segment_ptr 1
		.amdhsa_user_sgpr_dispatch_id 0
		.amdhsa_user_sgpr_flat_scratch_init 0
		.amdhsa_user_sgpr_kernarg_preload_length 0
		.amdhsa_user_sgpr_kernarg_preload_offset 0
		.amdhsa_user_sgpr_private_segment_size 0
		.amdhsa_uses_dynamic_stack 0
		.amdhsa_system_sgpr_private_segment_wavefront_offset 0
		.amdhsa_system_sgpr_workgroup_id_x 1
		.amdhsa_system_sgpr_workgroup_id_y 0
		.amdhsa_system_sgpr_workgroup_id_z 0
		.amdhsa_system_sgpr_workgroup_info 0
		.amdhsa_system_vgpr_workitem_id 1
		.amdhsa_next_free_vgpr 49
		.amdhsa_next_free_sgpr 53
		.amdhsa_accum_offset 52
		.amdhsa_reserve_vcc 1
		.amdhsa_reserve_flat_scratch 0
		.amdhsa_float_round_mode_32 0
		.amdhsa_float_round_mode_16_64 0
		.amdhsa_float_denorm_mode_32 3
		.amdhsa_float_denorm_mode_16_64 3
		.amdhsa_dx10_clamp 1
		.amdhsa_ieee_mode 1
		.amdhsa_fp16_overflow 0
		.amdhsa_tg_split 0
		.amdhsa_exception_fp_ieee_invalid_op 0
		.amdhsa_exception_fp_denorm_src 0
		.amdhsa_exception_fp_ieee_div_zero 0
		.amdhsa_exception_fp_ieee_overflow 0
		.amdhsa_exception_fp_ieee_underflow 0
		.amdhsa_exception_fp_ieee_inexact 0
		.amdhsa_exception_int_div_zero 0
	.end_amdhsa_kernel
	.section	.text._ZN4vllm3moe17topkGatingSoftmaxItLi16ELi32ELi8ELi32ELb1ELi8ELNS0_23SharedExpertScoringFuncE1EEEvPKT_PKbPfiPiS9_iiiiii,"axG",@progbits,_ZN4vllm3moe17topkGatingSoftmaxItLi16ELi32ELi8ELi32ELb1ELi8ELNS0_23SharedExpertScoringFuncE1EEEvPKT_PKbPfiPiS9_iiiiii,comdat
.Lfunc_end266:
	.size	_ZN4vllm3moe17topkGatingSoftmaxItLi16ELi32ELi8ELi32ELb1ELi8ELNS0_23SharedExpertScoringFuncE1EEEvPKT_PKbPfiPiS9_iiiiii, .Lfunc_end266-_ZN4vllm3moe17topkGatingSoftmaxItLi16ELi32ELi8ELi32ELb1ELi8ELNS0_23SharedExpertScoringFuncE1EEEvPKT_PKbPfiPiS9_iiiiii
                                        ; -- End function
	.section	.AMDGPU.csdata,"",@progbits
; Kernel info:
; codeLenInByte = 2816
; NumSgprs: 57
; NumVgprs: 49
; NumAgprs: 0
; TotalNumVgprs: 49
; ScratchSize: 0
; MemoryBound: 0
; FloatMode: 240
; IeeeMode: 1
; LDSByteSize: 0 bytes/workgroup (compile time only)
; SGPRBlocks: 7
; VGPRBlocks: 6
; NumSGPRsForWavesPerEU: 57
; NumVGPRsForWavesPerEU: 49
; AccumOffset: 52
; Occupancy: 8
; WaveLimiterHint : 0
; COMPUTE_PGM_RSRC2:SCRATCH_EN: 0
; COMPUTE_PGM_RSRC2:USER_SGPR: 6
; COMPUTE_PGM_RSRC2:TRAP_HANDLER: 0
; COMPUTE_PGM_RSRC2:TGID_X_EN: 1
; COMPUTE_PGM_RSRC2:TGID_Y_EN: 0
; COMPUTE_PGM_RSRC2:TGID_Z_EN: 0
; COMPUTE_PGM_RSRC2:TIDIG_COMP_CNT: 1
; COMPUTE_PGM_RSRC3_GFX90A:ACCUM_OFFSET: 12
; COMPUTE_PGM_RSRC3_GFX90A:TG_SPLIT: 0
	.section	.text._ZN4vllm3moe17topkGatingSoftmaxItLi16ELi32ELi8ELi32ELb0ELi8ELNS0_23SharedExpertScoringFuncE1EEEvPKT_PKbPfiPiS9_iiiiii,"axG",@progbits,_ZN4vllm3moe17topkGatingSoftmaxItLi16ELi32ELi8ELi32ELb0ELi8ELNS0_23SharedExpertScoringFuncE1EEEvPKT_PKbPfiPiS9_iiiiii,comdat
	.protected	_ZN4vllm3moe17topkGatingSoftmaxItLi16ELi32ELi8ELi32ELb0ELi8ELNS0_23SharedExpertScoringFuncE1EEEvPKT_PKbPfiPiS9_iiiiii ; -- Begin function _ZN4vllm3moe17topkGatingSoftmaxItLi16ELi32ELi8ELi32ELb0ELi8ELNS0_23SharedExpertScoringFuncE1EEEvPKT_PKbPfiPiS9_iiiiii
	.globl	_ZN4vllm3moe17topkGatingSoftmaxItLi16ELi32ELi8ELi32ELb0ELi8ELNS0_23SharedExpertScoringFuncE1EEEvPKT_PKbPfiPiS9_iiiiii
	.p2align	8
	.type	_ZN4vllm3moe17topkGatingSoftmaxItLi16ELi32ELi8ELi32ELb0ELi8ELNS0_23SharedExpertScoringFuncE1EEEvPKT_PKbPfiPiS9_iiiiii,@function
_ZN4vllm3moe17topkGatingSoftmaxItLi16ELi32ELi8ELi32ELb0ELi8ELNS0_23SharedExpertScoringFuncE1EEEvPKT_PKbPfiPiS9_iiiiii: ; @_ZN4vllm3moe17topkGatingSoftmaxItLi16ELi32ELi8ELi32ELb0ELi8ELNS0_23SharedExpertScoringFuncE1EEEvPKT_PKbPfiPiS9_iiiiii
; %bb.0:
	s_load_dword s33, s[4:5], 0x18
	v_bfe_u32 v1, v0, 10, 10
	v_and_b32_e32 v0, 0x3ff, v0
	s_lshl_b32 s50, s6, 8
	v_lshlrev_b32_e32 v22, 5, v1
	v_lshrrev_b32_e32 v23, 1, v0
	v_add3_u32 v43, s50, v22, v23
	s_waitcnt lgkmcnt(0)
	v_cmp_gt_i32_e32 vcc, s33, v43
	s_and_saveexec_b64 s[0:1], vcc
	s_cbranch_execz .LBB267_32
; %bb.1:
	s_load_dwordx4 s[0:3], s[4:5], 0x0
	s_load_dwordx2 s[34:35], s[4:5], 0x10
	s_mov_b64 s[8:9], 0
	s_waitcnt lgkmcnt(0)
	s_cmp_eq_u64 s[2:3], 0
	s_cbranch_scc1 .LBB267_3
; %bb.2:
	v_ashrrev_i32_e32 v1, 31, v43
	v_mov_b32_e32 v3, s3
	v_add_co_u32_e32 v2, vcc, s2, v43
	v_addc_co_u32_e32 v3, vcc, v3, v1, vcc
	global_load_ubyte v1, v[2:3], off
	s_waitcnt vmcnt(0)
	v_and_b32_e32 v1, 1, v1
	v_cmp_eq_u32_e32 vcc, 1, v1
	s_xor_b64 s[2:3], vcc, -1
	s_orn2_b64 s[46:47], s[2:3], exec
	s_branch .LBB267_4
.LBB267_3:
	s_mov_b64 s[46:47], -1
.LBB267_4:
	s_load_dwordx2 s[6:7], s[4:5], 0x40
	s_load_dwordx4 s[36:39], s[4:5], 0x30
	v_mov_b32_e32 v1, s1
	v_and_b32_e32 v24, 1, v0
	v_lshlrev_b32_e32 v0, 5, v24
	s_waitcnt lgkmcnt(0)
	v_mul_lo_u32 v2, v43, s7
	v_ashrrev_i32_e32 v3, 31, v2
	v_lshlrev_b64 v[8:9], 1, v[2:3]
	v_add_co_u32_e32 v2, vcc, s0, v8
	v_addc_co_u32_e32 v1, vcc, v1, v9, vcc
	v_add_co_u32_e32 v0, vcc, v2, v0
	v_addc_co_u32_e32 v1, vcc, 0, v1, vcc
	global_load_dwordx4 v[12:15], v[0:1], off offset:16
	global_load_dwordx4 v[4:7], v[0:1], off
	v_lshlrev_b32_e32 v0, 1, v24
	v_add_co_u32_e32 v0, vcc, v8, v0
	v_addc_co_u32_e32 v1, vcc, 0, v9, vcc
	v_mov_b32_e32 v3, s1
	v_add_co_u32_e32 v0, vcc, s0, v0
	v_addc_co_u32_e32 v1, vcc, v1, v3, vcc
	v_mul_lo_u32 v16, v43, s39
	v_add_co_u32_e32 v0, vcc, 64, v0
	v_lshlrev_b32_e32 v27, 4, v24
	v_add_u32_e32 v2, s36, v16
	v_addc_co_u32_e32 v1, vcc, 0, v1, vcc
	s_mov_b32 s0, 0xbfb8aa3b
	s_mov_b32 s1, 0x42ce8ed0
	;; [unrolled: 1-line block ×3, first 2 shown]
	v_mov_b32_e32 v3, 0x7f800000
	v_mov_b32_e32 v8, s35
	;; [unrolled: 1-line block ×3, first 2 shown]
.LBB267_5:                              ; =>This Inner Loop Header: Depth=1
	global_load_ushort v17, v[0:1], off
	v_add_co_u32_e32 v0, vcc, 4, v0
	v_add_u32_e32 v18, 2, v9
	v_addc_co_u32_e32 v1, vcc, 0, v1, vcc
	v_add_u32_e32 v10, v2, v9
	v_cmp_lt_u32_e32 vcc, 5, v9
	v_mov_b32_e32 v9, v18
	v_ashrrev_i32_e32 v11, 31, v10
	v_lshlrev_b64 v[10:11], 2, v[10:11]
	s_or_b64 s[8:9], vcc, s[8:9]
	v_add_co_u32_e32 v10, vcc, s34, v10
	v_addc_co_u32_e32 v11, vcc, v8, v11, vcc
	s_waitcnt vmcnt(0)
	v_cvt_f32_u32_e32 v17, v17
	v_mul_f32_e32 v18, 0xbfb8aa3b, v17
	v_rndne_f32_e32 v19, v18
	v_fma_f32 v20, v17, s0, -v18
	v_sub_f32_e32 v18, v18, v19
	v_fmac_f32_e32 v20, 0xb2a5705f, v17
	v_add_f32_e32 v18, v18, v20
	v_cvt_i32_f32_e32 v19, v19
	v_exp_f32_e32 v18, v18
	v_cmp_nlt_f32_e32 vcc, s1, v17
	v_ldexp_f32 v18, v18, v19
	v_cndmask_b32_e32 v18, 0, v18, vcc
	v_cmp_ngt_f32_e32 vcc, s2, v17
	v_cndmask_b32_e32 v17, v3, v18, vcc
	v_add_f32_e32 v17, 1.0, v17
	v_div_scale_f32 v18, s[10:11], v17, v17, 1.0
	v_rcp_f32_e32 v19, v18
	v_div_scale_f32 v20, vcc, 1.0, v17, 1.0
	v_fma_f32 v21, -v18, v19, 1.0
	v_fmac_f32_e32 v19, v21, v19
	v_mul_f32_e32 v21, v20, v19
	v_fma_f32 v25, -v18, v21, v20
	v_fmac_f32_e32 v21, v25, v19
	v_fma_f32 v18, -v18, v21, v20
	v_div_fmas_f32 v18, v18, v19, v21
	v_div_fixup_f32 v17, v18, v17, 1.0
	global_store_dword v[10:11], v17, off
	s_andn2_b64 exec, exec, s[8:9]
	s_cbranch_execnz .LBB267_5
; %bb.6:
	s_or_b64 exec, exec, s[8:9]
	v_cvt_f32_u32_sdwa v1, v4 dst_sel:DWORD dst_unused:UNUSED_PAD src0_sel:WORD_1
	v_cvt_f32_u32_sdwa v0, v4 dst_sel:DWORD dst_unused:UNUSED_PAD src0_sel:WORD_0
	v_cvt_f32_u32_sdwa v2, v5 dst_sel:DWORD dst_unused:UNUSED_PAD src0_sel:WORD_0
	v_or_b32_e32 v28, 1, v27
	v_or_b32_e32 v29, 2, v27
	v_cmp_lt_f32_e32 vcc, v0, v1
	v_cndmask_b32_e32 v4, v0, v1, vcc
	v_cndmask_b32_e32 v3, v27, v28, vcc
	v_cmp_lt_f32_e32 vcc, v4, v2
	v_cndmask_b32_e32 v8, v3, v29, vcc
	v_cvt_f32_u32_sdwa v3, v5 dst_sel:DWORD dst_unused:UNUSED_PAD src0_sel:WORD_1
	v_cndmask_b32_e32 v4, v4, v2, vcc
	v_or_b32_e32 v30, 3, v27
	v_or_b32_e32 v31, 4, v27
	v_cmp_lt_f32_e32 vcc, v4, v3
	v_cndmask_b32_e32 v5, v8, v30, vcc
	v_cndmask_b32_e32 v8, v4, v3, vcc
	v_cvt_f32_u32_sdwa v4, v6 dst_sel:DWORD dst_unused:UNUSED_PAD src0_sel:WORD_0
	v_or_b32_e32 v32, 5, v27
	v_or_b32_e32 v33, 6, v27
	;; [unrolled: 1-line block ×3, first 2 shown]
	v_cmp_lt_f32_e32 vcc, v8, v4
	v_cndmask_b32_e32 v9, v5, v31, vcc
	v_cvt_f32_u32_sdwa v5, v6 dst_sel:DWORD dst_unused:UNUSED_PAD src0_sel:WORD_1
	v_cvt_f32_u32_sdwa v6, v7 dst_sel:DWORD dst_unused:UNUSED_PAD src0_sel:WORD_0
	v_cndmask_b32_e32 v8, v8, v4, vcc
	v_cvt_f32_u32_sdwa v7, v7 dst_sel:DWORD dst_unused:UNUSED_PAD src0_sel:WORD_1
	v_cmp_lt_f32_e32 vcc, v8, v5
	v_cndmask_b32_e32 v8, v8, v5, vcc
	v_cndmask_b32_e32 v9, v9, v32, vcc
	v_cmp_lt_f32_e32 vcc, v8, v6
	v_cndmask_b32_e32 v8, v8, v6, vcc
	v_cndmask_b32_e32 v9, v9, v33, vcc
	v_cmp_lt_f32_e32 vcc, v8, v7
	v_cndmask_b32_e32 v10, v8, v7, vcc
	v_cvt_f32_u32_sdwa v8, v12 dst_sel:DWORD dst_unused:UNUSED_PAD src0_sel:WORD_0
	v_cndmask_b32_e32 v9, v9, v34, vcc
	v_or_b32_e32 v35, 8, v27
	v_or_b32_e32 v36, 9, v27
	v_cmp_lt_f32_e32 vcc, v10, v8
	v_cndmask_b32_e32 v11, v9, v35, vcc
	v_cvt_f32_u32_sdwa v9, v12 dst_sel:DWORD dst_unused:UNUSED_PAD src0_sel:WORD_1
	v_cndmask_b32_e32 v10, v10, v8, vcc
	v_or_b32_e32 v37, 10, v27
	v_or_b32_e32 v38, 11, v27
	v_cmp_lt_f32_e32 vcc, v10, v9
	v_cndmask_b32_e32 v12, v10, v9, vcc
	v_cvt_f32_u32_sdwa v10, v13 dst_sel:DWORD dst_unused:UNUSED_PAD src0_sel:WORD_0
	v_cndmask_b32_e32 v11, v11, v36, vcc
	v_or_b32_e32 v39, 12, v27
	v_or_b32_e32 v40, 13, v27
	v_cmp_lt_f32_e32 vcc, v12, v10
	v_cndmask_b32_e32 v17, v11, v37, vcc
	v_cvt_f32_u32_sdwa v11, v13 dst_sel:DWORD dst_unused:UNUSED_PAD src0_sel:WORD_1
	v_cndmask_b32_e32 v12, v12, v10, vcc
	v_or_b32_e32 v41, 14, v27
	v_or_b32_e32 v42, 15, v27
	v_cmp_lt_f32_e32 vcc, v12, v11
	v_cndmask_b32_e32 v13, v17, v38, vcc
	v_cndmask_b32_e32 v17, v12, v11, vcc
	v_cvt_f32_u32_sdwa v12, v14 dst_sel:DWORD dst_unused:UNUSED_PAD src0_sel:WORD_0
	v_cmp_lt_f32_e32 vcc, v17, v12
	v_cndmask_b32_e32 v18, v13, v39, vcc
	v_cvt_f32_u32_sdwa v13, v14 dst_sel:DWORD dst_unused:UNUSED_PAD src0_sel:WORD_1
	v_cvt_f32_u32_sdwa v14, v15 dst_sel:DWORD dst_unused:UNUSED_PAD src0_sel:WORD_0
	v_cndmask_b32_e32 v17, v17, v12, vcc
	v_cvt_f32_u32_sdwa v15, v15 dst_sel:DWORD dst_unused:UNUSED_PAD src0_sel:WORD_1
	v_cmp_lt_f32_e32 vcc, v17, v13
	v_cndmask_b32_e32 v17, v17, v13, vcc
	v_cndmask_b32_e32 v18, v18, v40, vcc
	v_cmp_lt_f32_e32 vcc, v17, v14
	v_cndmask_b32_e32 v19, v17, v14, vcc
	v_cndmask_b32_e32 v18, v18, v41, vcc
	;; [unrolled: 3-line block ×3, first 2 shown]
	s_nop 0
	v_mov_b32_dpp v18, v17 quad_perm:[1,0,3,2] row_mask:0xf bank_mask:0xf
	v_mov_b32_dpp v20, v19 quad_perm:[1,0,3,2] row_mask:0xf bank_mask:0xf
	v_cmp_eq_f32_e64 s[0:1], v19, v20
	v_cmp_lt_i32_e64 s[2:3], v18, v17
	v_cmp_lt_f32_e32 vcc, v19, v20
	s_and_b64 s[0:1], s[0:1], s[2:3]
	s_or_b64 s[2:3], vcc, s[0:1]
	s_cmp_gt_i32 s36, 0
	s_cselect_b64 s[44:45], -1, 0
	v_cndmask_b32_e64 v25, v19, v20, s[2:3]
	s_and_b64 vcc, exec, s[44:45]
	v_cmp_eq_u32_e64 s[0:1], 0, v24
	s_cbranch_vccz .LBB267_18
; %bb.7:
	s_load_dwordx4 s[40:43], s[4:5], 0x20
	v_cndmask_b32_e64 v44, v17, v18, s[2:3]
	v_mul_lo_u32 v20, v43, s6
	v_mul_lo_u32 v18, v43, s36
	v_mov_b32_e32 v26, 0
	s_and_saveexec_b64 s[4:5], s[0:1]
	s_cbranch_execz .LBB267_9
; %bb.8:
	v_sub_f32_e32 v17, v25, v25
	v_mul_f32_e32 v19, 0x3fb8aa3b, v17
	s_mov_b32 s2, 0x3fb8aa3b
	v_rndne_f32_e32 v21, v19
	v_sub_f32_e32 v26, v19, v21
	v_fma_f32 v19, v17, s2, -v19
	v_fmac_f32_e32 v19, 0x32a5705f, v17
	v_add_f32_e32 v19, v26, v19
	v_exp_f32_e32 v19, v19
	v_cvt_i32_f32_e32 v21, v21
	v_cmp_le_i32_e32 vcc, s37, v44
	v_cmp_gt_i32_e64 s[2:3], s38, v44
	s_mov_b32 s6, 0xc2ce8ed0
	s_and_b64 s[2:3], vcc, s[2:3]
	v_ldexp_f32 v19, v19, v21
	v_cmp_ngt_f32_e32 vcc, s6, v17
	s_mov_b32 s6, 0x42b17218
	v_cndmask_b32_e32 v19, 0, v19, vcc
	v_cmp_nlt_f32_e32 vcc, s6, v17
	v_ashrrev_i32_e32 v17, 31, v16
	v_mov_b32_e32 v21, 0x7f800000
	v_lshlrev_b64 v[46:47], 2, v[16:17]
	v_cndmask_b32_e32 v26, v21, v19, vcc
	v_mov_b32_e32 v17, s35
	v_add_co_u32_e32 v46, vcc, s34, v46
	v_addc_co_u32_e32 v47, vcc, v17, v47, vcc
	v_ashrrev_i32_e32 v21, 31, v20
	global_store_dword v[46:47], v26, off
	v_subrev_u32_e32 v17, s37, v44
	s_and_b64 vcc, s[46:47], s[2:3]
	v_lshlrev_b64 v[46:47], 2, v[20:21]
	v_cndmask_b32_e32 v17, 32, v17, vcc
	s_waitcnt lgkmcnt(0)
	v_mov_b32_e32 v19, s41
	v_add_co_u32_e32 v46, vcc, s40, v46
	v_addc_co_u32_e32 v47, vcc, v19, v47, vcc
	v_ashrrev_i32_e32 v19, 31, v18
	global_store_dword v[46:47], v17, off
	v_lshlrev_b64 v[46:47], 2, v[18:19]
	v_mov_b32_e32 v17, s43
	v_add_co_u32_e32 v46, vcc, s42, v46
	v_addc_co_u32_e32 v47, vcc, v17, v47, vcc
	global_store_dword v[46:47], v43, off
.LBB267_9:
	s_or_b64 exec, exec, s[4:5]
	v_ashrrev_i32_e32 v19, 31, v44
	v_lshrrev_b32_e32 v17, 28, v19
	v_add_u32_e32 v21, v44, v17
	v_ashrrev_i32_e32 v17, 4, v21
	v_lshrrev_b32_e32 v21, 31, v21
	v_add_u32_e32 v21, v17, v21
	v_and_b32_e32 v21, -2, v21
	v_sub_u32_e32 v21, v17, v21
	v_cmp_eq_u32_e32 vcc, v24, v21
	s_and_saveexec_b64 s[48:49], vcc
	s_cbranch_execz .LBB267_11
; %bb.10:
	v_lshrrev_b32_e32 v19, 27, v19
	v_add_u32_e32 v19, v44, v19
	v_lshlrev_b32_e32 v17, 4, v17
	v_sub_u32_e32 v17, v44, v17
	v_ashrrev_i32_e32 v19, 5, v19
	v_lshl_add_u32 v17, v19, 4, v17
	v_mov_b32_e32 v19, 0xff800000
	v_cmp_ne_u32_e32 vcc, 14, v17
	v_cmp_ne_u32_e64 s[2:3], 13, v17
	v_cmp_ne_u32_e64 s[4:5], 12, v17
	v_cmp_ne_u32_e64 s[6:7], 11, v17
	v_cmp_ne_u32_e64 s[8:9], 10, v17
	v_cmp_ne_u32_e64 s[10:11], 9, v17
	v_cmp_ne_u32_e64 s[12:13], 8, v17
	v_cmp_ne_u32_e64 s[14:15], 7, v17
	v_cmp_ne_u32_e64 s[16:17], 6, v17
	v_cmp_ne_u32_e64 s[18:19], 5, v17
	v_cmp_ne_u32_e64 s[20:21], 4, v17
	v_cmp_ne_u32_e64 s[22:23], 3, v17
	v_cmp_ne_u32_e64 s[24:25], 2, v17
	v_cmp_ne_u32_e64 s[26:27], 1, v17
	v_cmp_ne_u32_e64 s[28:29], 0, v17
	v_cmp_ne_u32_e64 s[30:31], 15, v17
	v_cndmask_b32_e64 v15, v19, v15, s[30:31]
	v_cndmask_b32_e32 v14, v19, v14, vcc
	v_cndmask_b32_e64 v13, v19, v13, s[2:3]
	v_cndmask_b32_e64 v12, v19, v12, s[4:5]
	;; [unrolled: 1-line block ×14, first 2 shown]
.LBB267_11:
	s_or_b64 exec, exec, s[48:49]
	s_cmp_eq_u32 s36, 1
	s_cbranch_scc1 .LBB267_19
; %bb.12:
	s_add_i32 s50, s50, s33
	s_add_i32 s39, s36, -1
	v_add3_u32 v17, s50, v23, v22
	v_add_u32_e32 v18, 1, v18
	v_add_u32_e32 v20, 1, v20
	;; [unrolled: 1-line block ×3, first 2 shown]
	s_mov_b32 s50, 0x3fb8aa3b
	s_mov_b32 s51, 0xc2ce8ed0
	;; [unrolled: 1-line block ×3, first 2 shown]
	v_mov_b32_e32 v43, 0x7f800000
	v_mov_b32_e32 v44, 0xff800000
	s_branch .LBB267_14
.LBB267_13:                             ;   in Loop: Header=BB267_14 Depth=1
	s_or_b64 exec, exec, s[48:49]
	s_add_i32 s39, s39, -1
	v_add_u32_e32 v17, s33, v17
	v_add_u32_e32 v18, 1, v18
	;; [unrolled: 1-line block ×3, first 2 shown]
	s_cmp_eq_u32 s39, 0
	v_add_u32_e32 v22, 1, v22
	s_cbranch_scc1 .LBB267_19
.LBB267_14:                             ; =>This Inner Loop Header: Depth=1
	v_cmp_gt_f32_e32 vcc, v1, v0
	v_cndmask_b32_e32 v21, v0, v1, vcc
	v_cndmask_b32_e32 v19, v27, v28, vcc
	v_cmp_gt_f32_e32 vcc, v2, v21
	v_cndmask_b32_e32 v21, v21, v2, vcc
	v_cndmask_b32_e32 v19, v19, v29, vcc
	;; [unrolled: 3-line block ×15, first 2 shown]
	s_nop 0
	v_mov_b32_dpp v45, v23 quad_perm:[1,0,3,2] row_mask:0xf bank_mask:0xf
	v_mov_b32_dpp v21, v19 quad_perm:[1,0,3,2] row_mask:0xf bank_mask:0xf
	v_cmp_eq_f32_e64 s[2:3], v19, v21
	v_cmp_lt_i32_e64 s[4:5], v45, v23
	v_cmp_lt_f32_e32 vcc, v19, v21
	s_and_b64 s[2:3], s[2:3], s[4:5]
	s_or_b64 vcc, vcc, s[2:3]
	v_cndmask_b32_e32 v45, v23, v45, vcc
	s_and_saveexec_b64 s[4:5], s[0:1]
	s_cbranch_execz .LBB267_16
; %bb.15:                               ;   in Loop: Header=BB267_14 Depth=1
	v_cndmask_b32_e32 v19, v19, v21, vcc
	v_sub_f32_e32 v19, v19, v25
	v_mul_f32_e32 v21, 0x3fb8aa3b, v19
	v_fma_f32 v23, v19, s50, -v21
	v_rndne_f32_e32 v46, v21
	v_fmac_f32_e32 v23, 0x32a5705f, v19
	v_sub_f32_e32 v21, v21, v46
	v_add_f32_e32 v21, v21, v23
	v_exp_f32_e32 v21, v21
	v_cvt_i32_f32_e32 v23, v46
	v_cmp_le_i32_e32 vcc, s37, v45
	v_cmp_gt_i32_e64 s[2:3], s38, v45
	s_and_b64 s[2:3], vcc, s[2:3]
	v_ldexp_f32 v21, v21, v23
	v_cmp_ngt_f32_e32 vcc, s51, v19
	v_ashrrev_i32_e32 v23, 31, v22
	v_cndmask_b32_e32 v21, 0, v21, vcc
	v_cmp_nlt_f32_e32 vcc, s52, v19
	v_lshlrev_b64 v[46:47], 2, v[22:23]
	v_cndmask_b32_e32 v48, v43, v21, vcc
	v_mov_b32_e32 v19, s35
	v_add_co_u32_e32 v46, vcc, s34, v46
	v_addc_co_u32_e32 v47, vcc, v19, v47, vcc
	v_ashrrev_i32_e32 v21, 31, v20
	global_store_dword v[46:47], v48, off
	v_subrev_u32_e32 v19, s37, v45
	s_and_b64 vcc, s[46:47], s[2:3]
	v_lshlrev_b64 v[46:47], 2, v[20:21]
	v_cndmask_b32_e32 v19, 32, v19, vcc
	s_waitcnt lgkmcnt(0)
	v_mov_b32_e32 v21, s41
	v_add_co_u32_e32 v46, vcc, s40, v46
	v_addc_co_u32_e32 v47, vcc, v21, v47, vcc
	global_store_dword v[46:47], v19, off
	v_ashrrev_i32_e32 v19, 31, v18
	v_lshlrev_b64 v[46:47], 2, v[18:19]
	v_mov_b32_e32 v19, s43
	v_add_co_u32_e32 v46, vcc, s42, v46
	v_addc_co_u32_e32 v47, vcc, v19, v47, vcc
	v_add_f32_e32 v26, v26, v48
	global_store_dword v[46:47], v17, off
.LBB267_16:                             ;   in Loop: Header=BB267_14 Depth=1
	s_or_b64 exec, exec, s[4:5]
	v_ashrrev_i32_e32 v21, 31, v45
	v_lshrrev_b32_e32 v19, 28, v21
	v_add_u32_e32 v23, v45, v19
	v_ashrrev_i32_e32 v19, 4, v23
	v_lshrrev_b32_e32 v23, 31, v23
	v_add_u32_e32 v23, v19, v23
	v_and_b32_e32 v23, -2, v23
	v_sub_u32_e32 v23, v19, v23
	v_cmp_eq_u32_e32 vcc, v24, v23
	s_and_saveexec_b64 s[48:49], vcc
	s_cbranch_execz .LBB267_13
; %bb.17:                               ;   in Loop: Header=BB267_14 Depth=1
	v_lshrrev_b32_e32 v21, 27, v21
	v_add_u32_e32 v21, v45, v21
	v_lshlrev_b32_e32 v19, 4, v19
	v_sub_u32_e32 v19, v45, v19
	v_ashrrev_i32_e32 v21, 5, v21
	v_lshl_add_u32 v19, v21, 4, v19
	v_cmp_ne_u32_e32 vcc, 14, v19
	v_cmp_ne_u32_e64 s[2:3], 13, v19
	v_cmp_ne_u32_e64 s[4:5], 12, v19
	;; [unrolled: 1-line block ×15, first 2 shown]
	v_cndmask_b32_e64 v15, v44, v15, s[30:31]
	v_cndmask_b32_e32 v14, v44, v14, vcc
	v_cndmask_b32_e64 v13, v44, v13, s[2:3]
	v_cndmask_b32_e64 v12, v44, v12, s[4:5]
	;; [unrolled: 1-line block ×14, first 2 shown]
	s_branch .LBB267_13
.LBB267_18:
	v_mov_b32_e32 v26, 0
.LBB267_19:
	v_sub_f32_e32 v0, v0, v25
	s_mov_b32 s2, 0x3fb8aa3b
	v_mul_f32_e32 v17, 0x3fb8aa3b, v0
	v_fma_f32 v18, v0, s2, -v17
	v_rndne_f32_e32 v19, v17
	v_fmac_f32_e32 v18, 0x32a5705f, v0
	v_sub_f32_e32 v17, v17, v19
	v_add_f32_e32 v17, v17, v18
	v_exp_f32_e32 v17, v17
	v_cvt_i32_f32_e32 v18, v19
	v_sub_f32_e32 v1, v1, v25
	s_mov_b32 s4, 0xc2ce8ed0
	s_mov_b32 s3, 0x42b17218
	v_ldexp_f32 v17, v17, v18
	v_mul_f32_e32 v18, 0x3fb8aa3b, v1
	v_fma_f32 v19, v1, s2, -v18
	v_rndne_f32_e32 v20, v18
	v_fmac_f32_e32 v19, 0x32a5705f, v1
	v_sub_f32_e32 v18, v18, v20
	v_add_f32_e32 v18, v18, v19
	v_exp_f32_e32 v18, v18
	v_cvt_i32_f32_e32 v19, v20
	v_cmp_ngt_f32_e32 vcc, s4, v1
	v_cmp_ngt_f32_e64 s[0:1], s4, v0
	v_sub_f32_e32 v2, v2, v25
	v_ldexp_f32 v18, v18, v19
	v_cndmask_b32_e32 v18, 0, v18, vcc
	v_mov_b32_e32 v19, 0x7f800000
	v_cmp_nlt_f32_e32 vcc, s3, v1
	v_cndmask_b32_e64 v1, 0, v17, s[0:1]
	v_cmp_nlt_f32_e64 s[0:1], s3, v0
	v_cndmask_b32_e64 v0, v19, v1, s[0:1]
	v_cndmask_b32_e32 v1, v19, v18, vcc
	v_add_f32_e32 v0, v0, v1
	v_mul_f32_e32 v1, 0x3fb8aa3b, v2
	v_fma_f32 v17, v2, s2, -v1
	v_rndne_f32_e32 v18, v1
	v_fmac_f32_e32 v17, 0x32a5705f, v2
	v_sub_f32_e32 v1, v1, v18
	v_add_f32_e32 v1, v1, v17
	v_exp_f32_e32 v1, v1
	v_cvt_i32_f32_e32 v17, v18
	v_cmp_ngt_f32_e32 vcc, s4, v2
	v_sub_f32_e32 v3, v3, v25
	v_sub_f32_e32 v4, v4, v25
	v_ldexp_f32 v1, v1, v17
	v_cndmask_b32_e32 v1, 0, v1, vcc
	v_cmp_nlt_f32_e32 vcc, s3, v2
	v_cndmask_b32_e32 v1, v19, v1, vcc
	v_add_f32_e32 v0, v0, v1
	v_mul_f32_e32 v1, 0x3fb8aa3b, v3
	v_fma_f32 v2, v3, s2, -v1
	v_rndne_f32_e32 v17, v1
	v_fmac_f32_e32 v2, 0x32a5705f, v3
	v_sub_f32_e32 v1, v1, v17
	v_add_f32_e32 v1, v1, v2
	v_exp_f32_e32 v1, v1
	v_cvt_i32_f32_e32 v2, v17
	v_cmp_ngt_f32_e32 vcc, s4, v3
	v_sub_f32_e32 v5, v5, v25
	v_sub_f32_e32 v6, v6, v25
	v_ldexp_f32 v1, v1, v2
	v_cndmask_b32_e32 v1, 0, v1, vcc
	v_cmp_nlt_f32_e32 vcc, s3, v3
	;; [unrolled: 16-line block ×5, first 2 shown]
	v_cndmask_b32_e32 v1, v19, v1, vcc
	v_add_f32_e32 v0, v0, v1
	v_mul_f32_e32 v1, 0x3fb8aa3b, v7
	v_fma_f32 v2, v7, s2, -v1
	v_rndne_f32_e32 v3, v1
	v_fmac_f32_e32 v2, 0x32a5705f, v7
	v_sub_f32_e32 v1, v1, v3
	v_add_f32_e32 v1, v1, v2
	v_exp_f32_e32 v1, v1
	v_cvt_i32_f32_e32 v2, v3
	v_cmp_ngt_f32_e32 vcc, s4, v7
	v_ldexp_f32 v1, v1, v2
	v_mul_f32_e32 v2, 0x3fb8aa3b, v8
	v_fma_f32 v3, v8, s2, -v2
	v_rndne_f32_e32 v4, v2
	v_fmac_f32_e32 v3, 0x32a5705f, v8
	v_sub_f32_e32 v2, v2, v4
	v_add_f32_e32 v2, v2, v3
	v_exp_f32_e32 v2, v2
	v_cvt_i32_f32_e32 v3, v4
	v_cndmask_b32_e32 v1, 0, v1, vcc
	v_cmp_nlt_f32_e32 vcc, s3, v7
	v_cndmask_b32_e32 v1, v19, v1, vcc
	v_add_f32_e32 v0, v0, v1
	v_ldexp_f32 v1, v2, v3
	v_mul_f32_e32 v2, 0x3fb8aa3b, v9
	v_fma_f32 v3, v9, s2, -v2
	v_rndne_f32_e32 v4, v2
	v_fmac_f32_e32 v3, 0x32a5705f, v9
	v_sub_f32_e32 v2, v2, v4
	v_add_f32_e32 v2, v2, v3
	v_exp_f32_e32 v2, v2
	v_cvt_i32_f32_e32 v3, v4
	v_cmp_ngt_f32_e32 vcc, s4, v8
	v_cndmask_b32_e32 v1, 0, v1, vcc
	v_cmp_nlt_f32_e32 vcc, s3, v8
	v_cndmask_b32_e32 v1, v19, v1, vcc
	v_add_f32_e32 v0, v0, v1
	v_ldexp_f32 v1, v2, v3
	v_mul_f32_e32 v2, 0x3fb8aa3b, v10
	v_fma_f32 v3, v10, s2, -v2
	v_rndne_f32_e32 v4, v2
	v_fmac_f32_e32 v3, 0x32a5705f, v10
	v_sub_f32_e32 v2, v2, v4
	v_add_f32_e32 v2, v2, v3
	v_exp_f32_e32 v2, v2
	v_cvt_i32_f32_e32 v3, v4
	v_cmp_ngt_f32_e32 vcc, s4, v9
	;; [unrolled: 14-line block ×4, first 2 shown]
	v_cndmask_b32_e32 v1, 0, v1, vcc
	v_cmp_nlt_f32_e32 vcc, s3, v11
	v_cndmask_b32_e32 v1, v19, v1, vcc
	v_add_f32_e32 v0, v0, v1
	v_ldexp_f32 v1, v2, v3
	v_sub_f32_e32 v2, v13, v25
	v_mul_f32_e32 v3, 0x3fb8aa3b, v2
	v_fma_f32 v4, v2, s2, -v3
	v_rndne_f32_e32 v5, v3
	v_fmac_f32_e32 v4, 0x32a5705f, v2
	v_sub_f32_e32 v3, v3, v5
	v_add_f32_e32 v3, v3, v4
	v_exp_f32_e32 v3, v3
	v_cvt_i32_f32_e32 v4, v5
	v_cmp_ngt_f32_e32 vcc, s4, v12
	v_cndmask_b32_e32 v1, 0, v1, vcc
	v_cmp_nlt_f32_e32 vcc, s3, v12
	v_cndmask_b32_e32 v1, v19, v1, vcc
	v_add_f32_e32 v0, v0, v1
	v_ldexp_f32 v1, v3, v4
	v_sub_f32_e32 v3, v14, v25
	v_mul_f32_e32 v4, 0x3fb8aa3b, v3
	v_fma_f32 v5, v3, s2, -v4
	v_rndne_f32_e32 v6, v4
	v_fmac_f32_e32 v5, 0x32a5705f, v3
	v_sub_f32_e32 v4, v4, v6
	v_add_f32_e32 v4, v4, v5
	v_exp_f32_e32 v4, v4
	v_cvt_i32_f32_e32 v5, v6
	v_cmp_ngt_f32_e32 vcc, s4, v2
	v_cndmask_b32_e32 v1, 0, v1, vcc
	v_cmp_nlt_f32_e32 vcc, s3, v2
	v_cndmask_b32_e32 v1, v19, v1, vcc
	v_sub_f32_e32 v2, v15, v25
	v_add_f32_e32 v0, v0, v1
	v_ldexp_f32 v1, v4, v5
	v_mul_f32_e32 v4, 0x3fb8aa3b, v2
	v_fma_f32 v5, v2, s2, -v4
	v_rndne_f32_e32 v6, v4
	v_fmac_f32_e32 v5, 0x32a5705f, v2
	v_sub_f32_e32 v4, v4, v6
	v_add_f32_e32 v4, v4, v5
	v_exp_f32_e32 v4, v4
	v_cvt_i32_f32_e32 v5, v6
	v_cmp_ngt_f32_e32 vcc, s4, v3
	v_cndmask_b32_e32 v1, 0, v1, vcc
	v_cmp_nlt_f32_e32 vcc, s3, v3
	v_cndmask_b32_e32 v1, v19, v1, vcc
	v_add_f32_e32 v0, v0, v1
	v_ldexp_f32 v1, v4, v5
	v_cmp_ngt_f32_e32 vcc, s4, v2
	v_cndmask_b32_e32 v1, 0, v1, vcc
	v_cmp_nlt_f32_e32 vcc, s3, v2
	v_cndmask_b32_e32 v1, v19, v1, vcc
	v_add_f32_e32 v0, v0, v1
	v_cmp_eq_u32_e32 vcc, 0, v24
	s_nop 0
	v_mov_b32_dpp v1, v0 quad_perm:[1,0,3,2] row_mask:0xf bank_mask:0xf
	s_and_b64 exec, exec, vcc
	s_cbranch_execz .LBB267_32
; %bb.20:
	v_add_f32_e32 v0, v0, v1
	v_add_f32_e32 v0, v26, v0
	v_cmp_neq_f32_e32 vcc, 0, v0
	s_and_b64 exec, exec, vcc
	s_cbranch_execz .LBB267_32
; %bb.21:
	s_andn2_b64 vcc, exec, s[44:45]
	s_cbranch_vccnz .LBB267_32
; %bb.22:
	v_div_scale_f32 v1, s[0:1], v0, v0, 1.0
	v_rcp_f32_e32 v2, v1
	v_div_scale_f32 v3, vcc, 1.0, v0, 1.0
	s_cmp_gt_u32 s36, 3
	v_fma_f32 v4, -v1, v2, 1.0
	v_fmac_f32_e32 v2, v4, v2
	v_mul_f32_e32 v4, v3, v2
	v_fma_f32 v5, -v1, v4, v3
	v_fmac_f32_e32 v4, v5, v2
	v_fma_f32 v1, -v1, v4, v3
	v_div_fmas_f32 v1, v1, v2, v4
	v_div_fixup_f32 v0, v1, v0, 1.0
	v_ashrrev_i32_e32 v17, 31, v16
	s_cbranch_scc0 .LBB267_26
; %bb.23:
	v_lshlrev_b64 v[2:3], 2, v[16:17]
	v_mov_b32_e32 v4, s35
	v_add_co_u32_e32 v2, vcc, s34, v2
	v_addc_co_u32_e32 v3, vcc, v3, v4, vcc
	s_and_b32 s4, s36, 0x7ffffffc
	v_add_co_u32_e32 v2, vcc, 8, v2
	v_mov_b32_e32 v1, v0
	v_addc_co_u32_e32 v3, vcc, 0, v3, vcc
	s_mov_b32 s0, s4
.LBB267_24:                             ; =>This Inner Loop Header: Depth=1
	global_load_dwordx4 v[4:7], v[2:3], off offset:-8
	s_add_i32 s0, s0, -4
	s_cmp_lg_u32 s0, 0
	s_waitcnt vmcnt(0)
	v_pk_mul_f32 v[4:5], v[0:1], v[4:5]
	v_pk_mul_f32 v[6:7], v[0:1], v[6:7]
	global_store_dwordx4 v[2:3], v[4:7], off offset:-8
	v_add_co_u32_e32 v2, vcc, 16, v2
	v_addc_co_u32_e32 v3, vcc, 0, v3, vcc
	s_cbranch_scc1 .LBB267_24
; %bb.25:
	s_cmp_lg_u32 s4, s36
	s_mov_b64 s[2:3], 0
	s_cselect_b64 s[0:1], -1, 0
	s_branch .LBB267_27
.LBB267_26:
	s_mov_b64 s[2:3], -1
	s_mov_b64 s[0:1], 0
                                        ; implicit-def: $sgpr4
.LBB267_27:
	s_and_b64 vcc, exec, s[2:3]
	s_cbranch_vccz .LBB267_29
; %bb.28:
	s_mov_b64 s[0:1], -1
	s_mov_b32 s4, 0
.LBB267_29:
	s_andn2_b64 vcc, exec, s[0:1]
	s_cbranch_vccnz .LBB267_32
; %bb.30:
	v_add_co_u32_e32 v2, vcc, s4, v16
	v_addc_co_u32_e32 v3, vcc, 0, v17, vcc
	v_lshlrev_b64 v[2:3], 2, v[2:3]
	v_mov_b32_e32 v1, s35
	v_add_co_u32_e32 v2, vcc, s34, v2
	s_sub_i32 s0, s36, s4
	v_addc_co_u32_e32 v3, vcc, v1, v3, vcc
.LBB267_31:                             ; =>This Inner Loop Header: Depth=1
	global_load_dword v1, v[2:3], off
	s_add_i32 s0, s0, -1
	s_cmp_lg_u32 s0, 0
	s_waitcnt vmcnt(0)
	v_mul_f32_e32 v1, v0, v1
	global_store_dword v[2:3], v1, off
	v_add_co_u32_e32 v2, vcc, 4, v2
	v_addc_co_u32_e32 v3, vcc, 0, v3, vcc
	s_cbranch_scc1 .LBB267_31
.LBB267_32:
	s_endpgm
	.section	.rodata,"a",@progbits
	.p2align	6, 0x0
	.amdhsa_kernel _ZN4vllm3moe17topkGatingSoftmaxItLi16ELi32ELi8ELi32ELb0ELi8ELNS0_23SharedExpertScoringFuncE1EEEvPKT_PKbPfiPiS9_iiiiii
		.amdhsa_group_segment_fixed_size 0
		.amdhsa_private_segment_fixed_size 0
		.amdhsa_kernarg_size 72
		.amdhsa_user_sgpr_count 6
		.amdhsa_user_sgpr_private_segment_buffer 1
		.amdhsa_user_sgpr_dispatch_ptr 0
		.amdhsa_user_sgpr_queue_ptr 0
		.amdhsa_user_sgpr_kernarg_segment_ptr 1
		.amdhsa_user_sgpr_dispatch_id 0
		.amdhsa_user_sgpr_flat_scratch_init 0
		.amdhsa_user_sgpr_kernarg_preload_length 0
		.amdhsa_user_sgpr_kernarg_preload_offset 0
		.amdhsa_user_sgpr_private_segment_size 0
		.amdhsa_uses_dynamic_stack 0
		.amdhsa_system_sgpr_private_segment_wavefront_offset 0
		.amdhsa_system_sgpr_workgroup_id_x 1
		.amdhsa_system_sgpr_workgroup_id_y 0
		.amdhsa_system_sgpr_workgroup_id_z 0
		.amdhsa_system_sgpr_workgroup_info 0
		.amdhsa_system_vgpr_workitem_id 1
		.amdhsa_next_free_vgpr 49
		.amdhsa_next_free_sgpr 53
		.amdhsa_accum_offset 52
		.amdhsa_reserve_vcc 1
		.amdhsa_reserve_flat_scratch 0
		.amdhsa_float_round_mode_32 0
		.amdhsa_float_round_mode_16_64 0
		.amdhsa_float_denorm_mode_32 3
		.amdhsa_float_denorm_mode_16_64 3
		.amdhsa_dx10_clamp 1
		.amdhsa_ieee_mode 1
		.amdhsa_fp16_overflow 0
		.amdhsa_tg_split 0
		.amdhsa_exception_fp_ieee_invalid_op 0
		.amdhsa_exception_fp_denorm_src 0
		.amdhsa_exception_fp_ieee_div_zero 0
		.amdhsa_exception_fp_ieee_overflow 0
		.amdhsa_exception_fp_ieee_underflow 0
		.amdhsa_exception_fp_ieee_inexact 0
		.amdhsa_exception_int_div_zero 0
	.end_amdhsa_kernel
	.section	.text._ZN4vllm3moe17topkGatingSoftmaxItLi16ELi32ELi8ELi32ELb0ELi8ELNS0_23SharedExpertScoringFuncE1EEEvPKT_PKbPfiPiS9_iiiiii,"axG",@progbits,_ZN4vllm3moe17topkGatingSoftmaxItLi16ELi32ELi8ELi32ELb0ELi8ELNS0_23SharedExpertScoringFuncE1EEEvPKT_PKbPfiPiS9_iiiiii,comdat
.Lfunc_end267:
	.size	_ZN4vllm3moe17topkGatingSoftmaxItLi16ELi32ELi8ELi32ELb0ELi8ELNS0_23SharedExpertScoringFuncE1EEEvPKT_PKbPfiPiS9_iiiiii, .Lfunc_end267-_ZN4vllm3moe17topkGatingSoftmaxItLi16ELi32ELi8ELi32ELb0ELi8ELNS0_23SharedExpertScoringFuncE1EEEvPKT_PKbPfiPiS9_iiiiii
                                        ; -- End function
	.section	.AMDGPU.csdata,"",@progbits
; Kernel info:
; codeLenInByte = 4120
; NumSgprs: 57
; NumVgprs: 49
; NumAgprs: 0
; TotalNumVgprs: 49
; ScratchSize: 0
; MemoryBound: 0
; FloatMode: 240
; IeeeMode: 1
; LDSByteSize: 0 bytes/workgroup (compile time only)
; SGPRBlocks: 7
; VGPRBlocks: 6
; NumSGPRsForWavesPerEU: 57
; NumVGPRsForWavesPerEU: 49
; AccumOffset: 52
; Occupancy: 8
; WaveLimiterHint : 0
; COMPUTE_PGM_RSRC2:SCRATCH_EN: 0
; COMPUTE_PGM_RSRC2:USER_SGPR: 6
; COMPUTE_PGM_RSRC2:TRAP_HANDLER: 0
; COMPUTE_PGM_RSRC2:TGID_X_EN: 1
; COMPUTE_PGM_RSRC2:TGID_Y_EN: 0
; COMPUTE_PGM_RSRC2:TGID_Z_EN: 0
; COMPUTE_PGM_RSRC2:TIDIG_COMP_CNT: 1
; COMPUTE_PGM_RSRC3_GFX90A:ACCUM_OFFSET: 12
; COMPUTE_PGM_RSRC3_GFX90A:TG_SPLIT: 0
	.section	.text._ZN4vllm3moe17topkGatingSoftmaxItLi16ELi64ELi8ELi32ELb1ELi0ELNS0_23SharedExpertScoringFuncE0EEEvPKT_PKbPfiPiS9_iiiiii,"axG",@progbits,_ZN4vllm3moe17topkGatingSoftmaxItLi16ELi64ELi8ELi32ELb1ELi0ELNS0_23SharedExpertScoringFuncE0EEEvPKT_PKbPfiPiS9_iiiiii,comdat
	.protected	_ZN4vllm3moe17topkGatingSoftmaxItLi16ELi64ELi8ELi32ELb1ELi0ELNS0_23SharedExpertScoringFuncE0EEEvPKT_PKbPfiPiS9_iiiiii ; -- Begin function _ZN4vllm3moe17topkGatingSoftmaxItLi16ELi64ELi8ELi32ELb1ELi0ELNS0_23SharedExpertScoringFuncE0EEEvPKT_PKbPfiPiS9_iiiiii
	.globl	_ZN4vllm3moe17topkGatingSoftmaxItLi16ELi64ELi8ELi32ELb1ELi0ELNS0_23SharedExpertScoringFuncE0EEEvPKT_PKbPfiPiS9_iiiiii
	.p2align	8
	.type	_ZN4vllm3moe17topkGatingSoftmaxItLi16ELi64ELi8ELi32ELb1ELi0ELNS0_23SharedExpertScoringFuncE0EEEvPKT_PKbPfiPiS9_iiiiii,@function
_ZN4vllm3moe17topkGatingSoftmaxItLi16ELi64ELi8ELi32ELb1ELi0ELNS0_23SharedExpertScoringFuncE0EEEvPKT_PKbPfiPiS9_iiiiii: ; @_ZN4vllm3moe17topkGatingSoftmaxItLi16ELi64ELi8ELi32ELb1ELi0ELNS0_23SharedExpertScoringFuncE0EEEvPKT_PKbPfiPiS9_iiiiii
; %bb.0:
	s_load_dword s33, s[4:5], 0x18
	v_bfe_u32 v1, v0, 10, 10
	v_and_b32_e32 v0, 0x3ff, v0
	s_lshl_b32 s50, s6, 7
	v_lshlrev_b32_e32 v42, 4, v1
	v_lshrrev_b32_e32 v43, 2, v0
	v_add3_u32 v22, s50, v42, v43
	s_waitcnt lgkmcnt(0)
	v_cmp_gt_i32_e32 vcc, s33, v22
	s_and_saveexec_b64 s[0:1], vcc
	s_cbranch_execz .LBB268_27
; %bb.1:
	s_load_dwordx4 s[0:3], s[4:5], 0x0
	s_load_dwordx2 s[34:35], s[4:5], 0x10
	s_waitcnt lgkmcnt(0)
	s_cmp_eq_u64 s[2:3], 0
	s_cbranch_scc1 .LBB268_3
; %bb.2:
	v_ashrrev_i32_e32 v1, 31, v22
	v_mov_b32_e32 v3, s3
	v_add_co_u32_e32 v2, vcc, s2, v22
	v_addc_co_u32_e32 v3, vcc, v3, v1, vcc
	global_load_ubyte v1, v[2:3], off
	s_waitcnt vmcnt(0)
	v_and_b32_e32 v1, 1, v1
	v_cmp_eq_u32_e32 vcc, 1, v1
	s_xor_b64 s[2:3], vcc, -1
	s_orn2_b64 s[44:45], s[2:3], exec
	s_branch .LBB268_4
.LBB268_3:
	s_mov_b64 s[44:45], -1
.LBB268_4:
	s_load_dwordx2 s[8:9], s[4:5], 0x40
	s_load_dwordx4 s[36:39], s[4:5], 0x30
	v_mov_b32_e32 v1, s1
	v_and_b32_e32 v23, 3, v0
	v_lshlrev_b32_e32 v0, 5, v23
	s_waitcnt lgkmcnt(0)
	v_mul_lo_u32 v2, v22, s9
	v_ashrrev_i32_e32 v3, 31, v2
	v_lshlrev_b64 v[2:3], 1, v[2:3]
	v_add_co_u32_e32 v2, vcc, s0, v2
	v_addc_co_u32_e32 v1, vcc, v1, v3, vcc
	v_add_co_u32_e32 v8, vcc, v2, v0
	v_addc_co_u32_e32 v9, vcc, 0, v1, vcc
	global_load_dwordx4 v[4:7], v[8:9], off
	global_load_dwordx4 v[12:15], v[8:9], off offset:16
	v_lshlrev_b32_e32 v24, 4, v23
	v_or_b32_e32 v25, 1, v24
	v_or_b32_e32 v26, 2, v24
	;; [unrolled: 1-line block ×15, first 2 shown]
	v_mov_b32_e32 v40, 0
	s_waitcnt vmcnt(1)
	v_cvt_f32_u32_sdwa v1, v4 dst_sel:DWORD dst_unused:UNUSED_PAD src0_sel:WORD_1
	v_cvt_f32_u32_sdwa v0, v4 dst_sel:DWORD dst_unused:UNUSED_PAD src0_sel:WORD_0
	v_cvt_f32_u32_sdwa v2, v5 dst_sel:DWORD dst_unused:UNUSED_PAD src0_sel:WORD_0
	s_waitcnt vmcnt(0)
	v_cvt_f32_u32_sdwa v8, v12 dst_sel:DWORD dst_unused:UNUSED_PAD src0_sel:WORD_0
	v_cvt_f32_u32_sdwa v9, v12 dst_sel:DWORD dst_unused:UNUSED_PAD src0_sel:WORD_1
	v_cmp_lt_f32_e32 vcc, v0, v1
	v_cndmask_b32_e32 v4, v0, v1, vcc
	v_cndmask_b32_e32 v3, v24, v25, vcc
	v_cmp_lt_f32_e32 vcc, v4, v2
	v_cndmask_b32_e32 v10, v3, v26, vcc
	v_cvt_f32_u32_sdwa v3, v5 dst_sel:DWORD dst_unused:UNUSED_PAD src0_sel:WORD_1
	v_cndmask_b32_e32 v4, v4, v2, vcc
	v_cmp_lt_f32_e32 vcc, v4, v3
	v_cndmask_b32_e32 v5, v10, v27, vcc
	v_cndmask_b32_e32 v10, v4, v3, vcc
	v_cvt_f32_u32_sdwa v4, v6 dst_sel:DWORD dst_unused:UNUSED_PAD src0_sel:WORD_0
	v_cmp_lt_f32_e32 vcc, v10, v4
	v_cndmask_b32_e32 v11, v5, v28, vcc
	v_cvt_f32_u32_sdwa v5, v6 dst_sel:DWORD dst_unused:UNUSED_PAD src0_sel:WORD_1
	v_cvt_f32_u32_sdwa v6, v7 dst_sel:DWORD dst_unused:UNUSED_PAD src0_sel:WORD_0
	v_cndmask_b32_e32 v10, v10, v4, vcc
	v_cvt_f32_u32_sdwa v7, v7 dst_sel:DWORD dst_unused:UNUSED_PAD src0_sel:WORD_1
	v_cmp_lt_f32_e32 vcc, v10, v5
	v_cndmask_b32_e32 v10, v10, v5, vcc
	v_cndmask_b32_e32 v11, v11, v29, vcc
	v_cmp_lt_f32_e32 vcc, v10, v6
	v_cndmask_b32_e32 v10, v10, v6, vcc
	v_cndmask_b32_e32 v11, v11, v30, vcc
	;; [unrolled: 3-line block ×4, first 2 shown]
	v_cmp_lt_f32_e32 vcc, v10, v9
	v_cndmask_b32_e32 v12, v10, v9, vcc
	v_cvt_f32_u32_sdwa v10, v13 dst_sel:DWORD dst_unused:UNUSED_PAD src0_sel:WORD_0
	v_cndmask_b32_e32 v11, v11, v33, vcc
	v_cmp_lt_f32_e32 vcc, v12, v10
	v_cndmask_b32_e32 v16, v11, v34, vcc
	v_cvt_f32_u32_sdwa v11, v13 dst_sel:DWORD dst_unused:UNUSED_PAD src0_sel:WORD_1
	v_cndmask_b32_e32 v12, v12, v10, vcc
	v_cmp_lt_f32_e32 vcc, v12, v11
	v_cndmask_b32_e32 v13, v16, v35, vcc
	v_cndmask_b32_e32 v16, v12, v11, vcc
	v_cvt_f32_u32_sdwa v12, v14 dst_sel:DWORD dst_unused:UNUSED_PAD src0_sel:WORD_0
	v_cmp_lt_f32_e32 vcc, v16, v12
	v_cndmask_b32_e32 v17, v13, v36, vcc
	v_cvt_f32_u32_sdwa v13, v14 dst_sel:DWORD dst_unused:UNUSED_PAD src0_sel:WORD_1
	v_cvt_f32_u32_sdwa v14, v15 dst_sel:DWORD dst_unused:UNUSED_PAD src0_sel:WORD_0
	v_cndmask_b32_e32 v16, v16, v12, vcc
	v_cvt_f32_u32_sdwa v15, v15 dst_sel:DWORD dst_unused:UNUSED_PAD src0_sel:WORD_1
	v_cmp_lt_f32_e32 vcc, v16, v13
	v_cndmask_b32_e32 v16, v16, v13, vcc
	v_cndmask_b32_e32 v17, v17, v37, vcc
	v_cmp_lt_f32_e32 vcc, v16, v14
	v_cndmask_b32_e32 v16, v16, v14, vcc
	v_cndmask_b32_e32 v17, v17, v38, vcc
	;; [unrolled: 3-line block ×3, first 2 shown]
	s_nop 0
	v_mov_b32_dpp v18, v17 quad_perm:[1,0,3,2] row_mask:0xf bank_mask:0xf
	v_mov_b32_dpp v19, v16 quad_perm:[1,0,3,2] row_mask:0xf bank_mask:0xf
	v_cmp_lt_i32_e32 vcc, v18, v17
	v_cmp_eq_f32_e64 s[2:3], v16, v19
	v_cmp_lt_f32_e64 s[0:1], v16, v19
	s_and_b64 s[2:3], s[2:3], vcc
	s_or_b64 vcc, s[0:1], s[2:3]
	v_cndmask_b32_e32 v16, v16, v19, vcc
	v_cndmask_b32_e32 v17, v17, v18, vcc
	s_cmp_gt_i32 s36, 0
	v_cmp_eq_u32_e32 vcc, 0, v23
	s_cselect_b64 s[46:47], -1, 0
	s_cmp_lt_i32 s36, 1
	v_mov_b32_dpp v18, v17 quad_perm:[2,3,0,1] row_mask:0xf bank_mask:0xf
	v_mov_b32_dpp v19, v16 quad_perm:[2,3,0,1] row_mask:0xf bank_mask:0xf
	s_cbranch_scc1 .LBB268_16
; %bb.5:
	s_load_dwordx4 s[40:43], s[4:5], 0x20
	v_cmp_eq_f32_e64 s[2:3], v16, v19
	v_cmp_lt_i32_e64 s[6:7], v18, v17
	v_cmp_lt_f32_e64 s[0:1], v16, v19
	s_and_b64 s[2:3], s[2:3], s[6:7]
	s_or_b64 s[0:1], s[0:1], s[2:3]
	v_cndmask_b32_e64 v44, v17, v18, s[0:1]
	v_cndmask_b32_e64 v41, v16, v19, s[0:1]
	v_mul_lo_u32 v20, v22, s39
	v_mul_lo_u32 v18, v22, s8
	;; [unrolled: 1-line block ×3, first 2 shown]
	v_mov_b32_e32 v40, 0
	s_and_saveexec_b64 s[4:5], vcc
	s_cbranch_execz .LBB268_7
; %bb.6:
	v_sub_f32_e32 v17, v41, v41
	v_mul_f32_e32 v19, 0x3fb8aa3b, v17
	s_mov_b32 s0, 0x3fb8aa3b
	v_rndne_f32_e32 v21, v19
	v_sub_f32_e32 v40, v19, v21
	v_fma_f32 v19, v17, s0, -v19
	v_fmac_f32_e32 v19, 0x32a5705f, v17
	v_add_f32_e32 v19, v40, v19
	v_exp_f32_e32 v19, v19
	v_cvt_i32_f32_e32 v21, v21
	v_cmp_le_i32_e64 s[0:1], s37, v44
	v_cmp_gt_i32_e64 s[2:3], s38, v44
	s_and_b64 s[2:3], s[0:1], s[2:3]
	s_mov_b32 s0, 0xc2ce8ed0
	v_ldexp_f32 v19, v19, v21
	v_cmp_ngt_f32_e64 s[0:1], s0, v17
	v_cndmask_b32_e64 v19, 0, v19, s[0:1]
	s_mov_b32 s0, 0x42b17218
	v_mov_b32_e32 v21, 0x7f800000
	v_cmp_nlt_f32_e64 s[0:1], s0, v17
	v_cndmask_b32_e64 v40, v21, v19, s[0:1]
	v_ashrrev_i32_e32 v21, 31, v20
	v_lshlrev_b64 v[46:47], 2, v[20:21]
	v_mov_b32_e32 v17, s35
	v_add_co_u32_e64 v46, s[0:1], s34, v46
	v_addc_co_u32_e64 v47, s[0:1], v17, v47, s[0:1]
	v_ashrrev_i32_e32 v19, 31, v18
	global_store_dword v[46:47], v40, off
	v_subrev_u32_e32 v17, s37, v44
	s_and_b64 s[0:1], s[44:45], s[2:3]
	v_lshlrev_b64 v[46:47], 2, v[18:19]
	v_cndmask_b32_e64 v17, 64, v17, s[0:1]
	s_waitcnt lgkmcnt(0)
	v_mov_b32_e32 v19, s41
	v_add_co_u32_e64 v46, s[0:1], s40, v46
	v_addc_co_u32_e64 v47, s[0:1], v19, v47, s[0:1]
	global_store_dword v[46:47], v17, off
	v_ashrrev_i32_e32 v17, 31, v16
	v_lshlrev_b64 v[46:47], 2, v[16:17]
	v_mov_b32_e32 v17, s43
	v_add_co_u32_e64 v46, s[0:1], s42, v46
	v_addc_co_u32_e64 v47, s[0:1], v17, v47, s[0:1]
	global_store_dword v[46:47], v22, off
.LBB268_7:
	s_or_b64 exec, exec, s[4:5]
	v_ashrrev_i32_e32 v19, 31, v44
	v_lshrrev_b32_e32 v17, 28, v19
	v_add_u32_e32 v17, v44, v17
	v_ashrrev_i32_e32 v17, 4, v17
	v_lshrrev_b32_e32 v21, 30, v17
	v_add_u32_e32 v21, v17, v21
	v_and_b32_e32 v21, -4, v21
	v_sub_u32_e32 v21, v17, v21
	v_cmp_eq_u32_e64 s[0:1], v23, v21
	s_and_saveexec_b64 s[48:49], s[0:1]
	s_cbranch_execz .LBB268_9
; %bb.8:
	v_lshrrev_b32_e32 v19, 26, v19
	v_add_u32_e32 v19, v44, v19
	v_lshlrev_b32_e32 v17, 4, v17
	v_sub_u32_e32 v17, v44, v17
	v_ashrrev_i32_e32 v19, 6, v19
	v_lshl_add_u32 v17, v19, 4, v17
	v_mov_b32_e32 v19, 0xff800000
	v_cmp_ne_u32_e64 s[0:1], 14, v17
	v_cmp_ne_u32_e64 s[2:3], 13, v17
	;; [unrolled: 1-line block ×16, first 2 shown]
	v_cndmask_b32_e64 v15, v19, v15, s[30:31]
	v_cndmask_b32_e64 v14, v19, v14, s[0:1]
	;; [unrolled: 1-line block ×16, first 2 shown]
.LBB268_9:
	s_or_b64 exec, exec, s[48:49]
	s_cmp_eq_u32 s36, 1
	s_cbranch_scc1 .LBB268_16
; %bb.10:
	s_add_i32 s50, s50, s33
	s_add_i32 s51, s36, -1
	v_add3_u32 v42, s50, v43, v42
	v_add_u32_e32 v16, 1, v16
	v_add_u32_e32 v18, 1, v18
	;; [unrolled: 1-line block ×3, first 2 shown]
	s_mov_b32 s50, 0x3fb8aa3b
	s_mov_b32 s52, 0xc2ce8ed0
	;; [unrolled: 1-line block ×3, first 2 shown]
	v_mov_b32_e32 v43, 0x7f800000
	v_mov_b32_e32 v44, 0xff800000
	s_branch .LBB268_12
.LBB268_11:                             ;   in Loop: Header=BB268_12 Depth=1
	s_or_b64 exec, exec, s[48:49]
	s_add_i32 s51, s51, -1
	v_add_u32_e32 v42, s33, v42
	v_add_u32_e32 v16, 1, v16
	;; [unrolled: 1-line block ×3, first 2 shown]
	s_cmp_eq_u32 s51, 0
	v_add_u32_e32 v20, 1, v20
	s_cbranch_scc1 .LBB268_16
.LBB268_12:                             ; =>This Inner Loop Header: Depth=1
	v_cmp_gt_f32_e64 s[0:1], v1, v0
	v_cndmask_b32_e64 v19, v0, v1, s[0:1]
	v_cndmask_b32_e64 v17, v24, v25, s[0:1]
	v_cmp_gt_f32_e64 s[0:1], v2, v19
	v_cndmask_b32_e64 v19, v19, v2, s[0:1]
	v_cndmask_b32_e64 v17, v17, v26, s[0:1]
	;; [unrolled: 3-line block ×15, first 2 shown]
	s_nop 0
	v_mov_b32_dpp v45, v21 quad_perm:[1,0,3,2] row_mask:0xf bank_mask:0xf
	v_mov_b32_dpp v19, v17 quad_perm:[1,0,3,2] row_mask:0xf bank_mask:0xf
	v_cmp_eq_f32_e64 s[2:3], v17, v19
	v_cmp_lt_i32_e64 s[4:5], v45, v21
	v_cmp_lt_f32_e64 s[0:1], v17, v19
	s_and_b64 s[2:3], s[2:3], s[4:5]
	s_or_b64 s[0:1], s[0:1], s[2:3]
	v_cndmask_b32_e64 v17, v17, v19, s[0:1]
	v_cndmask_b32_e64 v21, v21, v45, s[0:1]
	s_nop 0
	v_mov_b32_dpp v19, v17 quad_perm:[2,3,0,1] row_mask:0xf bank_mask:0xf
	v_mov_b32_dpp v45, v21 quad_perm:[2,3,0,1] row_mask:0xf bank_mask:0xf
	v_cmp_eq_f32_e64 s[2:3], v17, v19
	v_cmp_lt_i32_e64 s[4:5], v45, v21
	v_cmp_lt_f32_e64 s[0:1], v17, v19
	s_and_b64 s[2:3], s[2:3], s[4:5]
	s_or_b64 s[0:1], s[0:1], s[2:3]
	v_cndmask_b32_e64 v45, v21, v45, s[0:1]
	s_and_saveexec_b64 s[4:5], vcc
	s_cbranch_execz .LBB268_14
; %bb.13:                               ;   in Loop: Header=BB268_12 Depth=1
	v_cndmask_b32_e64 v17, v17, v19, s[0:1]
	v_sub_f32_e32 v17, v17, v41
	v_mul_f32_e32 v19, 0x3fb8aa3b, v17
	v_fma_f32 v21, v17, s50, -v19
	v_rndne_f32_e32 v46, v19
	v_fmac_f32_e32 v21, 0x32a5705f, v17
	v_sub_f32_e32 v19, v19, v46
	v_add_f32_e32 v19, v19, v21
	v_exp_f32_e32 v19, v19
	v_cvt_i32_f32_e32 v21, v46
	v_cmp_le_i32_e64 s[0:1], s37, v45
	v_cmp_gt_i32_e64 s[2:3], s38, v45
	s_and_b64 s[2:3], s[0:1], s[2:3]
	v_ldexp_f32 v19, v19, v21
	v_cmp_ngt_f32_e64 s[0:1], s52, v17
	v_ashrrev_i32_e32 v21, 31, v20
	v_cndmask_b32_e64 v19, 0, v19, s[0:1]
	v_cmp_nlt_f32_e64 s[0:1], s53, v17
	v_lshlrev_b64 v[46:47], 2, v[20:21]
	v_cndmask_b32_e64 v48, v43, v19, s[0:1]
	v_mov_b32_e32 v17, s35
	v_add_co_u32_e64 v46, s[0:1], s34, v46
	v_addc_co_u32_e64 v47, s[0:1], v17, v47, s[0:1]
	v_ashrrev_i32_e32 v19, 31, v18
	global_store_dword v[46:47], v48, off
	v_subrev_u32_e32 v17, s37, v45
	s_and_b64 s[0:1], s[44:45], s[2:3]
	v_lshlrev_b64 v[46:47], 2, v[18:19]
	v_cndmask_b32_e64 v17, 64, v17, s[0:1]
	s_waitcnt lgkmcnt(0)
	v_mov_b32_e32 v19, s41
	v_add_co_u32_e64 v46, s[0:1], s40, v46
	v_addc_co_u32_e64 v47, s[0:1], v19, v47, s[0:1]
	global_store_dword v[46:47], v17, off
	v_ashrrev_i32_e32 v17, 31, v16
	v_lshlrev_b64 v[46:47], 2, v[16:17]
	v_mov_b32_e32 v17, s43
	v_add_co_u32_e64 v46, s[0:1], s42, v46
	v_addc_co_u32_e64 v47, s[0:1], v17, v47, s[0:1]
	v_add_f32_e32 v40, v40, v48
	global_store_dword v[46:47], v42, off
.LBB268_14:                             ;   in Loop: Header=BB268_12 Depth=1
	s_or_b64 exec, exec, s[4:5]
	v_ashrrev_i32_e32 v19, 31, v45
	v_lshrrev_b32_e32 v17, 28, v19
	v_add_u32_e32 v17, v45, v17
	v_ashrrev_i32_e32 v17, 4, v17
	v_lshrrev_b32_e32 v21, 30, v17
	v_add_u32_e32 v21, v17, v21
	v_and_b32_e32 v21, -4, v21
	v_sub_u32_e32 v21, v17, v21
	v_cmp_eq_u32_e64 s[0:1], v23, v21
	s_and_saveexec_b64 s[48:49], s[0:1]
	s_cbranch_execz .LBB268_11
; %bb.15:                               ;   in Loop: Header=BB268_12 Depth=1
	v_lshrrev_b32_e32 v19, 26, v19
	v_add_u32_e32 v19, v45, v19
	v_lshlrev_b32_e32 v17, 4, v17
	v_sub_u32_e32 v17, v45, v17
	v_ashrrev_i32_e32 v19, 6, v19
	v_lshl_add_u32 v17, v19, 4, v17
	v_cmp_ne_u32_e64 s[0:1], 14, v17
	v_cmp_ne_u32_e64 s[2:3], 13, v17
	v_cmp_ne_u32_e64 s[4:5], 12, v17
	v_cmp_ne_u32_e64 s[6:7], 11, v17
	v_cmp_ne_u32_e64 s[8:9], 10, v17
	v_cmp_ne_u32_e64 s[10:11], 9, v17
	v_cmp_ne_u32_e64 s[12:13], 8, v17
	v_cmp_ne_u32_e64 s[14:15], 7, v17
	v_cmp_ne_u32_e64 s[16:17], 6, v17
	v_cmp_ne_u32_e64 s[18:19], 5, v17
	v_cmp_ne_u32_e64 s[20:21], 4, v17
	v_cmp_ne_u32_e64 s[22:23], 3, v17
	v_cmp_ne_u32_e64 s[24:25], 2, v17
	v_cmp_ne_u32_e64 s[26:27], 1, v17
	v_cmp_ne_u32_e64 s[28:29], 0, v17
	v_cmp_ne_u32_e64 s[30:31], 15, v17
	v_cndmask_b32_e64 v15, v44, v15, s[30:31]
	v_cndmask_b32_e64 v14, v44, v14, s[0:1]
	;; [unrolled: 1-line block ×16, first 2 shown]
	s_branch .LBB268_11
.LBB268_16:
	v_cmp_eq_u32_e32 vcc, 0, v23
	v_cmp_neq_f32_e64 s[0:1], 0, v40
	s_and_b64 s[0:1], vcc, s[0:1]
	s_and_b64 exec, exec, s[0:1]
	s_cbranch_execz .LBB268_27
; %bb.17:
	s_andn2_b64 vcc, exec, s[46:47]
	s_cbranch_vccnz .LBB268_27
; %bb.18:
	v_div_scale_f32 v0, s[0:1], v40, v40, 1.0
	v_rcp_f32_e32 v1, v0
	v_div_scale_f32 v2, vcc, 1.0, v40, 1.0
	s_cmp_gt_u32 s36, 3
	v_fma_f32 v3, -v0, v1, 1.0
	v_fmac_f32_e32 v1, v3, v1
	v_mul_f32_e32 v3, v2, v1
	v_fma_f32 v4, -v0, v3, v2
	v_fmac_f32_e32 v3, v4, v1
	v_fma_f32 v0, -v0, v3, v2
	v_div_fmas_f32 v0, v0, v1, v3
	v_mul_lo_u32 v2, v22, s39
	v_div_fixup_f32 v0, v0, v40, 1.0
	v_ashrrev_i32_e32 v3, 31, v2
	s_cbranch_scc0 .LBB268_22
; %bb.19:
	v_lshlrev_b64 v[4:5], 2, v[2:3]
	v_mov_b32_e32 v6, s35
	v_add_co_u32_e32 v4, vcc, s34, v4
	v_addc_co_u32_e32 v5, vcc, v5, v6, vcc
	s_and_b32 s4, s36, 0x7ffffffc
	v_add_co_u32_e32 v4, vcc, 8, v4
	v_mov_b32_e32 v1, v0
	v_addc_co_u32_e32 v5, vcc, 0, v5, vcc
	s_mov_b32 s0, s4
.LBB268_20:                             ; =>This Inner Loop Header: Depth=1
	global_load_dwordx4 v[6:9], v[4:5], off offset:-8
	s_add_i32 s0, s0, -4
	s_cmp_lg_u32 s0, 0
	s_waitcnt vmcnt(0)
	v_pk_mul_f32 v[6:7], v[0:1], v[6:7]
	v_pk_mul_f32 v[8:9], v[0:1], v[8:9]
	global_store_dwordx4 v[4:5], v[6:9], off offset:-8
	v_add_co_u32_e32 v4, vcc, 16, v4
	v_addc_co_u32_e32 v5, vcc, 0, v5, vcc
	s_cbranch_scc1 .LBB268_20
; %bb.21:
	s_cmp_lg_u32 s4, s36
	s_cselect_b64 s[0:1], -1, 0
	s_branch .LBB268_24
.LBB268_22:
	s_mov_b64 s[0:1], 0
                                        ; implicit-def: $sgpr4
	s_cbranch_execz .LBB268_24
; %bb.23:
	s_mov_b64 s[0:1], -1
	s_mov_b32 s4, 0
.LBB268_24:
	s_andn2_b64 vcc, exec, s[0:1]
	s_cbranch_vccnz .LBB268_27
; %bb.25:
	v_add_co_u32_e32 v2, vcc, s4, v2
	v_addc_co_u32_e32 v3, vcc, 0, v3, vcc
	v_lshlrev_b64 v[2:3], 2, v[2:3]
	v_mov_b32_e32 v1, s35
	v_add_co_u32_e32 v2, vcc, s34, v2
	s_sub_i32 s0, s36, s4
	v_addc_co_u32_e32 v3, vcc, v1, v3, vcc
.LBB268_26:                             ; =>This Inner Loop Header: Depth=1
	global_load_dword v1, v[2:3], off
	s_add_i32 s0, s0, -1
	s_cmp_lg_u32 s0, 0
	s_waitcnt vmcnt(0)
	v_mul_f32_e32 v1, v0, v1
	global_store_dword v[2:3], v1, off
	v_add_co_u32_e32 v2, vcc, 4, v2
	v_addc_co_u32_e32 v3, vcc, 0, v3, vcc
	s_cbranch_scc1 .LBB268_26
.LBB268_27:
	s_endpgm
	.section	.rodata,"a",@progbits
	.p2align	6, 0x0
	.amdhsa_kernel _ZN4vllm3moe17topkGatingSoftmaxItLi16ELi64ELi8ELi32ELb1ELi0ELNS0_23SharedExpertScoringFuncE0EEEvPKT_PKbPfiPiS9_iiiiii
		.amdhsa_group_segment_fixed_size 0
		.amdhsa_private_segment_fixed_size 0
		.amdhsa_kernarg_size 72
		.amdhsa_user_sgpr_count 6
		.amdhsa_user_sgpr_private_segment_buffer 1
		.amdhsa_user_sgpr_dispatch_ptr 0
		.amdhsa_user_sgpr_queue_ptr 0
		.amdhsa_user_sgpr_kernarg_segment_ptr 1
		.amdhsa_user_sgpr_dispatch_id 0
		.amdhsa_user_sgpr_flat_scratch_init 0
		.amdhsa_user_sgpr_kernarg_preload_length 0
		.amdhsa_user_sgpr_kernarg_preload_offset 0
		.amdhsa_user_sgpr_private_segment_size 0
		.amdhsa_uses_dynamic_stack 0
		.amdhsa_system_sgpr_private_segment_wavefront_offset 0
		.amdhsa_system_sgpr_workgroup_id_x 1
		.amdhsa_system_sgpr_workgroup_id_y 0
		.amdhsa_system_sgpr_workgroup_id_z 0
		.amdhsa_system_sgpr_workgroup_info 0
		.amdhsa_system_vgpr_workitem_id 1
		.amdhsa_next_free_vgpr 49
		.amdhsa_next_free_sgpr 54
		.amdhsa_accum_offset 52
		.amdhsa_reserve_vcc 1
		.amdhsa_reserve_flat_scratch 0
		.amdhsa_float_round_mode_32 0
		.amdhsa_float_round_mode_16_64 0
		.amdhsa_float_denorm_mode_32 3
		.amdhsa_float_denorm_mode_16_64 3
		.amdhsa_dx10_clamp 1
		.amdhsa_ieee_mode 1
		.amdhsa_fp16_overflow 0
		.amdhsa_tg_split 0
		.amdhsa_exception_fp_ieee_invalid_op 0
		.amdhsa_exception_fp_denorm_src 0
		.amdhsa_exception_fp_ieee_div_zero 0
		.amdhsa_exception_fp_ieee_overflow 0
		.amdhsa_exception_fp_ieee_underflow 0
		.amdhsa_exception_fp_ieee_inexact 0
		.amdhsa_exception_int_div_zero 0
	.end_amdhsa_kernel
	.section	.text._ZN4vllm3moe17topkGatingSoftmaxItLi16ELi64ELi8ELi32ELb1ELi0ELNS0_23SharedExpertScoringFuncE0EEEvPKT_PKbPfiPiS9_iiiiii,"axG",@progbits,_ZN4vllm3moe17topkGatingSoftmaxItLi16ELi64ELi8ELi32ELb1ELi0ELNS0_23SharedExpertScoringFuncE0EEEvPKT_PKbPfiPiS9_iiiiii,comdat
.Lfunc_end268:
	.size	_ZN4vllm3moe17topkGatingSoftmaxItLi16ELi64ELi8ELi32ELb1ELi0ELNS0_23SharedExpertScoringFuncE0EEEvPKT_PKbPfiPiS9_iiiiii, .Lfunc_end268-_ZN4vllm3moe17topkGatingSoftmaxItLi16ELi64ELi8ELi32ELb1ELi0ELNS0_23SharedExpertScoringFuncE0EEEvPKT_PKbPfiPiS9_iiiiii
                                        ; -- End function
	.section	.AMDGPU.csdata,"",@progbits
; Kernel info:
; codeLenInByte = 2968
; NumSgprs: 58
; NumVgprs: 49
; NumAgprs: 0
; TotalNumVgprs: 49
; ScratchSize: 0
; MemoryBound: 0
; FloatMode: 240
; IeeeMode: 1
; LDSByteSize: 0 bytes/workgroup (compile time only)
; SGPRBlocks: 7
; VGPRBlocks: 6
; NumSGPRsForWavesPerEU: 58
; NumVGPRsForWavesPerEU: 49
; AccumOffset: 52
; Occupancy: 8
; WaveLimiterHint : 0
; COMPUTE_PGM_RSRC2:SCRATCH_EN: 0
; COMPUTE_PGM_RSRC2:USER_SGPR: 6
; COMPUTE_PGM_RSRC2:TRAP_HANDLER: 0
; COMPUTE_PGM_RSRC2:TGID_X_EN: 1
; COMPUTE_PGM_RSRC2:TGID_Y_EN: 0
; COMPUTE_PGM_RSRC2:TGID_Z_EN: 0
; COMPUTE_PGM_RSRC2:TIDIG_COMP_CNT: 1
; COMPUTE_PGM_RSRC3_GFX90A:ACCUM_OFFSET: 12
; COMPUTE_PGM_RSRC3_GFX90A:TG_SPLIT: 0
	.section	.text._ZN4vllm3moe17topkGatingSoftmaxItLi16ELi64ELi8ELi32ELb0ELi0ELNS0_23SharedExpertScoringFuncE0EEEvPKT_PKbPfiPiS9_iiiiii,"axG",@progbits,_ZN4vllm3moe17topkGatingSoftmaxItLi16ELi64ELi8ELi32ELb0ELi0ELNS0_23SharedExpertScoringFuncE0EEEvPKT_PKbPfiPiS9_iiiiii,comdat
	.protected	_ZN4vllm3moe17topkGatingSoftmaxItLi16ELi64ELi8ELi32ELb0ELi0ELNS0_23SharedExpertScoringFuncE0EEEvPKT_PKbPfiPiS9_iiiiii ; -- Begin function _ZN4vllm3moe17topkGatingSoftmaxItLi16ELi64ELi8ELi32ELb0ELi0ELNS0_23SharedExpertScoringFuncE0EEEvPKT_PKbPfiPiS9_iiiiii
	.globl	_ZN4vllm3moe17topkGatingSoftmaxItLi16ELi64ELi8ELi32ELb0ELi0ELNS0_23SharedExpertScoringFuncE0EEEvPKT_PKbPfiPiS9_iiiiii
	.p2align	8
	.type	_ZN4vllm3moe17topkGatingSoftmaxItLi16ELi64ELi8ELi32ELb0ELi0ELNS0_23SharedExpertScoringFuncE0EEEvPKT_PKbPfiPiS9_iiiiii,@function
_ZN4vllm3moe17topkGatingSoftmaxItLi16ELi64ELi8ELi32ELb0ELi0ELNS0_23SharedExpertScoringFuncE0EEEvPKT_PKbPfiPiS9_iiiiii: ; @_ZN4vllm3moe17topkGatingSoftmaxItLi16ELi64ELi8ELi32ELb0ELi0ELNS0_23SharedExpertScoringFuncE0EEEvPKT_PKbPfiPiS9_iiiiii
; %bb.0:
	s_load_dword s33, s[4:5], 0x18
	v_bfe_u32 v1, v0, 10, 10
	v_and_b32_e32 v0, 0x3ff, v0
	s_lshl_b32 s50, s6, 7
	v_lshlrev_b32_e32 v42, 4, v1
	v_lshrrev_b32_e32 v43, 2, v0
	v_add3_u32 v22, s50, v42, v43
	s_waitcnt lgkmcnt(0)
	v_cmp_gt_i32_e32 vcc, s33, v22
	s_and_saveexec_b64 s[0:1], vcc
	s_cbranch_execz .LBB269_29
; %bb.1:
	s_load_dwordx4 s[0:3], s[4:5], 0x0
	s_load_dwordx2 s[34:35], s[4:5], 0x10
	s_waitcnt lgkmcnt(0)
	s_cmp_eq_u64 s[2:3], 0
	s_cbranch_scc1 .LBB269_3
; %bb.2:
	v_ashrrev_i32_e32 v1, 31, v22
	v_mov_b32_e32 v3, s3
	v_add_co_u32_e32 v2, vcc, s2, v22
	v_addc_co_u32_e32 v3, vcc, v3, v1, vcc
	global_load_ubyte v1, v[2:3], off
	s_waitcnt vmcnt(0)
	v_and_b32_e32 v1, 1, v1
	v_cmp_eq_u32_e32 vcc, 1, v1
	s_xor_b64 s[2:3], vcc, -1
	s_orn2_b64 s[46:47], s[2:3], exec
	s_branch .LBB269_4
.LBB269_3:
	s_mov_b64 s[46:47], -1
.LBB269_4:
	s_load_dwordx2 s[6:7], s[4:5], 0x40
	s_load_dwordx4 s[36:39], s[4:5], 0x30
	v_mov_b32_e32 v1, s1
	v_and_b32_e32 v23, 3, v0
	v_lshlrev_b32_e32 v0, 5, v23
	s_waitcnt lgkmcnt(0)
	v_mul_lo_u32 v2, v22, s7
	v_ashrrev_i32_e32 v3, 31, v2
	v_lshlrev_b64 v[2:3], 1, v[2:3]
	v_add_co_u32_e32 v2, vcc, s0, v2
	v_addc_co_u32_e32 v1, vcc, v1, v3, vcc
	v_add_co_u32_e32 v8, vcc, v2, v0
	v_addc_co_u32_e32 v9, vcc, 0, v1, vcc
	global_load_dwordx4 v[4:7], v[8:9], off
	global_load_dwordx4 v[12:15], v[8:9], off offset:16
	v_lshlrev_b32_e32 v26, 4, v23
	v_or_b32_e32 v27, 1, v26
	v_or_b32_e32 v28, 2, v26
	;; [unrolled: 1-line block ×15, first 2 shown]
	v_mov_b32_e32 v25, 0
	s_waitcnt vmcnt(1)
	v_cvt_f32_u32_sdwa v1, v4 dst_sel:DWORD dst_unused:UNUSED_PAD src0_sel:WORD_1
	v_cvt_f32_u32_sdwa v0, v4 dst_sel:DWORD dst_unused:UNUSED_PAD src0_sel:WORD_0
	v_cvt_f32_u32_sdwa v2, v5 dst_sel:DWORD dst_unused:UNUSED_PAD src0_sel:WORD_0
	s_waitcnt vmcnt(0)
	v_cvt_f32_u32_sdwa v8, v12 dst_sel:DWORD dst_unused:UNUSED_PAD src0_sel:WORD_0
	v_cvt_f32_u32_sdwa v9, v12 dst_sel:DWORD dst_unused:UNUSED_PAD src0_sel:WORD_1
	v_cmp_lt_f32_e32 vcc, v0, v1
	v_cndmask_b32_e32 v4, v0, v1, vcc
	v_cndmask_b32_e32 v3, v26, v27, vcc
	v_cmp_lt_f32_e32 vcc, v4, v2
	v_cndmask_b32_e32 v10, v3, v28, vcc
	v_cvt_f32_u32_sdwa v3, v5 dst_sel:DWORD dst_unused:UNUSED_PAD src0_sel:WORD_1
	v_cndmask_b32_e32 v4, v4, v2, vcc
	v_cmp_lt_f32_e32 vcc, v4, v3
	v_cndmask_b32_e32 v5, v10, v29, vcc
	v_cndmask_b32_e32 v10, v4, v3, vcc
	v_cvt_f32_u32_sdwa v4, v6 dst_sel:DWORD dst_unused:UNUSED_PAD src0_sel:WORD_0
	v_cmp_lt_f32_e32 vcc, v10, v4
	v_cndmask_b32_e32 v11, v5, v30, vcc
	v_cvt_f32_u32_sdwa v5, v6 dst_sel:DWORD dst_unused:UNUSED_PAD src0_sel:WORD_1
	v_cvt_f32_u32_sdwa v6, v7 dst_sel:DWORD dst_unused:UNUSED_PAD src0_sel:WORD_0
	v_cndmask_b32_e32 v10, v10, v4, vcc
	v_cvt_f32_u32_sdwa v7, v7 dst_sel:DWORD dst_unused:UNUSED_PAD src0_sel:WORD_1
	v_cmp_lt_f32_e32 vcc, v10, v5
	v_cndmask_b32_e32 v10, v10, v5, vcc
	v_cndmask_b32_e32 v11, v11, v31, vcc
	v_cmp_lt_f32_e32 vcc, v10, v6
	v_cndmask_b32_e32 v10, v10, v6, vcc
	v_cndmask_b32_e32 v11, v11, v32, vcc
	;; [unrolled: 3-line block ×4, first 2 shown]
	v_cmp_lt_f32_e32 vcc, v10, v9
	v_cndmask_b32_e32 v12, v10, v9, vcc
	v_cvt_f32_u32_sdwa v10, v13 dst_sel:DWORD dst_unused:UNUSED_PAD src0_sel:WORD_0
	v_cndmask_b32_e32 v11, v11, v35, vcc
	v_cmp_lt_f32_e32 vcc, v12, v10
	v_cndmask_b32_e32 v16, v11, v36, vcc
	v_cvt_f32_u32_sdwa v11, v13 dst_sel:DWORD dst_unused:UNUSED_PAD src0_sel:WORD_1
	v_cndmask_b32_e32 v12, v12, v10, vcc
	v_cmp_lt_f32_e32 vcc, v12, v11
	v_cndmask_b32_e32 v13, v16, v37, vcc
	v_cndmask_b32_e32 v16, v12, v11, vcc
	v_cvt_f32_u32_sdwa v12, v14 dst_sel:DWORD dst_unused:UNUSED_PAD src0_sel:WORD_0
	v_cmp_lt_f32_e32 vcc, v16, v12
	v_cndmask_b32_e32 v17, v13, v38, vcc
	v_cvt_f32_u32_sdwa v13, v14 dst_sel:DWORD dst_unused:UNUSED_PAD src0_sel:WORD_1
	v_cvt_f32_u32_sdwa v14, v15 dst_sel:DWORD dst_unused:UNUSED_PAD src0_sel:WORD_0
	v_cndmask_b32_e32 v16, v16, v12, vcc
	v_cvt_f32_u32_sdwa v15, v15 dst_sel:DWORD dst_unused:UNUSED_PAD src0_sel:WORD_1
	v_cmp_lt_f32_e32 vcc, v16, v13
	v_cndmask_b32_e32 v16, v16, v13, vcc
	v_cndmask_b32_e32 v17, v17, v39, vcc
	v_cmp_lt_f32_e32 vcc, v16, v14
	v_cndmask_b32_e32 v16, v16, v14, vcc
	v_cndmask_b32_e32 v17, v17, v40, vcc
	;; [unrolled: 3-line block ×3, first 2 shown]
	s_nop 0
	v_mov_b32_dpp v18, v17 quad_perm:[1,0,3,2] row_mask:0xf bank_mask:0xf
	v_mov_b32_dpp v19, v16 quad_perm:[1,0,3,2] row_mask:0xf bank_mask:0xf
	v_cmp_lt_i32_e32 vcc, v18, v17
	v_cmp_eq_f32_e64 s[2:3], v16, v19
	v_cmp_lt_f32_e64 s[0:1], v16, v19
	s_and_b64 s[2:3], s[2:3], vcc
	s_or_b64 vcc, s[0:1], s[2:3]
	v_cndmask_b32_e32 v19, v16, v19, vcc
	v_cndmask_b32_e32 v16, v17, v18, vcc
	s_nop 0
	v_mov_b32_dpp v18, v19 quad_perm:[2,3,0,1] row_mask:0xf bank_mask:0xf
	v_mov_b32_dpp v17, v16 quad_perm:[2,3,0,1] row_mask:0xf bank_mask:0xf
	v_cmp_eq_f32_e64 s[0:1], v19, v18
	v_cmp_lt_i32_e64 s[2:3], v17, v16
	v_cmp_lt_f32_e32 vcc, v19, v18
	s_and_b64 s[0:1], s[0:1], s[2:3]
	s_or_b64 s[0:1], vcc, s[0:1]
	s_cmp_gt_i32 s36, 0
	v_cndmask_b32_e64 v24, v19, v18, s[0:1]
	s_cselect_b64 s[44:45], -1, 0
	s_cmp_lt_i32 s36, 1
	v_cmp_eq_u32_e32 vcc, 0, v23
	s_cbranch_scc1 .LBB269_16
; %bb.5:
	s_load_dwordx4 s[40:43], s[4:5], 0x20
	v_cndmask_b32_e64 v44, v16, v17, s[0:1]
	v_mul_lo_u32 v20, v22, s39
	v_mul_lo_u32 v18, v22, s6
	;; [unrolled: 1-line block ×3, first 2 shown]
	v_mov_b32_e32 v25, 0
	s_and_saveexec_b64 s[4:5], vcc
	s_cbranch_execz .LBB269_7
; %bb.6:
	v_sub_f32_e32 v17, v24, v24
	v_mul_f32_e32 v19, 0x3fb8aa3b, v17
	s_mov_b32 s0, 0x3fb8aa3b
	v_rndne_f32_e32 v21, v19
	v_sub_f32_e32 v25, v19, v21
	v_fma_f32 v19, v17, s0, -v19
	v_fmac_f32_e32 v19, 0x32a5705f, v17
	v_add_f32_e32 v19, v25, v19
	v_exp_f32_e32 v19, v19
	v_cvt_i32_f32_e32 v21, v21
	v_cmp_le_i32_e64 s[0:1], s37, v44
	v_cmp_gt_i32_e64 s[2:3], s38, v44
	s_and_b64 s[2:3], s[0:1], s[2:3]
	s_mov_b32 s0, 0xc2ce8ed0
	v_ldexp_f32 v19, v19, v21
	v_cmp_ngt_f32_e64 s[0:1], s0, v17
	v_cndmask_b32_e64 v19, 0, v19, s[0:1]
	s_mov_b32 s0, 0x42b17218
	v_mov_b32_e32 v21, 0x7f800000
	v_cmp_nlt_f32_e64 s[0:1], s0, v17
	v_cndmask_b32_e64 v25, v21, v19, s[0:1]
	v_ashrrev_i32_e32 v21, 31, v20
	v_lshlrev_b64 v[46:47], 2, v[20:21]
	v_mov_b32_e32 v17, s35
	v_add_co_u32_e64 v46, s[0:1], s34, v46
	v_addc_co_u32_e64 v47, s[0:1], v17, v47, s[0:1]
	v_ashrrev_i32_e32 v19, 31, v18
	global_store_dword v[46:47], v25, off
	v_subrev_u32_e32 v17, s37, v44
	s_and_b64 s[0:1], s[46:47], s[2:3]
	v_lshlrev_b64 v[46:47], 2, v[18:19]
	v_cndmask_b32_e64 v17, 64, v17, s[0:1]
	s_waitcnt lgkmcnt(0)
	v_mov_b32_e32 v19, s41
	v_add_co_u32_e64 v46, s[0:1], s40, v46
	v_addc_co_u32_e64 v47, s[0:1], v19, v47, s[0:1]
	global_store_dword v[46:47], v17, off
	v_ashrrev_i32_e32 v17, 31, v16
	v_lshlrev_b64 v[46:47], 2, v[16:17]
	v_mov_b32_e32 v17, s43
	v_add_co_u32_e64 v46, s[0:1], s42, v46
	v_addc_co_u32_e64 v47, s[0:1], v17, v47, s[0:1]
	global_store_dword v[46:47], v22, off
.LBB269_7:
	s_or_b64 exec, exec, s[4:5]
	v_ashrrev_i32_e32 v19, 31, v44
	v_lshrrev_b32_e32 v17, 28, v19
	v_add_u32_e32 v17, v44, v17
	v_ashrrev_i32_e32 v17, 4, v17
	v_lshrrev_b32_e32 v21, 30, v17
	v_add_u32_e32 v21, v17, v21
	v_and_b32_e32 v21, -4, v21
	v_sub_u32_e32 v21, v17, v21
	v_cmp_eq_u32_e64 s[0:1], v23, v21
	s_and_saveexec_b64 s[48:49], s[0:1]
	s_cbranch_execz .LBB269_9
; %bb.8:
	v_lshrrev_b32_e32 v19, 26, v19
	v_add_u32_e32 v19, v44, v19
	v_lshlrev_b32_e32 v17, 4, v17
	v_sub_u32_e32 v17, v44, v17
	v_ashrrev_i32_e32 v19, 6, v19
	v_lshl_add_u32 v17, v19, 4, v17
	v_mov_b32_e32 v19, 0xff800000
	v_cmp_ne_u32_e64 s[0:1], 14, v17
	v_cmp_ne_u32_e64 s[2:3], 13, v17
	;; [unrolled: 1-line block ×16, first 2 shown]
	v_cndmask_b32_e64 v15, v19, v15, s[30:31]
	v_cndmask_b32_e64 v14, v19, v14, s[0:1]
	;; [unrolled: 1-line block ×16, first 2 shown]
.LBB269_9:
	s_or_b64 exec, exec, s[48:49]
	s_cmp_eq_u32 s36, 1
	s_cbranch_scc1 .LBB269_16
; %bb.10:
	s_add_i32 s50, s50, s33
	s_add_i32 s51, s36, -1
	v_add3_u32 v42, s50, v43, v42
	v_add_u32_e32 v16, 1, v16
	v_add_u32_e32 v18, 1, v18
	;; [unrolled: 1-line block ×3, first 2 shown]
	s_mov_b32 s50, 0x3fb8aa3b
	s_mov_b32 s52, 0xc2ce8ed0
	s_mov_b32 s53, 0x42b17218
	v_mov_b32_e32 v43, 0x7f800000
	v_mov_b32_e32 v44, 0xff800000
	s_branch .LBB269_12
.LBB269_11:                             ;   in Loop: Header=BB269_12 Depth=1
	s_or_b64 exec, exec, s[48:49]
	s_add_i32 s51, s51, -1
	v_add_u32_e32 v42, s33, v42
	v_add_u32_e32 v16, 1, v16
	;; [unrolled: 1-line block ×3, first 2 shown]
	s_cmp_eq_u32 s51, 0
	v_add_u32_e32 v20, 1, v20
	s_cbranch_scc1 .LBB269_16
.LBB269_12:                             ; =>This Inner Loop Header: Depth=1
	v_cmp_gt_f32_e64 s[0:1], v1, v0
	v_cndmask_b32_e64 v19, v0, v1, s[0:1]
	v_cndmask_b32_e64 v17, v26, v27, s[0:1]
	v_cmp_gt_f32_e64 s[0:1], v2, v19
	v_cndmask_b32_e64 v19, v19, v2, s[0:1]
	v_cndmask_b32_e64 v17, v17, v28, s[0:1]
	;; [unrolled: 3-line block ×15, first 2 shown]
	s_nop 0
	v_mov_b32_dpp v45, v21 quad_perm:[1,0,3,2] row_mask:0xf bank_mask:0xf
	v_mov_b32_dpp v19, v17 quad_perm:[1,0,3,2] row_mask:0xf bank_mask:0xf
	v_cmp_eq_f32_e64 s[2:3], v17, v19
	v_cmp_lt_i32_e64 s[4:5], v45, v21
	v_cmp_lt_f32_e64 s[0:1], v17, v19
	s_and_b64 s[2:3], s[2:3], s[4:5]
	s_or_b64 s[0:1], s[0:1], s[2:3]
	v_cndmask_b32_e64 v17, v17, v19, s[0:1]
	v_cndmask_b32_e64 v21, v21, v45, s[0:1]
	s_nop 0
	v_mov_b32_dpp v19, v17 quad_perm:[2,3,0,1] row_mask:0xf bank_mask:0xf
	v_mov_b32_dpp v45, v21 quad_perm:[2,3,0,1] row_mask:0xf bank_mask:0xf
	v_cmp_eq_f32_e64 s[2:3], v17, v19
	v_cmp_lt_i32_e64 s[4:5], v45, v21
	v_cmp_lt_f32_e64 s[0:1], v17, v19
	s_and_b64 s[2:3], s[2:3], s[4:5]
	s_or_b64 s[0:1], s[0:1], s[2:3]
	v_cndmask_b32_e64 v45, v21, v45, s[0:1]
	s_and_saveexec_b64 s[4:5], vcc
	s_cbranch_execz .LBB269_14
; %bb.13:                               ;   in Loop: Header=BB269_12 Depth=1
	v_cndmask_b32_e64 v17, v17, v19, s[0:1]
	v_sub_f32_e32 v17, v17, v24
	v_mul_f32_e32 v19, 0x3fb8aa3b, v17
	v_fma_f32 v21, v17, s50, -v19
	v_rndne_f32_e32 v46, v19
	v_fmac_f32_e32 v21, 0x32a5705f, v17
	v_sub_f32_e32 v19, v19, v46
	v_add_f32_e32 v19, v19, v21
	v_exp_f32_e32 v19, v19
	v_cvt_i32_f32_e32 v21, v46
	v_cmp_le_i32_e64 s[0:1], s37, v45
	v_cmp_gt_i32_e64 s[2:3], s38, v45
	s_and_b64 s[2:3], s[0:1], s[2:3]
	v_ldexp_f32 v19, v19, v21
	v_cmp_ngt_f32_e64 s[0:1], s52, v17
	v_ashrrev_i32_e32 v21, 31, v20
	v_cndmask_b32_e64 v19, 0, v19, s[0:1]
	v_cmp_nlt_f32_e64 s[0:1], s53, v17
	v_lshlrev_b64 v[46:47], 2, v[20:21]
	v_cndmask_b32_e64 v48, v43, v19, s[0:1]
	v_mov_b32_e32 v17, s35
	v_add_co_u32_e64 v46, s[0:1], s34, v46
	v_addc_co_u32_e64 v47, s[0:1], v17, v47, s[0:1]
	v_ashrrev_i32_e32 v19, 31, v18
	global_store_dword v[46:47], v48, off
	v_subrev_u32_e32 v17, s37, v45
	s_and_b64 s[0:1], s[46:47], s[2:3]
	v_lshlrev_b64 v[46:47], 2, v[18:19]
	v_cndmask_b32_e64 v17, 64, v17, s[0:1]
	s_waitcnt lgkmcnt(0)
	v_mov_b32_e32 v19, s41
	v_add_co_u32_e64 v46, s[0:1], s40, v46
	v_addc_co_u32_e64 v47, s[0:1], v19, v47, s[0:1]
	global_store_dword v[46:47], v17, off
	v_ashrrev_i32_e32 v17, 31, v16
	v_lshlrev_b64 v[46:47], 2, v[16:17]
	v_mov_b32_e32 v17, s43
	v_add_co_u32_e64 v46, s[0:1], s42, v46
	v_addc_co_u32_e64 v47, s[0:1], v17, v47, s[0:1]
	v_add_f32_e32 v25, v25, v48
	global_store_dword v[46:47], v42, off
.LBB269_14:                             ;   in Loop: Header=BB269_12 Depth=1
	s_or_b64 exec, exec, s[4:5]
	v_ashrrev_i32_e32 v19, 31, v45
	v_lshrrev_b32_e32 v17, 28, v19
	v_add_u32_e32 v17, v45, v17
	v_ashrrev_i32_e32 v17, 4, v17
	v_lshrrev_b32_e32 v21, 30, v17
	v_add_u32_e32 v21, v17, v21
	v_and_b32_e32 v21, -4, v21
	v_sub_u32_e32 v21, v17, v21
	v_cmp_eq_u32_e64 s[0:1], v23, v21
	s_and_saveexec_b64 s[48:49], s[0:1]
	s_cbranch_execz .LBB269_11
; %bb.15:                               ;   in Loop: Header=BB269_12 Depth=1
	v_lshrrev_b32_e32 v19, 26, v19
	v_add_u32_e32 v19, v45, v19
	v_lshlrev_b32_e32 v17, 4, v17
	v_sub_u32_e32 v17, v45, v17
	v_ashrrev_i32_e32 v19, 6, v19
	v_lshl_add_u32 v17, v19, 4, v17
	v_cmp_ne_u32_e64 s[0:1], 14, v17
	v_cmp_ne_u32_e64 s[2:3], 13, v17
	;; [unrolled: 1-line block ×16, first 2 shown]
	v_cndmask_b32_e64 v15, v44, v15, s[30:31]
	v_cndmask_b32_e64 v14, v44, v14, s[0:1]
	;; [unrolled: 1-line block ×16, first 2 shown]
	s_branch .LBB269_11
.LBB269_16:
	v_sub_f32_e32 v0, v0, v24
	s_mov_b32 s2, 0x3fb8aa3b
	v_mul_f32_e32 v16, 0x3fb8aa3b, v0
	v_fma_f32 v17, v0, s2, -v16
	v_rndne_f32_e32 v18, v16
	v_fmac_f32_e32 v17, 0x32a5705f, v0
	v_sub_f32_e32 v16, v16, v18
	v_add_f32_e32 v16, v16, v17
	v_exp_f32_e32 v16, v16
	v_cvt_i32_f32_e32 v17, v18
	v_sub_f32_e32 v1, v1, v24
	s_mov_b32 s4, 0xc2ce8ed0
	s_mov_b32 s3, 0x42b17218
	v_ldexp_f32 v16, v16, v17
	v_mul_f32_e32 v17, 0x3fb8aa3b, v1
	v_fma_f32 v18, v1, s2, -v17
	v_rndne_f32_e32 v19, v17
	v_fmac_f32_e32 v18, 0x32a5705f, v1
	v_sub_f32_e32 v17, v17, v19
	v_add_f32_e32 v17, v17, v18
	v_exp_f32_e32 v17, v17
	v_cvt_i32_f32_e32 v18, v19
	v_cmp_ngt_f32_e32 vcc, s4, v1
	v_cmp_ngt_f32_e64 s[0:1], s4, v0
	v_sub_f32_e32 v2, v2, v24
	v_ldexp_f32 v17, v17, v18
	v_cndmask_b32_e32 v17, 0, v17, vcc
	v_mov_b32_e32 v18, 0x7f800000
	v_cmp_nlt_f32_e32 vcc, s3, v1
	v_cndmask_b32_e64 v1, 0, v16, s[0:1]
	v_cmp_nlt_f32_e64 s[0:1], s3, v0
	v_cndmask_b32_e64 v0, v18, v1, s[0:1]
	v_cndmask_b32_e32 v1, v18, v17, vcc
	v_add_f32_e32 v0, v0, v1
	v_mul_f32_e32 v1, 0x3fb8aa3b, v2
	v_fma_f32 v16, v2, s2, -v1
	v_rndne_f32_e32 v17, v1
	v_fmac_f32_e32 v16, 0x32a5705f, v2
	v_sub_f32_e32 v1, v1, v17
	v_add_f32_e32 v1, v1, v16
	v_exp_f32_e32 v1, v1
	v_cvt_i32_f32_e32 v16, v17
	v_cmp_ngt_f32_e32 vcc, s4, v2
	v_sub_f32_e32 v3, v3, v24
	v_sub_f32_e32 v4, v4, v24
	v_ldexp_f32 v1, v1, v16
	v_cndmask_b32_e32 v1, 0, v1, vcc
	v_cmp_nlt_f32_e32 vcc, s3, v2
	v_cndmask_b32_e32 v1, v18, v1, vcc
	v_add_f32_e32 v0, v0, v1
	v_mul_f32_e32 v1, 0x3fb8aa3b, v3
	v_fma_f32 v2, v3, s2, -v1
	v_rndne_f32_e32 v16, v1
	v_fmac_f32_e32 v2, 0x32a5705f, v3
	v_sub_f32_e32 v1, v1, v16
	v_add_f32_e32 v1, v1, v2
	v_exp_f32_e32 v1, v1
	v_cvt_i32_f32_e32 v2, v16
	v_cmp_ngt_f32_e32 vcc, s4, v3
	v_sub_f32_e32 v5, v5, v24
	v_sub_f32_e32 v6, v6, v24
	v_ldexp_f32 v1, v1, v2
	v_cndmask_b32_e32 v1, 0, v1, vcc
	v_cmp_nlt_f32_e32 vcc, s3, v3
	;; [unrolled: 16-line block ×5, first 2 shown]
	v_cndmask_b32_e32 v1, v18, v1, vcc
	v_add_f32_e32 v0, v0, v1
	v_mul_f32_e32 v1, 0x3fb8aa3b, v7
	v_fma_f32 v2, v7, s2, -v1
	v_rndne_f32_e32 v3, v1
	v_fmac_f32_e32 v2, 0x32a5705f, v7
	v_sub_f32_e32 v1, v1, v3
	v_add_f32_e32 v1, v1, v2
	v_exp_f32_e32 v1, v1
	v_cvt_i32_f32_e32 v2, v3
	v_cmp_ngt_f32_e32 vcc, s4, v7
	v_ldexp_f32 v1, v1, v2
	v_mul_f32_e32 v2, 0x3fb8aa3b, v8
	v_fma_f32 v3, v8, s2, -v2
	v_rndne_f32_e32 v4, v2
	v_fmac_f32_e32 v3, 0x32a5705f, v8
	v_sub_f32_e32 v2, v2, v4
	v_add_f32_e32 v2, v2, v3
	v_exp_f32_e32 v2, v2
	v_cvt_i32_f32_e32 v3, v4
	v_cndmask_b32_e32 v1, 0, v1, vcc
	v_cmp_nlt_f32_e32 vcc, s3, v7
	v_cndmask_b32_e32 v1, v18, v1, vcc
	v_add_f32_e32 v0, v0, v1
	v_ldexp_f32 v1, v2, v3
	v_mul_f32_e32 v2, 0x3fb8aa3b, v9
	v_fma_f32 v3, v9, s2, -v2
	v_rndne_f32_e32 v4, v2
	v_fmac_f32_e32 v3, 0x32a5705f, v9
	v_sub_f32_e32 v2, v2, v4
	v_add_f32_e32 v2, v2, v3
	v_exp_f32_e32 v2, v2
	v_cvt_i32_f32_e32 v3, v4
	v_cmp_ngt_f32_e32 vcc, s4, v8
	v_cndmask_b32_e32 v1, 0, v1, vcc
	v_cmp_nlt_f32_e32 vcc, s3, v8
	v_cndmask_b32_e32 v1, v18, v1, vcc
	v_add_f32_e32 v0, v0, v1
	v_ldexp_f32 v1, v2, v3
	v_mul_f32_e32 v2, 0x3fb8aa3b, v10
	v_fma_f32 v3, v10, s2, -v2
	v_rndne_f32_e32 v4, v2
	v_fmac_f32_e32 v3, 0x32a5705f, v10
	v_sub_f32_e32 v2, v2, v4
	v_add_f32_e32 v2, v2, v3
	v_exp_f32_e32 v2, v2
	v_cvt_i32_f32_e32 v3, v4
	v_cmp_ngt_f32_e32 vcc, s4, v9
	v_cndmask_b32_e32 v1, 0, v1, vcc
	v_cmp_nlt_f32_e32 vcc, s3, v9
	v_cndmask_b32_e32 v1, v18, v1, vcc
	v_add_f32_e32 v0, v0, v1
	v_ldexp_f32 v1, v2, v3
	v_mul_f32_e32 v2, 0x3fb8aa3b, v11
	v_fma_f32 v3, v11, s2, -v2
	v_rndne_f32_e32 v4, v2
	v_fmac_f32_e32 v3, 0x32a5705f, v11
	v_sub_f32_e32 v2, v2, v4
	v_add_f32_e32 v2, v2, v3
	v_exp_f32_e32 v2, v2
	v_cvt_i32_f32_e32 v3, v4
	v_cmp_ngt_f32_e32 vcc, s4, v10
	v_cndmask_b32_e32 v1, 0, v1, vcc
	v_cmp_nlt_f32_e32 vcc, s3, v10
	v_cndmask_b32_e32 v1, v18, v1, vcc
	v_add_f32_e32 v0, v0, v1
	v_ldexp_f32 v1, v2, v3
	v_mul_f32_e32 v2, 0x3fb8aa3b, v12
	v_fma_f32 v3, v12, s2, -v2
	v_rndne_f32_e32 v4, v2
	v_fmac_f32_e32 v3, 0x32a5705f, v12
	v_sub_f32_e32 v2, v2, v4
	v_add_f32_e32 v2, v2, v3
	v_exp_f32_e32 v2, v2
	v_cvt_i32_f32_e32 v3, v4
	v_cmp_ngt_f32_e32 vcc, s4, v11
	v_cndmask_b32_e32 v1, 0, v1, vcc
	v_cmp_nlt_f32_e32 vcc, s3, v11
	v_cndmask_b32_e32 v1, v18, v1, vcc
	v_add_f32_e32 v0, v0, v1
	v_ldexp_f32 v1, v2, v3
	v_sub_f32_e32 v2, v13, v24
	v_mul_f32_e32 v3, 0x3fb8aa3b, v2
	v_fma_f32 v4, v2, s2, -v3
	v_rndne_f32_e32 v5, v3
	v_fmac_f32_e32 v4, 0x32a5705f, v2
	v_sub_f32_e32 v3, v3, v5
	v_add_f32_e32 v3, v3, v4
	v_exp_f32_e32 v3, v3
	v_cvt_i32_f32_e32 v4, v5
	v_cmp_ngt_f32_e32 vcc, s4, v12
	v_cndmask_b32_e32 v1, 0, v1, vcc
	v_cmp_nlt_f32_e32 vcc, s3, v12
	v_cndmask_b32_e32 v1, v18, v1, vcc
	v_add_f32_e32 v0, v0, v1
	v_ldexp_f32 v1, v3, v4
	v_sub_f32_e32 v3, v14, v24
	v_mul_f32_e32 v4, 0x3fb8aa3b, v3
	v_fma_f32 v5, v3, s2, -v4
	v_rndne_f32_e32 v6, v4
	v_fmac_f32_e32 v5, 0x32a5705f, v3
	v_sub_f32_e32 v4, v4, v6
	v_add_f32_e32 v4, v4, v5
	v_exp_f32_e32 v4, v4
	v_cvt_i32_f32_e32 v5, v6
	v_cmp_ngt_f32_e32 vcc, s4, v2
	v_cndmask_b32_e32 v1, 0, v1, vcc
	v_cmp_nlt_f32_e32 vcc, s3, v2
	v_cndmask_b32_e32 v1, v18, v1, vcc
	v_sub_f32_e32 v2, v15, v24
	v_add_f32_e32 v0, v0, v1
	v_ldexp_f32 v1, v4, v5
	v_mul_f32_e32 v4, 0x3fb8aa3b, v2
	v_fma_f32 v5, v2, s2, -v4
	v_rndne_f32_e32 v6, v4
	v_fmac_f32_e32 v5, 0x32a5705f, v2
	v_sub_f32_e32 v4, v4, v6
	v_add_f32_e32 v4, v4, v5
	v_exp_f32_e32 v4, v4
	v_cvt_i32_f32_e32 v5, v6
	v_cmp_ngt_f32_e32 vcc, s4, v3
	v_cndmask_b32_e32 v1, 0, v1, vcc
	v_cmp_nlt_f32_e32 vcc, s3, v3
	v_cndmask_b32_e32 v1, v18, v1, vcc
	v_add_f32_e32 v0, v0, v1
	v_ldexp_f32 v1, v4, v5
	v_cmp_ngt_f32_e32 vcc, s4, v2
	v_cndmask_b32_e32 v1, 0, v1, vcc
	v_cmp_nlt_f32_e32 vcc, s3, v2
	v_cndmask_b32_e32 v1, v18, v1, vcc
	v_add_f32_e32 v0, v0, v1
	v_cmp_eq_u32_e32 vcc, 0, v23
	s_nop 0
	v_mov_b32_dpp v1, v0 quad_perm:[1,0,3,2] row_mask:0xf bank_mask:0xf
	v_add_f32_e32 v0, v0, v1
	s_nop 1
	v_mov_b32_dpp v1, v0 quad_perm:[2,3,0,1] row_mask:0xf bank_mask:0xf
	s_and_b64 exec, exec, vcc
	s_cbranch_execz .LBB269_29
; %bb.17:
	v_add_f32_e32 v0, v0, v1
	v_add_f32_e32 v0, v25, v0
	v_cmp_neq_f32_e32 vcc, 0, v0
	s_and_b64 exec, exec, vcc
	s_cbranch_execz .LBB269_29
; %bb.18:
	s_andn2_b64 vcc, exec, s[44:45]
	s_cbranch_vccnz .LBB269_29
; %bb.19:
	v_div_scale_f32 v1, s[0:1], v0, v0, 1.0
	v_rcp_f32_e32 v2, v1
	v_div_scale_f32 v3, vcc, 1.0, v0, 1.0
	s_cmp_gt_u32 s36, 3
	v_fma_f32 v4, -v1, v2, 1.0
	v_fmac_f32_e32 v2, v4, v2
	v_mul_f32_e32 v4, v3, v2
	v_fma_f32 v5, -v1, v4, v3
	v_fmac_f32_e32 v4, v5, v2
	v_fma_f32 v1, -v1, v4, v3
	v_div_fmas_f32 v1, v1, v2, v4
	v_mul_lo_u32 v2, v22, s39
	v_div_fixup_f32 v0, v1, v0, 1.0
	v_ashrrev_i32_e32 v3, 31, v2
	s_cbranch_scc0 .LBB269_23
; %bb.20:
	v_lshlrev_b64 v[4:5], 2, v[2:3]
	v_mov_b32_e32 v6, s35
	v_add_co_u32_e32 v4, vcc, s34, v4
	v_addc_co_u32_e32 v5, vcc, v5, v6, vcc
	s_and_b32 s4, s36, 0x7ffffffc
	v_add_co_u32_e32 v4, vcc, 8, v4
	v_mov_b32_e32 v1, v0
	v_addc_co_u32_e32 v5, vcc, 0, v5, vcc
	s_mov_b32 s0, s4
.LBB269_21:                             ; =>This Inner Loop Header: Depth=1
	global_load_dwordx4 v[6:9], v[4:5], off offset:-8
	s_add_i32 s0, s0, -4
	s_cmp_lg_u32 s0, 0
	s_waitcnt vmcnt(0)
	v_pk_mul_f32 v[6:7], v[0:1], v[6:7]
	v_pk_mul_f32 v[8:9], v[0:1], v[8:9]
	global_store_dwordx4 v[4:5], v[6:9], off offset:-8
	v_add_co_u32_e32 v4, vcc, 16, v4
	v_addc_co_u32_e32 v5, vcc, 0, v5, vcc
	s_cbranch_scc1 .LBB269_21
; %bb.22:
	s_cmp_lg_u32 s4, s36
	s_mov_b64 s[2:3], 0
	s_cselect_b64 s[0:1], -1, 0
	s_branch .LBB269_24
.LBB269_23:
	s_mov_b64 s[2:3], -1
	s_mov_b64 s[0:1], 0
                                        ; implicit-def: $sgpr4
.LBB269_24:
	s_and_b64 vcc, exec, s[2:3]
	s_cbranch_vccz .LBB269_26
; %bb.25:
	s_mov_b64 s[0:1], -1
	s_mov_b32 s4, 0
.LBB269_26:
	s_andn2_b64 vcc, exec, s[0:1]
	s_cbranch_vccnz .LBB269_29
; %bb.27:
	v_add_co_u32_e32 v2, vcc, s4, v2
	v_addc_co_u32_e32 v3, vcc, 0, v3, vcc
	v_lshlrev_b64 v[2:3], 2, v[2:3]
	v_mov_b32_e32 v1, s35
	v_add_co_u32_e32 v2, vcc, s34, v2
	s_sub_i32 s0, s36, s4
	v_addc_co_u32_e32 v3, vcc, v1, v3, vcc
.LBB269_28:                             ; =>This Inner Loop Header: Depth=1
	global_load_dword v1, v[2:3], off
	s_add_i32 s0, s0, -1
	s_cmp_lg_u32 s0, 0
	s_waitcnt vmcnt(0)
	v_mul_f32_e32 v1, v0, v1
	global_store_dword v[2:3], v1, off
	v_add_co_u32_e32 v2, vcc, 4, v2
	v_addc_co_u32_e32 v3, vcc, 0, v3, vcc
	s_cbranch_scc1 .LBB269_28
.LBB269_29:
	s_endpgm
	.section	.rodata,"a",@progbits
	.p2align	6, 0x0
	.amdhsa_kernel _ZN4vllm3moe17topkGatingSoftmaxItLi16ELi64ELi8ELi32ELb0ELi0ELNS0_23SharedExpertScoringFuncE0EEEvPKT_PKbPfiPiS9_iiiiii
		.amdhsa_group_segment_fixed_size 0
		.amdhsa_private_segment_fixed_size 0
		.amdhsa_kernarg_size 72
		.amdhsa_user_sgpr_count 6
		.amdhsa_user_sgpr_private_segment_buffer 1
		.amdhsa_user_sgpr_dispatch_ptr 0
		.amdhsa_user_sgpr_queue_ptr 0
		.amdhsa_user_sgpr_kernarg_segment_ptr 1
		.amdhsa_user_sgpr_dispatch_id 0
		.amdhsa_user_sgpr_flat_scratch_init 0
		.amdhsa_user_sgpr_kernarg_preload_length 0
		.amdhsa_user_sgpr_kernarg_preload_offset 0
		.amdhsa_user_sgpr_private_segment_size 0
		.amdhsa_uses_dynamic_stack 0
		.amdhsa_system_sgpr_private_segment_wavefront_offset 0
		.amdhsa_system_sgpr_workgroup_id_x 1
		.amdhsa_system_sgpr_workgroup_id_y 0
		.amdhsa_system_sgpr_workgroup_id_z 0
		.amdhsa_system_sgpr_workgroup_info 0
		.amdhsa_system_vgpr_workitem_id 1
		.amdhsa_next_free_vgpr 49
		.amdhsa_next_free_sgpr 54
		.amdhsa_accum_offset 52
		.amdhsa_reserve_vcc 1
		.amdhsa_reserve_flat_scratch 0
		.amdhsa_float_round_mode_32 0
		.amdhsa_float_round_mode_16_64 0
		.amdhsa_float_denorm_mode_32 3
		.amdhsa_float_denorm_mode_16_64 3
		.amdhsa_dx10_clamp 1
		.amdhsa_ieee_mode 1
		.amdhsa_fp16_overflow 0
		.amdhsa_tg_split 0
		.amdhsa_exception_fp_ieee_invalid_op 0
		.amdhsa_exception_fp_denorm_src 0
		.amdhsa_exception_fp_ieee_div_zero 0
		.amdhsa_exception_fp_ieee_overflow 0
		.amdhsa_exception_fp_ieee_underflow 0
		.amdhsa_exception_fp_ieee_inexact 0
		.amdhsa_exception_int_div_zero 0
	.end_amdhsa_kernel
	.section	.text._ZN4vllm3moe17topkGatingSoftmaxItLi16ELi64ELi8ELi32ELb0ELi0ELNS0_23SharedExpertScoringFuncE0EEEvPKT_PKbPfiPiS9_iiiiii,"axG",@progbits,_ZN4vllm3moe17topkGatingSoftmaxItLi16ELi64ELi8ELi32ELb0ELi0ELNS0_23SharedExpertScoringFuncE0EEEvPKT_PKbPfiPiS9_iiiiii,comdat
.Lfunc_end269:
	.size	_ZN4vllm3moe17topkGatingSoftmaxItLi16ELi64ELi8ELi32ELb0ELi0ELNS0_23SharedExpertScoringFuncE0EEEvPKT_PKbPfiPiS9_iiiiii, .Lfunc_end269-_ZN4vllm3moe17topkGatingSoftmaxItLi16ELi64ELi8ELi32ELb0ELi0ELNS0_23SharedExpertScoringFuncE0EEEvPKT_PKbPfiPiS9_iiiiii
                                        ; -- End function
	.section	.AMDGPU.csdata,"",@progbits
; Kernel info:
; codeLenInByte = 4276
; NumSgprs: 58
; NumVgprs: 49
; NumAgprs: 0
; TotalNumVgprs: 49
; ScratchSize: 0
; MemoryBound: 0
; FloatMode: 240
; IeeeMode: 1
; LDSByteSize: 0 bytes/workgroup (compile time only)
; SGPRBlocks: 7
; VGPRBlocks: 6
; NumSGPRsForWavesPerEU: 58
; NumVGPRsForWavesPerEU: 49
; AccumOffset: 52
; Occupancy: 8
; WaveLimiterHint : 0
; COMPUTE_PGM_RSRC2:SCRATCH_EN: 0
; COMPUTE_PGM_RSRC2:USER_SGPR: 6
; COMPUTE_PGM_RSRC2:TRAP_HANDLER: 0
; COMPUTE_PGM_RSRC2:TGID_X_EN: 1
; COMPUTE_PGM_RSRC2:TGID_Y_EN: 0
; COMPUTE_PGM_RSRC2:TGID_Z_EN: 0
; COMPUTE_PGM_RSRC2:TIDIG_COMP_CNT: 1
; COMPUTE_PGM_RSRC3_GFX90A:ACCUM_OFFSET: 12
; COMPUTE_PGM_RSRC3_GFX90A:TG_SPLIT: 0
	.section	.text._ZN4vllm3moe17topkGatingSoftmaxItLi16ELi64ELi8ELi32ELb1ELi1ELNS0_23SharedExpertScoringFuncE1EEEvPKT_PKbPfiPiS9_iiiiii,"axG",@progbits,_ZN4vllm3moe17topkGatingSoftmaxItLi16ELi64ELi8ELi32ELb1ELi1ELNS0_23SharedExpertScoringFuncE1EEEvPKT_PKbPfiPiS9_iiiiii,comdat
	.protected	_ZN4vllm3moe17topkGatingSoftmaxItLi16ELi64ELi8ELi32ELb1ELi1ELNS0_23SharedExpertScoringFuncE1EEEvPKT_PKbPfiPiS9_iiiiii ; -- Begin function _ZN4vllm3moe17topkGatingSoftmaxItLi16ELi64ELi8ELi32ELb1ELi1ELNS0_23SharedExpertScoringFuncE1EEEvPKT_PKbPfiPiS9_iiiiii
	.globl	_ZN4vllm3moe17topkGatingSoftmaxItLi16ELi64ELi8ELi32ELb1ELi1ELNS0_23SharedExpertScoringFuncE1EEEvPKT_PKbPfiPiS9_iiiiii
	.p2align	8
	.type	_ZN4vllm3moe17topkGatingSoftmaxItLi16ELi64ELi8ELi32ELb1ELi1ELNS0_23SharedExpertScoringFuncE1EEEvPKT_PKbPfiPiS9_iiiiii,@function
_ZN4vllm3moe17topkGatingSoftmaxItLi16ELi64ELi8ELi32ELb1ELi1ELNS0_23SharedExpertScoringFuncE1EEEvPKT_PKbPfiPiS9_iiiiii: ; @_ZN4vllm3moe17topkGatingSoftmaxItLi16ELi64ELi8ELi32ELb1ELi1ELNS0_23SharedExpertScoringFuncE1EEEvPKT_PKbPfiPiS9_iiiiii
; %bb.0:
	s_load_dword s33, s[4:5], 0x18
	v_bfe_u32 v1, v0, 10, 10
	v_and_b32_e32 v2, 0x3ff, v0
	s_lshl_b32 s50, s6, 7
	v_lshlrev_b32_e32 v41, 4, v1
	v_lshrrev_b32_e32 v42, 2, v2
	v_add3_u32 v22, s50, v41, v42
	s_waitcnt lgkmcnt(0)
	v_cmp_gt_i32_e32 vcc, s33, v22
	s_and_saveexec_b64 s[0:1], vcc
	s_cbranch_execz .LBB270_29
; %bb.1:
	s_load_dwordx4 s[0:3], s[4:5], 0x0
	s_load_dwordx2 s[34:35], s[4:5], 0x10
	s_waitcnt lgkmcnt(0)
	s_cmp_eq_u64 s[2:3], 0
	s_cbranch_scc1 .LBB270_3
; %bb.2:
	v_ashrrev_i32_e32 v1, 31, v22
	v_mov_b32_e32 v3, s3
	v_add_co_u32_e32 v0, vcc, s2, v22
	v_addc_co_u32_e32 v1, vcc, v3, v1, vcc
	global_load_ubyte v0, v[0:1], off
	s_waitcnt vmcnt(0)
	v_and_b32_e32 v0, 1, v0
	v_cmp_eq_u32_e32 vcc, 1, v0
	s_xor_b64 s[2:3], vcc, -1
	s_orn2_b64 s[44:45], s[2:3], exec
	s_branch .LBB270_4
.LBB270_3:
	s_mov_b64 s[44:45], -1
.LBB270_4:
	s_load_dwordx2 s[8:9], s[4:5], 0x40
	s_load_dwordx4 s[36:39], s[4:5], 0x30
	v_mov_b32_e32 v3, s1
	v_and_b32_e32 v23, 3, v2
	v_lshlrev_b32_e32 v2, 5, v23
	s_waitcnt lgkmcnt(0)
	v_mul_lo_u32 v0, v22, s9
	v_ashrrev_i32_e32 v1, 31, v0
	v_lshlrev_b64 v[0:1], 1, v[0:1]
	v_add_co_u32_e32 v0, vcc, s0, v0
	v_addc_co_u32_e32 v1, vcc, v3, v1, vcc
	v_add_co_u32_e32 v2, vcc, v0, v2
	v_addc_co_u32_e32 v3, vcc, 0, v1, vcc
	global_load_dwordx4 v[12:15], v[2:3], off offset:16
	global_load_dwordx4 v[4:7], v[2:3], off
	v_lshlrev_b32_e32 v25, 4, v23
	v_mov_b32_e32 v24, 0
	v_cmp_eq_u32_e64 s[0:1], 0, v23
	s_and_saveexec_b64 s[2:3], s[0:1]
	s_cbranch_execz .LBB270_6
; %bb.5:
	global_load_ushort v0, v[0:1], off offset:128
	s_mov_b32 s6, 0xbfb8aa3b
	s_mov_b32 s7, 0x42ce8ed0
	;; [unrolled: 1-line block ×3, first 2 shown]
	v_mov_b32_e32 v3, 0x7f800000
	v_mov_b32_e32 v10, s35
	s_waitcnt vmcnt(0)
	v_cvt_f32_u32_e32 v2, v0
	v_mul_lo_u32 v0, v22, s39
	v_add_u32_e32 v0, s36, v0
	v_mul_f32_e32 v1, 0xbfb8aa3b, v2
	v_rndne_f32_e32 v8, v1
	v_fma_f32 v9, v2, s6, -v1
	v_sub_f32_e32 v1, v1, v8
	v_fmac_f32_e32 v9, 0xb2a5705f, v2
	v_add_f32_e32 v1, v1, v9
	v_cvt_i32_f32_e32 v8, v8
	v_exp_f32_e32 v9, v1
	v_cmp_nlt_f32_e32 vcc, s7, v2
	v_ashrrev_i32_e32 v1, 31, v0
	v_lshlrev_b64 v[0:1], 2, v[0:1]
	v_ldexp_f32 v8, v9, v8
	v_cndmask_b32_e32 v8, 0, v8, vcc
	v_cmp_ngt_f32_e32 vcc, s9, v2
	v_cndmask_b32_e32 v2, v3, v8, vcc
	v_add_f32_e32 v2, 1.0, v2
	v_div_scale_f32 v3, s[6:7], v2, v2, 1.0
	v_rcp_f32_e32 v8, v3
	v_div_scale_f32 v9, vcc, 1.0, v2, 1.0
	v_fma_f32 v11, -v3, v8, 1.0
	v_fmac_f32_e32 v8, v11, v8
	v_mul_f32_e32 v11, v9, v8
	v_fma_f32 v16, -v3, v11, v9
	v_fmac_f32_e32 v11, v16, v8
	v_fma_f32 v3, -v3, v11, v9
	v_div_fmas_f32 v3, v3, v8, v11
	v_add_co_u32_e32 v0, vcc, s34, v0
	v_div_fixup_f32 v2, v3, v2, 1.0
	v_addc_co_u32_e32 v1, vcc, v10, v1, vcc
	global_store_dword v[0:1], v2, off
.LBB270_6:
	s_or_b64 exec, exec, s[2:3]
	s_waitcnt vmcnt(0)
	v_cvt_f32_u32_sdwa v1, v4 dst_sel:DWORD dst_unused:UNUSED_PAD src0_sel:WORD_1
	v_cvt_f32_u32_sdwa v0, v4 dst_sel:DWORD dst_unused:UNUSED_PAD src0_sel:WORD_0
	v_cvt_f32_u32_sdwa v2, v5 dst_sel:DWORD dst_unused:UNUSED_PAD src0_sel:WORD_0
	v_or_b32_e32 v26, 1, v25
	v_or_b32_e32 v27, 2, v25
	v_cmp_lt_f32_e32 vcc, v0, v1
	v_cndmask_b32_e32 v4, v0, v1, vcc
	v_cndmask_b32_e32 v3, v25, v26, vcc
	v_cmp_lt_f32_e32 vcc, v4, v2
	v_cndmask_b32_e32 v8, v3, v27, vcc
	v_cvt_f32_u32_sdwa v3, v5 dst_sel:DWORD dst_unused:UNUSED_PAD src0_sel:WORD_1
	v_cndmask_b32_e32 v4, v4, v2, vcc
	v_or_b32_e32 v28, 3, v25
	v_or_b32_e32 v29, 4, v25
	v_cmp_lt_f32_e32 vcc, v4, v3
	v_cndmask_b32_e32 v5, v8, v28, vcc
	v_cndmask_b32_e32 v8, v4, v3, vcc
	v_cvt_f32_u32_sdwa v4, v6 dst_sel:DWORD dst_unused:UNUSED_PAD src0_sel:WORD_0
	v_or_b32_e32 v30, 5, v25
	v_or_b32_e32 v31, 6, v25
	;; [unrolled: 1-line block ×3, first 2 shown]
	v_cmp_lt_f32_e32 vcc, v8, v4
	v_cndmask_b32_e32 v9, v5, v29, vcc
	v_cvt_f32_u32_sdwa v5, v6 dst_sel:DWORD dst_unused:UNUSED_PAD src0_sel:WORD_1
	v_cvt_f32_u32_sdwa v6, v7 dst_sel:DWORD dst_unused:UNUSED_PAD src0_sel:WORD_0
	v_cndmask_b32_e32 v8, v8, v4, vcc
	v_cvt_f32_u32_sdwa v7, v7 dst_sel:DWORD dst_unused:UNUSED_PAD src0_sel:WORD_1
	v_cmp_lt_f32_e32 vcc, v8, v5
	v_cndmask_b32_e32 v8, v8, v5, vcc
	v_cndmask_b32_e32 v9, v9, v30, vcc
	v_cmp_lt_f32_e32 vcc, v8, v6
	v_cndmask_b32_e32 v8, v8, v6, vcc
	v_cndmask_b32_e32 v9, v9, v31, vcc
	v_cmp_lt_f32_e32 vcc, v8, v7
	v_cndmask_b32_e32 v10, v8, v7, vcc
	v_cvt_f32_u32_sdwa v8, v12 dst_sel:DWORD dst_unused:UNUSED_PAD src0_sel:WORD_0
	v_cndmask_b32_e32 v9, v9, v32, vcc
	v_or_b32_e32 v33, 8, v25
	v_or_b32_e32 v34, 9, v25
	v_cmp_lt_f32_e32 vcc, v10, v8
	v_cndmask_b32_e32 v11, v9, v33, vcc
	v_cvt_f32_u32_sdwa v9, v12 dst_sel:DWORD dst_unused:UNUSED_PAD src0_sel:WORD_1
	v_cndmask_b32_e32 v10, v10, v8, vcc
	v_or_b32_e32 v35, 10, v25
	v_or_b32_e32 v36, 11, v25
	v_cmp_lt_f32_e32 vcc, v10, v9
	v_cndmask_b32_e32 v12, v10, v9, vcc
	v_cvt_f32_u32_sdwa v10, v13 dst_sel:DWORD dst_unused:UNUSED_PAD src0_sel:WORD_0
	v_cndmask_b32_e32 v11, v11, v34, vcc
	v_or_b32_e32 v37, 12, v25
	v_or_b32_e32 v38, 13, v25
	v_cmp_lt_f32_e32 vcc, v12, v10
	v_cndmask_b32_e32 v16, v11, v35, vcc
	v_cvt_f32_u32_sdwa v11, v13 dst_sel:DWORD dst_unused:UNUSED_PAD src0_sel:WORD_1
	v_cndmask_b32_e32 v12, v12, v10, vcc
	v_or_b32_e32 v39, 14, v25
	v_or_b32_e32 v40, 15, v25
	v_cmp_lt_f32_e32 vcc, v12, v11
	v_cndmask_b32_e32 v13, v16, v36, vcc
	v_cndmask_b32_e32 v16, v12, v11, vcc
	v_cvt_f32_u32_sdwa v12, v14 dst_sel:DWORD dst_unused:UNUSED_PAD src0_sel:WORD_0
	v_cmp_lt_f32_e32 vcc, v16, v12
	v_cndmask_b32_e32 v17, v13, v37, vcc
	v_cvt_f32_u32_sdwa v13, v14 dst_sel:DWORD dst_unused:UNUSED_PAD src0_sel:WORD_1
	v_cvt_f32_u32_sdwa v14, v15 dst_sel:DWORD dst_unused:UNUSED_PAD src0_sel:WORD_0
	v_cndmask_b32_e32 v16, v16, v12, vcc
	v_cvt_f32_u32_sdwa v15, v15 dst_sel:DWORD dst_unused:UNUSED_PAD src0_sel:WORD_1
	v_cmp_lt_f32_e32 vcc, v16, v13
	v_cndmask_b32_e32 v16, v16, v13, vcc
	v_cndmask_b32_e32 v17, v17, v38, vcc
	v_cmp_lt_f32_e32 vcc, v16, v14
	v_cndmask_b32_e32 v16, v16, v14, vcc
	v_cndmask_b32_e32 v17, v17, v39, vcc
	v_cmp_lt_f32_e32 vcc, v16, v15
	v_cndmask_b32_e32 v17, v17, v40, vcc
	v_cndmask_b32_e32 v16, v16, v15, vcc
	s_nop 0
	v_mov_b32_dpp v19, v17 quad_perm:[1,0,3,2] row_mask:0xf bank_mask:0xf
	v_mov_b32_dpp v18, v16 quad_perm:[1,0,3,2] row_mask:0xf bank_mask:0xf
	v_cmp_eq_f32_e64 s[2:3], v16, v18
	v_cmp_lt_i32_e64 s[6:7], v19, v17
	v_cmp_lt_f32_e32 vcc, v16, v18
	s_and_b64 s[2:3], s[2:3], s[6:7]
	s_or_b64 vcc, vcc, s[2:3]
	s_cmp_gt_i32 s36, 0
	v_cndmask_b32_e32 v16, v16, v18, vcc
	v_cndmask_b32_e32 v17, v17, v19, vcc
	s_cselect_b64 s[46:47], -1, 0
	s_and_b64 vcc, exec, s[46:47]
	v_mov_b32_dpp v18, v17 quad_perm:[2,3,0,1] row_mask:0xf bank_mask:0xf
	v_mov_b32_dpp v19, v16 quad_perm:[2,3,0,1] row_mask:0xf bank_mask:0xf
	s_cbranch_vccz .LBB270_18
; %bb.7:
	s_load_dwordx4 s[40:43], s[4:5], 0x20
	v_cmp_eq_f32_e64 s[2:3], v16, v19
	v_cmp_lt_i32_e64 s[6:7], v18, v17
	v_cmp_lt_f32_e32 vcc, v16, v19
	s_and_b64 s[2:3], s[2:3], s[6:7]
	s_or_b64 vcc, vcc, s[2:3]
	v_cndmask_b32_e32 v44, v17, v18, vcc
	v_cndmask_b32_e32 v43, v16, v19, vcc
	v_mul_lo_u32 v20, v22, s39
	v_mul_lo_u32 v18, v22, s8
	;; [unrolled: 1-line block ×3, first 2 shown]
	v_mov_b32_e32 v24, 0
	s_and_saveexec_b64 s[4:5], s[0:1]
	s_cbranch_execz .LBB270_9
; %bb.8:
	v_sub_f32_e32 v17, v43, v43
	v_mul_f32_e32 v19, 0x3fb8aa3b, v17
	s_mov_b32 s2, 0x3fb8aa3b
	v_rndne_f32_e32 v21, v19
	v_sub_f32_e32 v24, v19, v21
	v_fma_f32 v19, v17, s2, -v19
	v_fmac_f32_e32 v19, 0x32a5705f, v17
	v_add_f32_e32 v19, v24, v19
	v_exp_f32_e32 v19, v19
	v_cvt_i32_f32_e32 v21, v21
	v_cmp_le_i32_e32 vcc, s37, v44
	v_cmp_gt_i32_e64 s[2:3], s38, v44
	s_mov_b32 s6, 0xc2ce8ed0
	s_and_b64 s[2:3], vcc, s[2:3]
	v_ldexp_f32 v19, v19, v21
	v_cmp_ngt_f32_e32 vcc, s6, v17
	s_mov_b32 s6, 0x42b17218
	v_cndmask_b32_e32 v19, 0, v19, vcc
	v_mov_b32_e32 v21, 0x7f800000
	v_cmp_nlt_f32_e32 vcc, s6, v17
	v_cndmask_b32_e32 v24, v21, v19, vcc
	v_ashrrev_i32_e32 v21, 31, v20
	v_lshlrev_b64 v[46:47], 2, v[20:21]
	v_mov_b32_e32 v17, s35
	v_add_co_u32_e32 v46, vcc, s34, v46
	v_addc_co_u32_e32 v47, vcc, v17, v47, vcc
	v_ashrrev_i32_e32 v19, 31, v18
	global_store_dword v[46:47], v24, off
	v_subrev_u32_e32 v17, s37, v44
	s_and_b64 vcc, s[44:45], s[2:3]
	v_lshlrev_b64 v[46:47], 2, v[18:19]
	v_cndmask_b32_e32 v17, 64, v17, vcc
	s_waitcnt lgkmcnt(0)
	v_mov_b32_e32 v19, s41
	v_add_co_u32_e32 v46, vcc, s40, v46
	v_addc_co_u32_e32 v47, vcc, v19, v47, vcc
	global_store_dword v[46:47], v17, off
	v_ashrrev_i32_e32 v17, 31, v16
	v_lshlrev_b64 v[46:47], 2, v[16:17]
	v_mov_b32_e32 v17, s43
	v_add_co_u32_e32 v46, vcc, s42, v46
	v_addc_co_u32_e32 v47, vcc, v17, v47, vcc
	global_store_dword v[46:47], v22, off
.LBB270_9:
	s_or_b64 exec, exec, s[4:5]
	v_ashrrev_i32_e32 v19, 31, v44
	v_lshrrev_b32_e32 v17, 28, v19
	v_add_u32_e32 v17, v44, v17
	v_ashrrev_i32_e32 v17, 4, v17
	v_lshrrev_b32_e32 v21, 30, v17
	v_add_u32_e32 v21, v17, v21
	v_and_b32_e32 v21, -4, v21
	v_sub_u32_e32 v21, v17, v21
	v_cmp_eq_u32_e32 vcc, v23, v21
	s_and_saveexec_b64 s[48:49], vcc
	s_cbranch_execz .LBB270_11
; %bb.10:
	v_lshrrev_b32_e32 v19, 26, v19
	v_add_u32_e32 v19, v44, v19
	v_lshlrev_b32_e32 v17, 4, v17
	v_sub_u32_e32 v17, v44, v17
	v_ashrrev_i32_e32 v19, 6, v19
	v_lshl_add_u32 v17, v19, 4, v17
	v_mov_b32_e32 v19, 0xff800000
	v_cmp_ne_u32_e32 vcc, 14, v17
	v_cmp_ne_u32_e64 s[2:3], 13, v17
	v_cmp_ne_u32_e64 s[4:5], 12, v17
	;; [unrolled: 1-line block ×15, first 2 shown]
	v_cndmask_b32_e64 v15, v19, v15, s[30:31]
	v_cndmask_b32_e32 v14, v19, v14, vcc
	v_cndmask_b32_e64 v13, v19, v13, s[2:3]
	v_cndmask_b32_e64 v12, v19, v12, s[4:5]
	v_cndmask_b32_e64 v11, v19, v11, s[6:7]
	v_cndmask_b32_e64 v10, v19, v10, s[8:9]
	v_cndmask_b32_e64 v9, v19, v9, s[10:11]
	v_cndmask_b32_e64 v8, v19, v8, s[12:13]
	v_cndmask_b32_e64 v7, v19, v7, s[14:15]
	v_cndmask_b32_e64 v6, v19, v6, s[16:17]
	v_cndmask_b32_e64 v5, v19, v5, s[18:19]
	v_cndmask_b32_e64 v4, v19, v4, s[20:21]
	v_cndmask_b32_e64 v3, v19, v3, s[22:23]
	v_cndmask_b32_e64 v2, v19, v2, s[24:25]
	v_cndmask_b32_e64 v1, v19, v1, s[26:27]
	v_cndmask_b32_e64 v0, v19, v0, s[28:29]
.LBB270_11:
	s_or_b64 exec, exec, s[48:49]
	s_cmp_eq_u32 s36, 1
	s_cbranch_scc1 .LBB270_18
; %bb.12:
	s_add_i32 s50, s50, s33
	s_add_i32 s51, s36, -1
	v_add3_u32 v41, s50, v42, v41
	v_add_u32_e32 v16, 1, v16
	v_add_u32_e32 v18, 1, v18
	;; [unrolled: 1-line block ×3, first 2 shown]
	s_mov_b32 s50, 0x3fb8aa3b
	s_mov_b32 s52, 0xc2ce8ed0
	;; [unrolled: 1-line block ×3, first 2 shown]
	v_mov_b32_e32 v42, 0x7f800000
	v_mov_b32_e32 v44, 0xff800000
	s_branch .LBB270_14
.LBB270_13:                             ;   in Loop: Header=BB270_14 Depth=1
	s_or_b64 exec, exec, s[48:49]
	s_add_i32 s51, s51, -1
	v_add_u32_e32 v41, s33, v41
	v_add_u32_e32 v16, 1, v16
	;; [unrolled: 1-line block ×3, first 2 shown]
	s_cmp_eq_u32 s51, 0
	v_add_u32_e32 v20, 1, v20
	s_cbranch_scc1 .LBB270_18
.LBB270_14:                             ; =>This Inner Loop Header: Depth=1
	v_cmp_gt_f32_e32 vcc, v1, v0
	v_cndmask_b32_e32 v19, v0, v1, vcc
	v_cndmask_b32_e32 v17, v25, v26, vcc
	v_cmp_gt_f32_e32 vcc, v2, v19
	v_cndmask_b32_e32 v19, v19, v2, vcc
	v_cndmask_b32_e32 v17, v17, v27, vcc
	;; [unrolled: 3-line block ×15, first 2 shown]
	s_nop 0
	v_mov_b32_dpp v45, v21 quad_perm:[1,0,3,2] row_mask:0xf bank_mask:0xf
	v_mov_b32_dpp v19, v17 quad_perm:[1,0,3,2] row_mask:0xf bank_mask:0xf
	v_cmp_eq_f32_e64 s[2:3], v17, v19
	v_cmp_lt_i32_e64 s[4:5], v45, v21
	v_cmp_lt_f32_e32 vcc, v17, v19
	s_and_b64 s[2:3], s[2:3], s[4:5]
	s_or_b64 vcc, vcc, s[2:3]
	v_cndmask_b32_e32 v17, v17, v19, vcc
	v_cndmask_b32_e32 v21, v21, v45, vcc
	s_nop 0
	v_mov_b32_dpp v19, v17 quad_perm:[2,3,0,1] row_mask:0xf bank_mask:0xf
	v_mov_b32_dpp v45, v21 quad_perm:[2,3,0,1] row_mask:0xf bank_mask:0xf
	v_cmp_eq_f32_e64 s[2:3], v17, v19
	v_cmp_lt_i32_e64 s[4:5], v45, v21
	v_cmp_lt_f32_e32 vcc, v17, v19
	s_and_b64 s[2:3], s[2:3], s[4:5]
	s_or_b64 vcc, vcc, s[2:3]
	v_cndmask_b32_e32 v45, v21, v45, vcc
	s_and_saveexec_b64 s[4:5], s[0:1]
	s_cbranch_execz .LBB270_16
; %bb.15:                               ;   in Loop: Header=BB270_14 Depth=1
	v_cndmask_b32_e32 v17, v17, v19, vcc
	v_sub_f32_e32 v17, v17, v43
	v_mul_f32_e32 v19, 0x3fb8aa3b, v17
	v_fma_f32 v21, v17, s50, -v19
	v_rndne_f32_e32 v46, v19
	v_fmac_f32_e32 v21, 0x32a5705f, v17
	v_sub_f32_e32 v19, v19, v46
	v_add_f32_e32 v19, v19, v21
	v_exp_f32_e32 v19, v19
	v_cvt_i32_f32_e32 v21, v46
	v_cmp_le_i32_e32 vcc, s37, v45
	v_cmp_gt_i32_e64 s[2:3], s38, v45
	s_and_b64 s[2:3], vcc, s[2:3]
	v_ldexp_f32 v19, v19, v21
	v_cmp_ngt_f32_e32 vcc, s52, v17
	v_ashrrev_i32_e32 v21, 31, v20
	v_cndmask_b32_e32 v19, 0, v19, vcc
	v_cmp_nlt_f32_e32 vcc, s53, v17
	v_lshlrev_b64 v[46:47], 2, v[20:21]
	v_cndmask_b32_e32 v48, v42, v19, vcc
	v_mov_b32_e32 v17, s35
	v_add_co_u32_e32 v46, vcc, s34, v46
	v_addc_co_u32_e32 v47, vcc, v17, v47, vcc
	v_ashrrev_i32_e32 v19, 31, v18
	global_store_dword v[46:47], v48, off
	v_subrev_u32_e32 v17, s37, v45
	s_and_b64 vcc, s[44:45], s[2:3]
	v_lshlrev_b64 v[46:47], 2, v[18:19]
	v_cndmask_b32_e32 v17, 64, v17, vcc
	s_waitcnt lgkmcnt(0)
	v_mov_b32_e32 v19, s41
	v_add_co_u32_e32 v46, vcc, s40, v46
	v_addc_co_u32_e32 v47, vcc, v19, v47, vcc
	global_store_dword v[46:47], v17, off
	v_ashrrev_i32_e32 v17, 31, v16
	v_lshlrev_b64 v[46:47], 2, v[16:17]
	v_mov_b32_e32 v17, s43
	v_add_co_u32_e32 v46, vcc, s42, v46
	v_addc_co_u32_e32 v47, vcc, v17, v47, vcc
	v_add_f32_e32 v24, v24, v48
	global_store_dword v[46:47], v41, off
.LBB270_16:                             ;   in Loop: Header=BB270_14 Depth=1
	s_or_b64 exec, exec, s[4:5]
	v_ashrrev_i32_e32 v19, 31, v45
	v_lshrrev_b32_e32 v17, 28, v19
	v_add_u32_e32 v17, v45, v17
	v_ashrrev_i32_e32 v17, 4, v17
	v_lshrrev_b32_e32 v21, 30, v17
	v_add_u32_e32 v21, v17, v21
	v_and_b32_e32 v21, -4, v21
	v_sub_u32_e32 v21, v17, v21
	v_cmp_eq_u32_e32 vcc, v23, v21
	s_and_saveexec_b64 s[48:49], vcc
	s_cbranch_execz .LBB270_13
; %bb.17:                               ;   in Loop: Header=BB270_14 Depth=1
	v_lshrrev_b32_e32 v19, 26, v19
	v_add_u32_e32 v19, v45, v19
	v_lshlrev_b32_e32 v17, 4, v17
	v_sub_u32_e32 v17, v45, v17
	v_ashrrev_i32_e32 v19, 6, v19
	v_lshl_add_u32 v17, v19, 4, v17
	v_cmp_ne_u32_e32 vcc, 14, v17
	v_cmp_ne_u32_e64 s[2:3], 13, v17
	v_cmp_ne_u32_e64 s[4:5], 12, v17
	;; [unrolled: 1-line block ×15, first 2 shown]
	v_cndmask_b32_e64 v15, v44, v15, s[30:31]
	v_cndmask_b32_e32 v14, v44, v14, vcc
	v_cndmask_b32_e64 v13, v44, v13, s[2:3]
	v_cndmask_b32_e64 v12, v44, v12, s[4:5]
	v_cndmask_b32_e64 v11, v44, v11, s[6:7]
	v_cndmask_b32_e64 v10, v44, v10, s[8:9]
	v_cndmask_b32_e64 v9, v44, v9, s[10:11]
	v_cndmask_b32_e64 v8, v44, v8, s[12:13]
	v_cndmask_b32_e64 v7, v44, v7, s[14:15]
	v_cndmask_b32_e64 v6, v44, v6, s[16:17]
	v_cndmask_b32_e64 v5, v44, v5, s[18:19]
	v_cndmask_b32_e64 v4, v44, v4, s[20:21]
	v_cndmask_b32_e64 v3, v44, v3, s[22:23]
	v_cndmask_b32_e64 v2, v44, v2, s[24:25]
	v_cndmask_b32_e64 v1, v44, v1, s[26:27]
	v_cndmask_b32_e64 v0, v44, v0, s[28:29]
	s_branch .LBB270_13
.LBB270_18:
	v_cmp_neq_f32_e32 vcc, 0, v24
	s_and_b64 s[0:1], s[0:1], vcc
	s_and_b64 exec, exec, s[0:1]
	s_cbranch_execz .LBB270_29
; %bb.19:
	s_andn2_b64 vcc, exec, s[46:47]
	s_cbranch_vccnz .LBB270_29
; %bb.20:
	v_div_scale_f32 v0, s[0:1], v24, v24, 1.0
	v_rcp_f32_e32 v1, v0
	v_div_scale_f32 v2, vcc, 1.0, v24, 1.0
	s_cmp_gt_u32 s36, 3
	v_fma_f32 v3, -v0, v1, 1.0
	v_fmac_f32_e32 v1, v3, v1
	v_mul_f32_e32 v3, v2, v1
	v_fma_f32 v4, -v0, v3, v2
	v_fmac_f32_e32 v3, v4, v1
	v_fma_f32 v0, -v0, v3, v2
	v_div_fmas_f32 v0, v0, v1, v3
	v_mul_lo_u32 v2, v22, s39
	v_div_fixup_f32 v0, v0, v24, 1.0
	v_ashrrev_i32_e32 v3, 31, v2
	s_cbranch_scc0 .LBB270_24
; %bb.21:
	v_lshlrev_b64 v[4:5], 2, v[2:3]
	v_mov_b32_e32 v6, s35
	v_add_co_u32_e32 v4, vcc, s34, v4
	v_addc_co_u32_e32 v5, vcc, v5, v6, vcc
	s_and_b32 s4, s36, 0x7ffffffc
	v_add_co_u32_e32 v4, vcc, 8, v4
	v_mov_b32_e32 v1, v0
	v_addc_co_u32_e32 v5, vcc, 0, v5, vcc
	s_mov_b32 s0, s4
.LBB270_22:                             ; =>This Inner Loop Header: Depth=1
	global_load_dwordx4 v[6:9], v[4:5], off offset:-8
	s_add_i32 s0, s0, -4
	s_cmp_lg_u32 s0, 0
	s_waitcnt vmcnt(0)
	v_pk_mul_f32 v[6:7], v[0:1], v[6:7]
	v_pk_mul_f32 v[8:9], v[0:1], v[8:9]
	global_store_dwordx4 v[4:5], v[6:9], off offset:-8
	v_add_co_u32_e32 v4, vcc, 16, v4
	v_addc_co_u32_e32 v5, vcc, 0, v5, vcc
	s_cbranch_scc1 .LBB270_22
; %bb.23:
	s_cmp_lg_u32 s4, s36
	s_cselect_b64 s[0:1], -1, 0
	s_branch .LBB270_26
.LBB270_24:
	s_mov_b64 s[0:1], 0
                                        ; implicit-def: $sgpr4
	s_cbranch_execz .LBB270_26
; %bb.25:
	s_mov_b64 s[0:1], -1
	s_mov_b32 s4, 0
.LBB270_26:
	s_andn2_b64 vcc, exec, s[0:1]
	s_cbranch_vccnz .LBB270_29
; %bb.27:
	v_add_co_u32_e32 v2, vcc, s4, v2
	v_addc_co_u32_e32 v3, vcc, 0, v3, vcc
	v_lshlrev_b64 v[2:3], 2, v[2:3]
	v_mov_b32_e32 v1, s35
	v_add_co_u32_e32 v2, vcc, s34, v2
	s_sub_i32 s0, s36, s4
	v_addc_co_u32_e32 v3, vcc, v1, v3, vcc
.LBB270_28:                             ; =>This Inner Loop Header: Depth=1
	global_load_dword v1, v[2:3], off
	s_add_i32 s0, s0, -1
	s_cmp_lg_u32 s0, 0
	s_waitcnt vmcnt(0)
	v_mul_f32_e32 v1, v0, v1
	global_store_dword v[2:3], v1, off
	v_add_co_u32_e32 v2, vcc, 4, v2
	v_addc_co_u32_e32 v3, vcc, 0, v3, vcc
	s_cbranch_scc1 .LBB270_28
.LBB270_29:
	s_endpgm
	.section	.rodata,"a",@progbits
	.p2align	6, 0x0
	.amdhsa_kernel _ZN4vllm3moe17topkGatingSoftmaxItLi16ELi64ELi8ELi32ELb1ELi1ELNS0_23SharedExpertScoringFuncE1EEEvPKT_PKbPfiPiS9_iiiiii
		.amdhsa_group_segment_fixed_size 0
		.amdhsa_private_segment_fixed_size 0
		.amdhsa_kernarg_size 72
		.amdhsa_user_sgpr_count 6
		.amdhsa_user_sgpr_private_segment_buffer 1
		.amdhsa_user_sgpr_dispatch_ptr 0
		.amdhsa_user_sgpr_queue_ptr 0
		.amdhsa_user_sgpr_kernarg_segment_ptr 1
		.amdhsa_user_sgpr_dispatch_id 0
		.amdhsa_user_sgpr_flat_scratch_init 0
		.amdhsa_user_sgpr_kernarg_preload_length 0
		.amdhsa_user_sgpr_kernarg_preload_offset 0
		.amdhsa_user_sgpr_private_segment_size 0
		.amdhsa_uses_dynamic_stack 0
		.amdhsa_system_sgpr_private_segment_wavefront_offset 0
		.amdhsa_system_sgpr_workgroup_id_x 1
		.amdhsa_system_sgpr_workgroup_id_y 0
		.amdhsa_system_sgpr_workgroup_id_z 0
		.amdhsa_system_sgpr_workgroup_info 0
		.amdhsa_system_vgpr_workitem_id 1
		.amdhsa_next_free_vgpr 49
		.amdhsa_next_free_sgpr 54
		.amdhsa_accum_offset 52
		.amdhsa_reserve_vcc 1
		.amdhsa_reserve_flat_scratch 0
		.amdhsa_float_round_mode_32 0
		.amdhsa_float_round_mode_16_64 0
		.amdhsa_float_denorm_mode_32 3
		.amdhsa_float_denorm_mode_16_64 3
		.amdhsa_dx10_clamp 1
		.amdhsa_ieee_mode 1
		.amdhsa_fp16_overflow 0
		.amdhsa_tg_split 0
		.amdhsa_exception_fp_ieee_invalid_op 0
		.amdhsa_exception_fp_denorm_src 0
		.amdhsa_exception_fp_ieee_div_zero 0
		.amdhsa_exception_fp_ieee_overflow 0
		.amdhsa_exception_fp_ieee_underflow 0
		.amdhsa_exception_fp_ieee_inexact 0
		.amdhsa_exception_int_div_zero 0
	.end_amdhsa_kernel
	.section	.text._ZN4vllm3moe17topkGatingSoftmaxItLi16ELi64ELi8ELi32ELb1ELi1ELNS0_23SharedExpertScoringFuncE1EEEvPKT_PKbPfiPiS9_iiiiii,"axG",@progbits,_ZN4vllm3moe17topkGatingSoftmaxItLi16ELi64ELi8ELi32ELb1ELi1ELNS0_23SharedExpertScoringFuncE1EEEvPKT_PKbPfiPiS9_iiiiii,comdat
.Lfunc_end270:
	.size	_ZN4vllm3moe17topkGatingSoftmaxItLi16ELi64ELi8ELi32ELb1ELi1ELNS0_23SharedExpertScoringFuncE1EEEvPKT_PKbPfiPiS9_iiiiii, .Lfunc_end270-_ZN4vllm3moe17topkGatingSoftmaxItLi16ELi64ELi8ELi32ELb1ELi1ELNS0_23SharedExpertScoringFuncE1EEEvPKT_PKbPfiPiS9_iiiiii
                                        ; -- End function
	.section	.AMDGPU.csdata,"",@progbits
; Kernel info:
; codeLenInByte = 2872
; NumSgprs: 58
; NumVgprs: 49
; NumAgprs: 0
; TotalNumVgprs: 49
; ScratchSize: 0
; MemoryBound: 0
; FloatMode: 240
; IeeeMode: 1
; LDSByteSize: 0 bytes/workgroup (compile time only)
; SGPRBlocks: 7
; VGPRBlocks: 6
; NumSGPRsForWavesPerEU: 58
; NumVGPRsForWavesPerEU: 49
; AccumOffset: 52
; Occupancy: 8
; WaveLimiterHint : 0
; COMPUTE_PGM_RSRC2:SCRATCH_EN: 0
; COMPUTE_PGM_RSRC2:USER_SGPR: 6
; COMPUTE_PGM_RSRC2:TRAP_HANDLER: 0
; COMPUTE_PGM_RSRC2:TGID_X_EN: 1
; COMPUTE_PGM_RSRC2:TGID_Y_EN: 0
; COMPUTE_PGM_RSRC2:TGID_Z_EN: 0
; COMPUTE_PGM_RSRC2:TIDIG_COMP_CNT: 1
; COMPUTE_PGM_RSRC3_GFX90A:ACCUM_OFFSET: 12
; COMPUTE_PGM_RSRC3_GFX90A:TG_SPLIT: 0
	.section	.text._ZN4vllm3moe17topkGatingSoftmaxItLi16ELi64ELi8ELi32ELb0ELi1ELNS0_23SharedExpertScoringFuncE1EEEvPKT_PKbPfiPiS9_iiiiii,"axG",@progbits,_ZN4vllm3moe17topkGatingSoftmaxItLi16ELi64ELi8ELi32ELb0ELi1ELNS0_23SharedExpertScoringFuncE1EEEvPKT_PKbPfiPiS9_iiiiii,comdat
	.protected	_ZN4vllm3moe17topkGatingSoftmaxItLi16ELi64ELi8ELi32ELb0ELi1ELNS0_23SharedExpertScoringFuncE1EEEvPKT_PKbPfiPiS9_iiiiii ; -- Begin function _ZN4vllm3moe17topkGatingSoftmaxItLi16ELi64ELi8ELi32ELb0ELi1ELNS0_23SharedExpertScoringFuncE1EEEvPKT_PKbPfiPiS9_iiiiii
	.globl	_ZN4vllm3moe17topkGatingSoftmaxItLi16ELi64ELi8ELi32ELb0ELi1ELNS0_23SharedExpertScoringFuncE1EEEvPKT_PKbPfiPiS9_iiiiii
	.p2align	8
	.type	_ZN4vllm3moe17topkGatingSoftmaxItLi16ELi64ELi8ELi32ELb0ELi1ELNS0_23SharedExpertScoringFuncE1EEEvPKT_PKbPfiPiS9_iiiiii,@function
_ZN4vllm3moe17topkGatingSoftmaxItLi16ELi64ELi8ELi32ELb0ELi1ELNS0_23SharedExpertScoringFuncE1EEEvPKT_PKbPfiPiS9_iiiiii: ; @_ZN4vllm3moe17topkGatingSoftmaxItLi16ELi64ELi8ELi32ELb0ELi1ELNS0_23SharedExpertScoringFuncE1EEEvPKT_PKbPfiPiS9_iiiiii
; %bb.0:
	s_load_dword s33, s[4:5], 0x18
	v_bfe_u32 v1, v0, 10, 10
	v_and_b32_e32 v2, 0x3ff, v0
	s_lshl_b32 s50, s6, 7
	v_lshlrev_b32_e32 v40, 4, v1
	v_lshrrev_b32_e32 v42, 2, v2
	v_add3_u32 v22, s50, v40, v42
	s_waitcnt lgkmcnt(0)
	v_cmp_gt_i32_e32 vcc, s33, v22
	s_and_saveexec_b64 s[0:1], vcc
	s_cbranch_execz .LBB271_31
; %bb.1:
	s_load_dwordx4 s[0:3], s[4:5], 0x0
	s_load_dwordx2 s[34:35], s[4:5], 0x10
	s_waitcnt lgkmcnt(0)
	s_cmp_eq_u64 s[2:3], 0
	s_cbranch_scc1 .LBB271_3
; %bb.2:
	v_ashrrev_i32_e32 v1, 31, v22
	v_mov_b32_e32 v3, s3
	v_add_co_u32_e32 v0, vcc, s2, v22
	v_addc_co_u32_e32 v1, vcc, v3, v1, vcc
	global_load_ubyte v0, v[0:1], off
	s_waitcnt vmcnt(0)
	v_and_b32_e32 v0, 1, v0
	v_cmp_eq_u32_e32 vcc, 1, v0
	s_xor_b64 s[2:3], vcc, -1
	s_orn2_b64 s[46:47], s[2:3], exec
	s_branch .LBB271_4
.LBB271_3:
	s_mov_b64 s[46:47], -1
.LBB271_4:
	s_load_dwordx2 s[8:9], s[4:5], 0x40
	s_load_dwordx4 s[36:39], s[4:5], 0x30
	v_mov_b32_e32 v3, s1
	v_and_b32_e32 v25, 3, v2
	v_lshlrev_b32_e32 v2, 5, v25
	s_waitcnt lgkmcnt(0)
	v_mul_lo_u32 v0, v22, s9
	v_ashrrev_i32_e32 v1, 31, v0
	v_lshlrev_b64 v[0:1], 1, v[0:1]
	v_add_co_u32_e32 v0, vcc, s0, v0
	v_addc_co_u32_e32 v1, vcc, v3, v1, vcc
	v_add_co_u32_e32 v2, vcc, v0, v2
	v_addc_co_u32_e32 v3, vcc, 0, v1, vcc
	global_load_dwordx4 v[12:15], v[2:3], off offset:16
	global_load_dwordx4 v[4:7], v[2:3], off
	v_lshlrev_b32_e32 v26, 4, v25
	v_mov_b32_e32 v23, 0
	v_cmp_eq_u32_e64 s[0:1], 0, v25
	s_and_saveexec_b64 s[2:3], s[0:1]
	s_cbranch_execz .LBB271_6
; %bb.5:
	global_load_ushort v0, v[0:1], off offset:128
	s_mov_b32 s6, 0xbfb8aa3b
	s_mov_b32 s7, 0x42ce8ed0
	;; [unrolled: 1-line block ×3, first 2 shown]
	v_mov_b32_e32 v3, 0x7f800000
	v_mov_b32_e32 v10, s35
	s_waitcnt vmcnt(0)
	v_cvt_f32_u32_e32 v2, v0
	v_mul_lo_u32 v0, v22, s39
	v_add_u32_e32 v0, s36, v0
	v_mul_f32_e32 v1, 0xbfb8aa3b, v2
	v_rndne_f32_e32 v8, v1
	v_fma_f32 v9, v2, s6, -v1
	v_sub_f32_e32 v1, v1, v8
	v_fmac_f32_e32 v9, 0xb2a5705f, v2
	v_add_f32_e32 v1, v1, v9
	v_cvt_i32_f32_e32 v8, v8
	v_exp_f32_e32 v9, v1
	v_cmp_nlt_f32_e32 vcc, s7, v2
	v_ashrrev_i32_e32 v1, 31, v0
	v_lshlrev_b64 v[0:1], 2, v[0:1]
	v_ldexp_f32 v8, v9, v8
	v_cndmask_b32_e32 v8, 0, v8, vcc
	v_cmp_ngt_f32_e32 vcc, s9, v2
	v_cndmask_b32_e32 v2, v3, v8, vcc
	v_add_f32_e32 v2, 1.0, v2
	v_div_scale_f32 v3, s[6:7], v2, v2, 1.0
	v_rcp_f32_e32 v8, v3
	v_div_scale_f32 v9, vcc, 1.0, v2, 1.0
	v_fma_f32 v11, -v3, v8, 1.0
	v_fmac_f32_e32 v8, v11, v8
	v_mul_f32_e32 v11, v9, v8
	v_fma_f32 v16, -v3, v11, v9
	v_fmac_f32_e32 v11, v16, v8
	v_fma_f32 v3, -v3, v11, v9
	v_div_fmas_f32 v3, v3, v8, v11
	v_add_co_u32_e32 v0, vcc, s34, v0
	v_div_fixup_f32 v2, v3, v2, 1.0
	v_addc_co_u32_e32 v1, vcc, v10, v1, vcc
	global_store_dword v[0:1], v2, off
.LBB271_6:
	s_or_b64 exec, exec, s[2:3]
	s_waitcnt vmcnt(0)
	v_cvt_f32_u32_sdwa v1, v4 dst_sel:DWORD dst_unused:UNUSED_PAD src0_sel:WORD_1
	v_cvt_f32_u32_sdwa v0, v4 dst_sel:DWORD dst_unused:UNUSED_PAD src0_sel:WORD_0
	v_cvt_f32_u32_sdwa v2, v5 dst_sel:DWORD dst_unused:UNUSED_PAD src0_sel:WORD_0
	v_or_b32_e32 v27, 1, v26
	v_or_b32_e32 v28, 2, v26
	v_cmp_lt_f32_e32 vcc, v0, v1
	v_cndmask_b32_e32 v4, v0, v1, vcc
	v_cndmask_b32_e32 v3, v26, v27, vcc
	v_cmp_lt_f32_e32 vcc, v4, v2
	v_cndmask_b32_e32 v8, v3, v28, vcc
	v_cvt_f32_u32_sdwa v3, v5 dst_sel:DWORD dst_unused:UNUSED_PAD src0_sel:WORD_1
	v_cndmask_b32_e32 v4, v4, v2, vcc
	v_or_b32_e32 v29, 3, v26
	v_or_b32_e32 v30, 4, v26
	v_cmp_lt_f32_e32 vcc, v4, v3
	v_cndmask_b32_e32 v5, v8, v29, vcc
	v_cndmask_b32_e32 v8, v4, v3, vcc
	v_cvt_f32_u32_sdwa v4, v6 dst_sel:DWORD dst_unused:UNUSED_PAD src0_sel:WORD_0
	v_or_b32_e32 v31, 5, v26
	v_or_b32_e32 v32, 6, v26
	;; [unrolled: 1-line block ×3, first 2 shown]
	v_cmp_lt_f32_e32 vcc, v8, v4
	v_cndmask_b32_e32 v9, v5, v30, vcc
	v_cvt_f32_u32_sdwa v5, v6 dst_sel:DWORD dst_unused:UNUSED_PAD src0_sel:WORD_1
	v_cvt_f32_u32_sdwa v6, v7 dst_sel:DWORD dst_unused:UNUSED_PAD src0_sel:WORD_0
	v_cndmask_b32_e32 v8, v8, v4, vcc
	v_cvt_f32_u32_sdwa v7, v7 dst_sel:DWORD dst_unused:UNUSED_PAD src0_sel:WORD_1
	v_cmp_lt_f32_e32 vcc, v8, v5
	v_cndmask_b32_e32 v8, v8, v5, vcc
	v_cndmask_b32_e32 v9, v9, v31, vcc
	v_cmp_lt_f32_e32 vcc, v8, v6
	v_cndmask_b32_e32 v8, v8, v6, vcc
	v_cndmask_b32_e32 v9, v9, v32, vcc
	v_cmp_lt_f32_e32 vcc, v8, v7
	v_cndmask_b32_e32 v10, v8, v7, vcc
	v_cvt_f32_u32_sdwa v8, v12 dst_sel:DWORD dst_unused:UNUSED_PAD src0_sel:WORD_0
	v_cndmask_b32_e32 v9, v9, v33, vcc
	v_or_b32_e32 v34, 8, v26
	v_or_b32_e32 v35, 9, v26
	v_cmp_lt_f32_e32 vcc, v10, v8
	v_cndmask_b32_e32 v11, v9, v34, vcc
	v_cvt_f32_u32_sdwa v9, v12 dst_sel:DWORD dst_unused:UNUSED_PAD src0_sel:WORD_1
	v_cndmask_b32_e32 v10, v10, v8, vcc
	v_or_b32_e32 v36, 10, v26
	v_or_b32_e32 v37, 11, v26
	v_cmp_lt_f32_e32 vcc, v10, v9
	v_cndmask_b32_e32 v12, v10, v9, vcc
	v_cvt_f32_u32_sdwa v10, v13 dst_sel:DWORD dst_unused:UNUSED_PAD src0_sel:WORD_0
	v_cndmask_b32_e32 v11, v11, v35, vcc
	v_or_b32_e32 v38, 12, v26
	v_or_b32_e32 v39, 13, v26
	v_cmp_lt_f32_e32 vcc, v12, v10
	v_cndmask_b32_e32 v16, v11, v36, vcc
	v_cvt_f32_u32_sdwa v11, v13 dst_sel:DWORD dst_unused:UNUSED_PAD src0_sel:WORD_1
	v_cndmask_b32_e32 v12, v12, v10, vcc
	v_or_b32_e32 v41, 14, v26
	v_or_b32_e32 v43, 15, v26
	v_cmp_lt_f32_e32 vcc, v12, v11
	v_cndmask_b32_e32 v13, v16, v37, vcc
	v_cndmask_b32_e32 v16, v12, v11, vcc
	v_cvt_f32_u32_sdwa v12, v14 dst_sel:DWORD dst_unused:UNUSED_PAD src0_sel:WORD_0
	v_cmp_lt_f32_e32 vcc, v16, v12
	v_cndmask_b32_e32 v17, v13, v38, vcc
	v_cvt_f32_u32_sdwa v13, v14 dst_sel:DWORD dst_unused:UNUSED_PAD src0_sel:WORD_1
	v_cvt_f32_u32_sdwa v14, v15 dst_sel:DWORD dst_unused:UNUSED_PAD src0_sel:WORD_0
	v_cndmask_b32_e32 v16, v16, v12, vcc
	v_cvt_f32_u32_sdwa v15, v15 dst_sel:DWORD dst_unused:UNUSED_PAD src0_sel:WORD_1
	v_cmp_lt_f32_e32 vcc, v16, v13
	v_cndmask_b32_e32 v16, v16, v13, vcc
	v_cndmask_b32_e32 v17, v17, v39, vcc
	v_cmp_lt_f32_e32 vcc, v16, v14
	v_cndmask_b32_e32 v16, v16, v14, vcc
	v_cndmask_b32_e32 v17, v17, v41, vcc
	;; [unrolled: 3-line block ×3, first 2 shown]
	s_nop 0
	v_mov_b32_dpp v19, v17 quad_perm:[1,0,3,2] row_mask:0xf bank_mask:0xf
	v_mov_b32_dpp v18, v16 quad_perm:[1,0,3,2] row_mask:0xf bank_mask:0xf
	v_cmp_eq_f32_e64 s[2:3], v16, v18
	v_cmp_lt_i32_e64 s[6:7], v19, v17
	v_cmp_lt_f32_e32 vcc, v16, v18
	s_and_b64 s[2:3], s[2:3], s[6:7]
	s_or_b64 vcc, vcc, s[2:3]
	v_cndmask_b32_e32 v18, v16, v18, vcc
	v_cndmask_b32_e32 v16, v17, v19, vcc
	s_nop 0
	v_mov_b32_dpp v19, v18 quad_perm:[2,3,0,1] row_mask:0xf bank_mask:0xf
	v_mov_b32_dpp v17, v16 quad_perm:[2,3,0,1] row_mask:0xf bank_mask:0xf
	v_cmp_eq_f32_e64 s[2:3], v18, v19
	v_cmp_lt_i32_e64 s[6:7], v17, v16
	v_cmp_lt_f32_e32 vcc, v18, v19
	s_and_b64 s[2:3], s[2:3], s[6:7]
	s_or_b64 s[2:3], vcc, s[2:3]
	s_cmp_gt_i32 s36, 0
	s_cselect_b64 s[44:45], -1, 0
	v_cndmask_b32_e64 v24, v18, v19, s[2:3]
	s_and_b64 vcc, exec, s[44:45]
	s_cbranch_vccz .LBB271_18
; %bb.7:
	s_load_dwordx4 s[40:43], s[4:5], 0x20
	v_cndmask_b32_e64 v44, v16, v17, s[2:3]
	v_mul_lo_u32 v20, v22, s39
	v_mul_lo_u32 v18, v22, s8
	;; [unrolled: 1-line block ×3, first 2 shown]
	v_mov_b32_e32 v23, 0
	s_and_saveexec_b64 s[4:5], s[0:1]
	s_cbranch_execz .LBB271_9
; %bb.8:
	v_sub_f32_e32 v17, v24, v24
	v_mul_f32_e32 v19, 0x3fb8aa3b, v17
	s_mov_b32 s2, 0x3fb8aa3b
	v_rndne_f32_e32 v21, v19
	v_sub_f32_e32 v23, v19, v21
	v_fma_f32 v19, v17, s2, -v19
	v_fmac_f32_e32 v19, 0x32a5705f, v17
	v_add_f32_e32 v19, v23, v19
	v_exp_f32_e32 v19, v19
	v_cvt_i32_f32_e32 v21, v21
	v_cmp_le_i32_e32 vcc, s37, v44
	v_cmp_gt_i32_e64 s[2:3], s38, v44
	s_mov_b32 s6, 0xc2ce8ed0
	s_and_b64 s[2:3], vcc, s[2:3]
	v_ldexp_f32 v19, v19, v21
	v_cmp_ngt_f32_e32 vcc, s6, v17
	s_mov_b32 s6, 0x42b17218
	v_cndmask_b32_e32 v19, 0, v19, vcc
	v_mov_b32_e32 v21, 0x7f800000
	v_cmp_nlt_f32_e32 vcc, s6, v17
	v_cndmask_b32_e32 v23, v21, v19, vcc
	v_ashrrev_i32_e32 v21, 31, v20
	v_lshlrev_b64 v[46:47], 2, v[20:21]
	v_mov_b32_e32 v17, s35
	v_add_co_u32_e32 v46, vcc, s34, v46
	v_addc_co_u32_e32 v47, vcc, v17, v47, vcc
	v_ashrrev_i32_e32 v19, 31, v18
	global_store_dword v[46:47], v23, off
	v_subrev_u32_e32 v17, s37, v44
	s_and_b64 vcc, s[46:47], s[2:3]
	v_lshlrev_b64 v[46:47], 2, v[18:19]
	v_cndmask_b32_e32 v17, 64, v17, vcc
	s_waitcnt lgkmcnt(0)
	v_mov_b32_e32 v19, s41
	v_add_co_u32_e32 v46, vcc, s40, v46
	v_addc_co_u32_e32 v47, vcc, v19, v47, vcc
	global_store_dword v[46:47], v17, off
	v_ashrrev_i32_e32 v17, 31, v16
	v_lshlrev_b64 v[46:47], 2, v[16:17]
	v_mov_b32_e32 v17, s43
	v_add_co_u32_e32 v46, vcc, s42, v46
	v_addc_co_u32_e32 v47, vcc, v17, v47, vcc
	global_store_dword v[46:47], v22, off
.LBB271_9:
	s_or_b64 exec, exec, s[4:5]
	v_ashrrev_i32_e32 v19, 31, v44
	v_lshrrev_b32_e32 v17, 28, v19
	v_add_u32_e32 v17, v44, v17
	v_ashrrev_i32_e32 v17, 4, v17
	v_lshrrev_b32_e32 v21, 30, v17
	v_add_u32_e32 v21, v17, v21
	v_and_b32_e32 v21, -4, v21
	v_sub_u32_e32 v21, v17, v21
	v_cmp_eq_u32_e32 vcc, v25, v21
	s_and_saveexec_b64 s[48:49], vcc
	s_cbranch_execz .LBB271_11
; %bb.10:
	v_lshrrev_b32_e32 v19, 26, v19
	v_add_u32_e32 v19, v44, v19
	v_lshlrev_b32_e32 v17, 4, v17
	v_sub_u32_e32 v17, v44, v17
	v_ashrrev_i32_e32 v19, 6, v19
	v_lshl_add_u32 v17, v19, 4, v17
	v_mov_b32_e32 v19, 0xff800000
	v_cmp_ne_u32_e32 vcc, 14, v17
	v_cmp_ne_u32_e64 s[2:3], 13, v17
	v_cmp_ne_u32_e64 s[4:5], 12, v17
	;; [unrolled: 1-line block ×15, first 2 shown]
	v_cndmask_b32_e64 v15, v19, v15, s[30:31]
	v_cndmask_b32_e32 v14, v19, v14, vcc
	v_cndmask_b32_e64 v13, v19, v13, s[2:3]
	v_cndmask_b32_e64 v12, v19, v12, s[4:5]
	;; [unrolled: 1-line block ×14, first 2 shown]
.LBB271_11:
	s_or_b64 exec, exec, s[48:49]
	s_cmp_eq_u32 s36, 1
	s_cbranch_scc1 .LBB271_18
; %bb.12:
	s_add_i32 s50, s50, s33
	s_add_i32 s51, s36, -1
	v_add3_u32 v40, s50, v42, v40
	v_add_u32_e32 v16, 1, v16
	v_add_u32_e32 v18, 1, v18
	;; [unrolled: 1-line block ×3, first 2 shown]
	s_mov_b32 s50, 0x3fb8aa3b
	s_mov_b32 s52, 0xc2ce8ed0
	s_mov_b32 s53, 0x42b17218
	v_mov_b32_e32 v42, 0x7f800000
	v_mov_b32_e32 v44, 0xff800000
	s_branch .LBB271_14
.LBB271_13:                             ;   in Loop: Header=BB271_14 Depth=1
	s_or_b64 exec, exec, s[48:49]
	s_add_i32 s51, s51, -1
	v_add_u32_e32 v40, s33, v40
	v_add_u32_e32 v16, 1, v16
	;; [unrolled: 1-line block ×3, first 2 shown]
	s_cmp_eq_u32 s51, 0
	v_add_u32_e32 v20, 1, v20
	s_cbranch_scc1 .LBB271_18
.LBB271_14:                             ; =>This Inner Loop Header: Depth=1
	v_cmp_gt_f32_e32 vcc, v1, v0
	v_cndmask_b32_e32 v19, v0, v1, vcc
	v_cndmask_b32_e32 v17, v26, v27, vcc
	v_cmp_gt_f32_e32 vcc, v2, v19
	v_cndmask_b32_e32 v19, v19, v2, vcc
	v_cndmask_b32_e32 v17, v17, v28, vcc
	;; [unrolled: 3-line block ×15, first 2 shown]
	s_nop 0
	v_mov_b32_dpp v45, v21 quad_perm:[1,0,3,2] row_mask:0xf bank_mask:0xf
	v_mov_b32_dpp v19, v17 quad_perm:[1,0,3,2] row_mask:0xf bank_mask:0xf
	v_cmp_eq_f32_e64 s[2:3], v17, v19
	v_cmp_lt_i32_e64 s[4:5], v45, v21
	v_cmp_lt_f32_e32 vcc, v17, v19
	s_and_b64 s[2:3], s[2:3], s[4:5]
	s_or_b64 vcc, vcc, s[2:3]
	v_cndmask_b32_e32 v17, v17, v19, vcc
	v_cndmask_b32_e32 v21, v21, v45, vcc
	s_nop 0
	v_mov_b32_dpp v19, v17 quad_perm:[2,3,0,1] row_mask:0xf bank_mask:0xf
	v_mov_b32_dpp v45, v21 quad_perm:[2,3,0,1] row_mask:0xf bank_mask:0xf
	v_cmp_eq_f32_e64 s[2:3], v17, v19
	v_cmp_lt_i32_e64 s[4:5], v45, v21
	v_cmp_lt_f32_e32 vcc, v17, v19
	s_and_b64 s[2:3], s[2:3], s[4:5]
	s_or_b64 vcc, vcc, s[2:3]
	v_cndmask_b32_e32 v45, v21, v45, vcc
	s_and_saveexec_b64 s[4:5], s[0:1]
	s_cbranch_execz .LBB271_16
; %bb.15:                               ;   in Loop: Header=BB271_14 Depth=1
	v_cndmask_b32_e32 v17, v17, v19, vcc
	v_sub_f32_e32 v17, v17, v24
	v_mul_f32_e32 v19, 0x3fb8aa3b, v17
	v_fma_f32 v21, v17, s50, -v19
	v_rndne_f32_e32 v46, v19
	v_fmac_f32_e32 v21, 0x32a5705f, v17
	v_sub_f32_e32 v19, v19, v46
	v_add_f32_e32 v19, v19, v21
	v_exp_f32_e32 v19, v19
	v_cvt_i32_f32_e32 v21, v46
	v_cmp_le_i32_e32 vcc, s37, v45
	v_cmp_gt_i32_e64 s[2:3], s38, v45
	s_and_b64 s[2:3], vcc, s[2:3]
	v_ldexp_f32 v19, v19, v21
	v_cmp_ngt_f32_e32 vcc, s52, v17
	v_ashrrev_i32_e32 v21, 31, v20
	v_cndmask_b32_e32 v19, 0, v19, vcc
	v_cmp_nlt_f32_e32 vcc, s53, v17
	v_lshlrev_b64 v[46:47], 2, v[20:21]
	v_cndmask_b32_e32 v48, v42, v19, vcc
	v_mov_b32_e32 v17, s35
	v_add_co_u32_e32 v46, vcc, s34, v46
	v_addc_co_u32_e32 v47, vcc, v17, v47, vcc
	v_ashrrev_i32_e32 v19, 31, v18
	global_store_dword v[46:47], v48, off
	v_subrev_u32_e32 v17, s37, v45
	s_and_b64 vcc, s[46:47], s[2:3]
	v_lshlrev_b64 v[46:47], 2, v[18:19]
	v_cndmask_b32_e32 v17, 64, v17, vcc
	s_waitcnt lgkmcnt(0)
	v_mov_b32_e32 v19, s41
	v_add_co_u32_e32 v46, vcc, s40, v46
	v_addc_co_u32_e32 v47, vcc, v19, v47, vcc
	global_store_dword v[46:47], v17, off
	v_ashrrev_i32_e32 v17, 31, v16
	v_lshlrev_b64 v[46:47], 2, v[16:17]
	v_mov_b32_e32 v17, s43
	v_add_co_u32_e32 v46, vcc, s42, v46
	v_addc_co_u32_e32 v47, vcc, v17, v47, vcc
	v_add_f32_e32 v23, v23, v48
	global_store_dword v[46:47], v40, off
.LBB271_16:                             ;   in Loop: Header=BB271_14 Depth=1
	s_or_b64 exec, exec, s[4:5]
	v_ashrrev_i32_e32 v19, 31, v45
	v_lshrrev_b32_e32 v17, 28, v19
	v_add_u32_e32 v17, v45, v17
	v_ashrrev_i32_e32 v17, 4, v17
	v_lshrrev_b32_e32 v21, 30, v17
	v_add_u32_e32 v21, v17, v21
	v_and_b32_e32 v21, -4, v21
	v_sub_u32_e32 v21, v17, v21
	v_cmp_eq_u32_e32 vcc, v25, v21
	s_and_saveexec_b64 s[48:49], vcc
	s_cbranch_execz .LBB271_13
; %bb.17:                               ;   in Loop: Header=BB271_14 Depth=1
	v_lshrrev_b32_e32 v19, 26, v19
	v_add_u32_e32 v19, v45, v19
	v_lshlrev_b32_e32 v17, 4, v17
	v_sub_u32_e32 v17, v45, v17
	v_ashrrev_i32_e32 v19, 6, v19
	v_lshl_add_u32 v17, v19, 4, v17
	v_cmp_ne_u32_e32 vcc, 14, v17
	v_cmp_ne_u32_e64 s[2:3], 13, v17
	v_cmp_ne_u32_e64 s[4:5], 12, v17
	;; [unrolled: 1-line block ×15, first 2 shown]
	v_cndmask_b32_e64 v15, v44, v15, s[30:31]
	v_cndmask_b32_e32 v14, v44, v14, vcc
	v_cndmask_b32_e64 v13, v44, v13, s[2:3]
	v_cndmask_b32_e64 v12, v44, v12, s[4:5]
	;; [unrolled: 1-line block ×14, first 2 shown]
	s_branch .LBB271_13
.LBB271_18:
	v_sub_f32_e32 v0, v0, v24
	s_mov_b32 s4, 0x3fb8aa3b
	v_mul_f32_e32 v16, 0x3fb8aa3b, v0
	v_fma_f32 v17, v0, s4, -v16
	v_rndne_f32_e32 v18, v16
	v_fmac_f32_e32 v17, 0x32a5705f, v0
	v_sub_f32_e32 v16, v16, v18
	v_add_f32_e32 v16, v16, v17
	v_exp_f32_e32 v16, v16
	v_cvt_i32_f32_e32 v17, v18
	v_sub_f32_e32 v1, v1, v24
	s_mov_b32 s6, 0xc2ce8ed0
	s_mov_b32 s5, 0x42b17218
	v_ldexp_f32 v16, v16, v17
	v_mul_f32_e32 v17, 0x3fb8aa3b, v1
	v_fma_f32 v18, v1, s4, -v17
	v_rndne_f32_e32 v19, v17
	v_fmac_f32_e32 v18, 0x32a5705f, v1
	v_sub_f32_e32 v17, v17, v19
	v_add_f32_e32 v17, v17, v18
	v_exp_f32_e32 v17, v17
	v_cvt_i32_f32_e32 v18, v19
	v_cmp_ngt_f32_e32 vcc, s6, v1
	v_cmp_ngt_f32_e64 s[2:3], s6, v0
	v_sub_f32_e32 v2, v2, v24
	v_ldexp_f32 v17, v17, v18
	v_cndmask_b32_e32 v17, 0, v17, vcc
	v_mov_b32_e32 v18, 0x7f800000
	v_cmp_nlt_f32_e32 vcc, s5, v1
	v_cndmask_b32_e64 v1, 0, v16, s[2:3]
	v_cmp_nlt_f32_e64 s[2:3], s5, v0
	v_cndmask_b32_e64 v0, v18, v1, s[2:3]
	v_cndmask_b32_e32 v1, v18, v17, vcc
	v_add_f32_e32 v0, v0, v1
	v_mul_f32_e32 v1, 0x3fb8aa3b, v2
	v_fma_f32 v16, v2, s4, -v1
	v_rndne_f32_e32 v17, v1
	v_fmac_f32_e32 v16, 0x32a5705f, v2
	v_sub_f32_e32 v1, v1, v17
	v_add_f32_e32 v1, v1, v16
	v_exp_f32_e32 v1, v1
	v_cvt_i32_f32_e32 v16, v17
	v_cmp_ngt_f32_e32 vcc, s6, v2
	v_sub_f32_e32 v3, v3, v24
	v_sub_f32_e32 v4, v4, v24
	v_ldexp_f32 v1, v1, v16
	v_cndmask_b32_e32 v1, 0, v1, vcc
	v_cmp_nlt_f32_e32 vcc, s5, v2
	v_cndmask_b32_e32 v1, v18, v1, vcc
	v_add_f32_e32 v0, v0, v1
	v_mul_f32_e32 v1, 0x3fb8aa3b, v3
	v_fma_f32 v2, v3, s4, -v1
	v_rndne_f32_e32 v16, v1
	v_fmac_f32_e32 v2, 0x32a5705f, v3
	v_sub_f32_e32 v1, v1, v16
	v_add_f32_e32 v1, v1, v2
	v_exp_f32_e32 v1, v1
	v_cvt_i32_f32_e32 v2, v16
	v_cmp_ngt_f32_e32 vcc, s6, v3
	v_sub_f32_e32 v5, v5, v24
	v_sub_f32_e32 v6, v6, v24
	v_ldexp_f32 v1, v1, v2
	v_cndmask_b32_e32 v1, 0, v1, vcc
	v_cmp_nlt_f32_e32 vcc, s5, v3
	;; [unrolled: 16-line block ×4, first 2 shown]
	v_cndmask_b32_e32 v1, v18, v1, vcc
	v_add_f32_e32 v0, v0, v1
	v_mul_f32_e32 v1, 0x3fb8aa3b, v6
	v_fma_f32 v2, v6, s4, -v1
	v_rndne_f32_e32 v3, v1
	v_fmac_f32_e32 v2, 0x32a5705f, v6
	v_sub_f32_e32 v1, v1, v3
	v_add_f32_e32 v1, v1, v2
	v_exp_f32_e32 v1, v1
	v_cvt_i32_f32_e32 v2, v3
	v_cmp_ngt_f32_e32 vcc, s6, v6
	v_sub_f32_e32 v11, v11, v24
	v_sub_f32_e32 v12, v12, v24
	v_ldexp_f32 v1, v1, v2
	v_mul_f32_e32 v2, 0x3fb8aa3b, v7
	v_fma_f32 v3, v7, s4, -v2
	v_rndne_f32_e32 v4, v2
	v_fmac_f32_e32 v3, 0x32a5705f, v7
	v_sub_f32_e32 v2, v2, v4
	v_add_f32_e32 v2, v2, v3
	v_exp_f32_e32 v2, v2
	v_cvt_i32_f32_e32 v3, v4
	v_cndmask_b32_e32 v1, 0, v1, vcc
	v_cmp_nlt_f32_e32 vcc, s5, v6
	v_cndmask_b32_e32 v1, v18, v1, vcc
	v_add_f32_e32 v0, v0, v1
	v_ldexp_f32 v1, v2, v3
	v_mul_f32_e32 v2, 0x3fb8aa3b, v8
	v_fma_f32 v3, v8, s4, -v2
	v_rndne_f32_e32 v4, v2
	v_fmac_f32_e32 v3, 0x32a5705f, v8
	v_sub_f32_e32 v2, v2, v4
	v_add_f32_e32 v2, v2, v3
	v_exp_f32_e32 v2, v2
	v_cvt_i32_f32_e32 v3, v4
	v_cmp_ngt_f32_e32 vcc, s6, v7
	v_cndmask_b32_e32 v1, 0, v1, vcc
	v_cmp_nlt_f32_e32 vcc, s5, v7
	v_cndmask_b32_e32 v1, v18, v1, vcc
	v_add_f32_e32 v0, v0, v1
	v_ldexp_f32 v1, v2, v3
	v_mul_f32_e32 v2, 0x3fb8aa3b, v9
	v_fma_f32 v3, v9, s4, -v2
	v_rndne_f32_e32 v4, v2
	v_fmac_f32_e32 v3, 0x32a5705f, v9
	v_sub_f32_e32 v2, v2, v4
	v_add_f32_e32 v2, v2, v3
	v_exp_f32_e32 v2, v2
	v_cvt_i32_f32_e32 v3, v4
	v_cmp_ngt_f32_e32 vcc, s6, v8
	;; [unrolled: 14-line block ×5, first 2 shown]
	v_cndmask_b32_e32 v1, 0, v1, vcc
	v_cmp_nlt_f32_e32 vcc, s5, v11
	v_cndmask_b32_e32 v1, v18, v1, vcc
	v_add_f32_e32 v0, v0, v1
	v_ldexp_f32 v1, v2, v3
	v_sub_f32_e32 v2, v13, v24
	v_mul_f32_e32 v3, 0x3fb8aa3b, v2
	v_fma_f32 v4, v2, s4, -v3
	v_rndne_f32_e32 v5, v3
	v_fmac_f32_e32 v4, 0x32a5705f, v2
	v_sub_f32_e32 v3, v3, v5
	v_add_f32_e32 v3, v3, v4
	v_exp_f32_e32 v3, v3
	v_cvt_i32_f32_e32 v4, v5
	v_cmp_ngt_f32_e32 vcc, s6, v12
	v_cndmask_b32_e32 v1, 0, v1, vcc
	v_cmp_nlt_f32_e32 vcc, s5, v12
	v_cndmask_b32_e32 v1, v18, v1, vcc
	v_add_f32_e32 v0, v0, v1
	v_ldexp_f32 v1, v3, v4
	v_sub_f32_e32 v3, v14, v24
	v_mul_f32_e32 v4, 0x3fb8aa3b, v3
	v_fma_f32 v5, v3, s4, -v4
	v_rndne_f32_e32 v6, v4
	v_fmac_f32_e32 v5, 0x32a5705f, v3
	v_sub_f32_e32 v4, v4, v6
	v_add_f32_e32 v4, v4, v5
	v_exp_f32_e32 v4, v4
	v_cvt_i32_f32_e32 v5, v6
	v_cmp_ngt_f32_e32 vcc, s6, v2
	v_cndmask_b32_e32 v1, 0, v1, vcc
	v_cmp_nlt_f32_e32 vcc, s5, v2
	v_cndmask_b32_e32 v1, v18, v1, vcc
	v_sub_f32_e32 v2, v15, v24
	v_add_f32_e32 v0, v0, v1
	v_ldexp_f32 v1, v4, v5
	v_mul_f32_e32 v4, 0x3fb8aa3b, v2
	v_fma_f32 v5, v2, s4, -v4
	v_rndne_f32_e32 v6, v4
	v_fmac_f32_e32 v5, 0x32a5705f, v2
	v_sub_f32_e32 v4, v4, v6
	v_add_f32_e32 v4, v4, v5
	v_exp_f32_e32 v4, v4
	v_cvt_i32_f32_e32 v5, v6
	v_cmp_ngt_f32_e32 vcc, s6, v3
	v_cndmask_b32_e32 v1, 0, v1, vcc
	v_cmp_nlt_f32_e32 vcc, s5, v3
	v_cndmask_b32_e32 v1, v18, v1, vcc
	v_add_f32_e32 v0, v0, v1
	v_ldexp_f32 v1, v4, v5
	v_cmp_ngt_f32_e32 vcc, s6, v2
	v_cndmask_b32_e32 v1, 0, v1, vcc
	v_cmp_nlt_f32_e32 vcc, s5, v2
	v_cndmask_b32_e32 v1, v18, v1, vcc
	v_add_f32_e32 v0, v0, v1
	s_nop 1
	v_mov_b32_dpp v1, v0 quad_perm:[1,0,3,2] row_mask:0xf bank_mask:0xf
	v_add_f32_e32 v0, v0, v1
	s_nop 1
	v_mov_b32_dpp v1, v0 quad_perm:[2,3,0,1] row_mask:0xf bank_mask:0xf
	s_and_b64 exec, exec, s[0:1]
	s_cbranch_execz .LBB271_31
; %bb.19:
	v_add_f32_e32 v0, v0, v1
	v_add_f32_e32 v0, v23, v0
	v_cmp_neq_f32_e32 vcc, 0, v0
	s_and_b64 exec, exec, vcc
	s_cbranch_execz .LBB271_31
; %bb.20:
	s_andn2_b64 vcc, exec, s[44:45]
	s_cbranch_vccnz .LBB271_31
; %bb.21:
	v_div_scale_f32 v1, s[0:1], v0, v0, 1.0
	v_rcp_f32_e32 v2, v1
	v_div_scale_f32 v3, vcc, 1.0, v0, 1.0
	s_cmp_gt_u32 s36, 3
	v_fma_f32 v4, -v1, v2, 1.0
	v_fmac_f32_e32 v2, v4, v2
	v_mul_f32_e32 v4, v3, v2
	v_fma_f32 v5, -v1, v4, v3
	v_fmac_f32_e32 v4, v5, v2
	v_fma_f32 v1, -v1, v4, v3
	v_div_fmas_f32 v1, v1, v2, v4
	v_mul_lo_u32 v2, v22, s39
	v_div_fixup_f32 v0, v1, v0, 1.0
	v_ashrrev_i32_e32 v3, 31, v2
	s_cbranch_scc0 .LBB271_25
; %bb.22:
	v_lshlrev_b64 v[4:5], 2, v[2:3]
	v_mov_b32_e32 v6, s35
	v_add_co_u32_e32 v4, vcc, s34, v4
	v_addc_co_u32_e32 v5, vcc, v5, v6, vcc
	s_and_b32 s4, s36, 0x7ffffffc
	v_add_co_u32_e32 v4, vcc, 8, v4
	v_mov_b32_e32 v1, v0
	v_addc_co_u32_e32 v5, vcc, 0, v5, vcc
	s_mov_b32 s0, s4
.LBB271_23:                             ; =>This Inner Loop Header: Depth=1
	global_load_dwordx4 v[6:9], v[4:5], off offset:-8
	s_add_i32 s0, s0, -4
	s_cmp_lg_u32 s0, 0
	s_waitcnt vmcnt(0)
	v_pk_mul_f32 v[6:7], v[0:1], v[6:7]
	v_pk_mul_f32 v[8:9], v[0:1], v[8:9]
	global_store_dwordx4 v[4:5], v[6:9], off offset:-8
	v_add_co_u32_e32 v4, vcc, 16, v4
	v_addc_co_u32_e32 v5, vcc, 0, v5, vcc
	s_cbranch_scc1 .LBB271_23
; %bb.24:
	s_cmp_lg_u32 s4, s36
	s_mov_b64 s[2:3], 0
	s_cselect_b64 s[0:1], -1, 0
	s_branch .LBB271_26
.LBB271_25:
	s_mov_b64 s[2:3], -1
	s_mov_b64 s[0:1], 0
                                        ; implicit-def: $sgpr4
.LBB271_26:
	s_and_b64 vcc, exec, s[2:3]
	s_cbranch_vccz .LBB271_28
; %bb.27:
	s_mov_b64 s[0:1], -1
	s_mov_b32 s4, 0
.LBB271_28:
	s_andn2_b64 vcc, exec, s[0:1]
	s_cbranch_vccnz .LBB271_31
; %bb.29:
	v_add_co_u32_e32 v2, vcc, s4, v2
	v_addc_co_u32_e32 v3, vcc, 0, v3, vcc
	v_lshlrev_b64 v[2:3], 2, v[2:3]
	v_mov_b32_e32 v1, s35
	v_add_co_u32_e32 v2, vcc, s34, v2
	s_sub_i32 s0, s36, s4
	v_addc_co_u32_e32 v3, vcc, v1, v3, vcc
.LBB271_30:                             ; =>This Inner Loop Header: Depth=1
	global_load_dword v1, v[2:3], off
	s_add_i32 s0, s0, -1
	s_cmp_lg_u32 s0, 0
	s_waitcnt vmcnt(0)
	v_mul_f32_e32 v1, v0, v1
	global_store_dword v[2:3], v1, off
	v_add_co_u32_e32 v2, vcc, 4, v2
	v_addc_co_u32_e32 v3, vcc, 0, v3, vcc
	s_cbranch_scc1 .LBB271_30
.LBB271_31:
	s_endpgm
	.section	.rodata,"a",@progbits
	.p2align	6, 0x0
	.amdhsa_kernel _ZN4vllm3moe17topkGatingSoftmaxItLi16ELi64ELi8ELi32ELb0ELi1ELNS0_23SharedExpertScoringFuncE1EEEvPKT_PKbPfiPiS9_iiiiii
		.amdhsa_group_segment_fixed_size 0
		.amdhsa_private_segment_fixed_size 0
		.amdhsa_kernarg_size 72
		.amdhsa_user_sgpr_count 6
		.amdhsa_user_sgpr_private_segment_buffer 1
		.amdhsa_user_sgpr_dispatch_ptr 0
		.amdhsa_user_sgpr_queue_ptr 0
		.amdhsa_user_sgpr_kernarg_segment_ptr 1
		.amdhsa_user_sgpr_dispatch_id 0
		.amdhsa_user_sgpr_flat_scratch_init 0
		.amdhsa_user_sgpr_kernarg_preload_length 0
		.amdhsa_user_sgpr_kernarg_preload_offset 0
		.amdhsa_user_sgpr_private_segment_size 0
		.amdhsa_uses_dynamic_stack 0
		.amdhsa_system_sgpr_private_segment_wavefront_offset 0
		.amdhsa_system_sgpr_workgroup_id_x 1
		.amdhsa_system_sgpr_workgroup_id_y 0
		.amdhsa_system_sgpr_workgroup_id_z 0
		.amdhsa_system_sgpr_workgroup_info 0
		.amdhsa_system_vgpr_workitem_id 1
		.amdhsa_next_free_vgpr 49
		.amdhsa_next_free_sgpr 54
		.amdhsa_accum_offset 52
		.amdhsa_reserve_vcc 1
		.amdhsa_reserve_flat_scratch 0
		.amdhsa_float_round_mode_32 0
		.amdhsa_float_round_mode_16_64 0
		.amdhsa_float_denorm_mode_32 3
		.amdhsa_float_denorm_mode_16_64 3
		.amdhsa_dx10_clamp 1
		.amdhsa_ieee_mode 1
		.amdhsa_fp16_overflow 0
		.amdhsa_tg_split 0
		.amdhsa_exception_fp_ieee_invalid_op 0
		.amdhsa_exception_fp_denorm_src 0
		.amdhsa_exception_fp_ieee_div_zero 0
		.amdhsa_exception_fp_ieee_overflow 0
		.amdhsa_exception_fp_ieee_underflow 0
		.amdhsa_exception_fp_ieee_inexact 0
		.amdhsa_exception_int_div_zero 0
	.end_amdhsa_kernel
	.section	.text._ZN4vllm3moe17topkGatingSoftmaxItLi16ELi64ELi8ELi32ELb0ELi1ELNS0_23SharedExpertScoringFuncE1EEEvPKT_PKbPfiPiS9_iiiiii,"axG",@progbits,_ZN4vllm3moe17topkGatingSoftmaxItLi16ELi64ELi8ELi32ELb0ELi1ELNS0_23SharedExpertScoringFuncE1EEEvPKT_PKbPfiPiS9_iiiiii,comdat
.Lfunc_end271:
	.size	_ZN4vllm3moe17topkGatingSoftmaxItLi16ELi64ELi8ELi32ELb0ELi1ELNS0_23SharedExpertScoringFuncE1EEEvPKT_PKbPfiPiS9_iiiiii, .Lfunc_end271-_ZN4vllm3moe17topkGatingSoftmaxItLi16ELi64ELi8ELi32ELb0ELi1ELNS0_23SharedExpertScoringFuncE1EEEvPKT_PKbPfiPiS9_iiiiii
                                        ; -- End function
	.section	.AMDGPU.csdata,"",@progbits
; Kernel info:
; codeLenInByte = 4196
; NumSgprs: 58
; NumVgprs: 49
; NumAgprs: 0
; TotalNumVgprs: 49
; ScratchSize: 0
; MemoryBound: 0
; FloatMode: 240
; IeeeMode: 1
; LDSByteSize: 0 bytes/workgroup (compile time only)
; SGPRBlocks: 7
; VGPRBlocks: 6
; NumSGPRsForWavesPerEU: 58
; NumVGPRsForWavesPerEU: 49
; AccumOffset: 52
; Occupancy: 8
; WaveLimiterHint : 0
; COMPUTE_PGM_RSRC2:SCRATCH_EN: 0
; COMPUTE_PGM_RSRC2:USER_SGPR: 6
; COMPUTE_PGM_RSRC2:TRAP_HANDLER: 0
; COMPUTE_PGM_RSRC2:TGID_X_EN: 1
; COMPUTE_PGM_RSRC2:TGID_Y_EN: 0
; COMPUTE_PGM_RSRC2:TGID_Z_EN: 0
; COMPUTE_PGM_RSRC2:TIDIG_COMP_CNT: 1
; COMPUTE_PGM_RSRC3_GFX90A:ACCUM_OFFSET: 12
; COMPUTE_PGM_RSRC3_GFX90A:TG_SPLIT: 0
	.section	.text._ZN4vllm3moe17topkGatingSoftmaxItLi16ELi64ELi8ELi32ELb1ELi2ELNS0_23SharedExpertScoringFuncE1EEEvPKT_PKbPfiPiS9_iiiiii,"axG",@progbits,_ZN4vllm3moe17topkGatingSoftmaxItLi16ELi64ELi8ELi32ELb1ELi2ELNS0_23SharedExpertScoringFuncE1EEEvPKT_PKbPfiPiS9_iiiiii,comdat
	.protected	_ZN4vllm3moe17topkGatingSoftmaxItLi16ELi64ELi8ELi32ELb1ELi2ELNS0_23SharedExpertScoringFuncE1EEEvPKT_PKbPfiPiS9_iiiiii ; -- Begin function _ZN4vllm3moe17topkGatingSoftmaxItLi16ELi64ELi8ELi32ELb1ELi2ELNS0_23SharedExpertScoringFuncE1EEEvPKT_PKbPfiPiS9_iiiiii
	.globl	_ZN4vllm3moe17topkGatingSoftmaxItLi16ELi64ELi8ELi32ELb1ELi2ELNS0_23SharedExpertScoringFuncE1EEEvPKT_PKbPfiPiS9_iiiiii
	.p2align	8
	.type	_ZN4vllm3moe17topkGatingSoftmaxItLi16ELi64ELi8ELi32ELb1ELi2ELNS0_23SharedExpertScoringFuncE1EEEvPKT_PKbPfiPiS9_iiiiii,@function
_ZN4vllm3moe17topkGatingSoftmaxItLi16ELi64ELi8ELi32ELb1ELi2ELNS0_23SharedExpertScoringFuncE1EEEvPKT_PKbPfiPiS9_iiiiii: ; @_ZN4vllm3moe17topkGatingSoftmaxItLi16ELi64ELi8ELi32ELb1ELi2ELNS0_23SharedExpertScoringFuncE1EEEvPKT_PKbPfiPiS9_iiiiii
; %bb.0:
	s_load_dword s33, s[4:5], 0x18
	v_bfe_u32 v1, v0, 10, 10
	v_and_b32_e32 v0, 0x3ff, v0
	s_lshl_b32 s50, s6, 7
	v_lshlrev_b32_e32 v41, 4, v1
	v_lshrrev_b32_e32 v42, 2, v0
	v_add3_u32 v22, s50, v41, v42
	s_waitcnt lgkmcnt(0)
	v_cmp_gt_i32_e32 vcc, s33, v22
	s_and_saveexec_b64 s[0:1], vcc
	s_cbranch_execz .LBB272_29
; %bb.1:
	s_load_dwordx4 s[0:3], s[4:5], 0x0
	s_load_dwordx2 s[34:35], s[4:5], 0x10
	s_waitcnt lgkmcnt(0)
	s_cmp_eq_u64 s[2:3], 0
	s_cbranch_scc1 .LBB272_3
; %bb.2:
	v_ashrrev_i32_e32 v1, 31, v22
	v_mov_b32_e32 v3, s3
	v_add_co_u32_e32 v2, vcc, s2, v22
	v_addc_co_u32_e32 v3, vcc, v3, v1, vcc
	global_load_ubyte v1, v[2:3], off
	s_waitcnt vmcnt(0)
	v_and_b32_e32 v1, 1, v1
	v_cmp_eq_u32_e32 vcc, 1, v1
	s_xor_b64 s[2:3], vcc, -1
	s_orn2_b64 s[44:45], s[2:3], exec
	s_branch .LBB272_4
.LBB272_3:
	s_mov_b64 s[44:45], -1
.LBB272_4:
	s_load_dwordx2 s[8:9], s[4:5], 0x40
	s_load_dwordx4 s[36:39], s[4:5], 0x30
	v_mov_b32_e32 v4, s1
	v_and_b32_e32 v23, 3, v0
	v_lshlrev_b32_e32 v0, 5, v23
	s_waitcnt lgkmcnt(0)
	v_mul_lo_u32 v2, v22, s9
	v_ashrrev_i32_e32 v3, 31, v2
	v_lshlrev_b64 v[2:3], 1, v[2:3]
	v_add_co_u32_e32 v1, vcc, s0, v2
	v_addc_co_u32_e32 v2, vcc, v4, v3, vcc
	v_add_co_u32_e32 v8, vcc, v1, v0
	v_addc_co_u32_e32 v9, vcc, 0, v2, vcc
	global_load_dwordx4 v[12:15], v[8:9], off offset:16
	global_load_dwordx4 v[4:7], v[8:9], off
	v_lshlrev_b32_e32 v25, 4, v23
	v_mov_b32_e32 v24, 0
	v_cmp_gt_u32_e32 vcc, 2, v23
	s_and_saveexec_b64 s[0:1], vcc
	s_cbranch_execz .LBB272_6
; %bb.5:
	v_lshlrev_b32_e32 v0, 1, v23
	v_add_co_u32_e32 v0, vcc, v1, v0
	v_addc_co_u32_e32 v1, vcc, 0, v2, vcc
	global_load_ushort v0, v[0:1], off offset:128
	s_mov_b32 s2, 0xbfb8aa3b
	s_mov_b32 s3, 0x42ce8ed0
	;; [unrolled: 1-line block ×3, first 2 shown]
	v_mov_b32_e32 v3, 0x7f800000
	v_mul_lo_u32 v1, v22, s39
	v_mov_b32_e32 v10, s35
	s_waitcnt vmcnt(0)
	v_cvt_f32_u32_e32 v2, v0
	v_mul_f32_e32 v0, 0xbfb8aa3b, v2
	v_fma_f32 v8, v2, s2, -v0
	v_rndne_f32_e32 v9, v0
	v_fmac_f32_e32 v8, 0xb2a5705f, v2
	v_sub_f32_e32 v0, v0, v9
	v_add_f32_e32 v0, v0, v8
	v_cvt_i32_f32_e32 v9, v9
	v_exp_f32_e32 v8, v0
	v_cmp_nlt_f32_e32 vcc, s3, v2
	v_add3_u32 v0, v1, s36, v23
	v_ashrrev_i32_e32 v1, 31, v0
	v_ldexp_f32 v8, v8, v9
	v_cndmask_b32_e32 v8, 0, v8, vcc
	v_cmp_ngt_f32_e32 vcc, s6, v2
	v_cndmask_b32_e32 v2, v3, v8, vcc
	v_add_f32_e32 v2, 1.0, v2
	v_div_scale_f32 v3, s[2:3], v2, v2, 1.0
	v_rcp_f32_e32 v8, v3
	v_div_scale_f32 v9, vcc, 1.0, v2, 1.0
	v_lshlrev_b64 v[0:1], 2, v[0:1]
	v_fma_f32 v11, -v3, v8, 1.0
	v_fmac_f32_e32 v8, v11, v8
	v_mul_f32_e32 v11, v9, v8
	v_fma_f32 v16, -v3, v11, v9
	v_fmac_f32_e32 v11, v16, v8
	v_fma_f32 v3, -v3, v11, v9
	v_div_fmas_f32 v3, v3, v8, v11
	v_add_co_u32_e32 v0, vcc, s34, v0
	v_div_fixup_f32 v2, v3, v2, 1.0
	v_addc_co_u32_e32 v1, vcc, v10, v1, vcc
	global_store_dword v[0:1], v2, off
.LBB272_6:
	s_or_b64 exec, exec, s[0:1]
	s_waitcnt vmcnt(0)
	v_cvt_f32_u32_sdwa v1, v4 dst_sel:DWORD dst_unused:UNUSED_PAD src0_sel:WORD_1
	v_cvt_f32_u32_sdwa v0, v4 dst_sel:DWORD dst_unused:UNUSED_PAD src0_sel:WORD_0
	v_cvt_f32_u32_sdwa v2, v5 dst_sel:DWORD dst_unused:UNUSED_PAD src0_sel:WORD_0
	v_or_b32_e32 v26, 1, v25
	v_or_b32_e32 v27, 2, v25
	v_cmp_lt_f32_e32 vcc, v0, v1
	v_cndmask_b32_e32 v4, v0, v1, vcc
	v_cndmask_b32_e32 v3, v25, v26, vcc
	v_cmp_lt_f32_e32 vcc, v4, v2
	v_cndmask_b32_e32 v8, v3, v27, vcc
	v_cvt_f32_u32_sdwa v3, v5 dst_sel:DWORD dst_unused:UNUSED_PAD src0_sel:WORD_1
	v_cndmask_b32_e32 v4, v4, v2, vcc
	v_or_b32_e32 v28, 3, v25
	v_or_b32_e32 v29, 4, v25
	v_cmp_lt_f32_e32 vcc, v4, v3
	v_cndmask_b32_e32 v5, v8, v28, vcc
	v_cndmask_b32_e32 v8, v4, v3, vcc
	v_cvt_f32_u32_sdwa v4, v6 dst_sel:DWORD dst_unused:UNUSED_PAD src0_sel:WORD_0
	v_or_b32_e32 v30, 5, v25
	v_or_b32_e32 v31, 6, v25
	;; [unrolled: 1-line block ×3, first 2 shown]
	v_cmp_lt_f32_e32 vcc, v8, v4
	v_cndmask_b32_e32 v9, v5, v29, vcc
	v_cvt_f32_u32_sdwa v5, v6 dst_sel:DWORD dst_unused:UNUSED_PAD src0_sel:WORD_1
	v_cvt_f32_u32_sdwa v6, v7 dst_sel:DWORD dst_unused:UNUSED_PAD src0_sel:WORD_0
	v_cndmask_b32_e32 v8, v8, v4, vcc
	v_cvt_f32_u32_sdwa v7, v7 dst_sel:DWORD dst_unused:UNUSED_PAD src0_sel:WORD_1
	v_cmp_lt_f32_e32 vcc, v8, v5
	v_cndmask_b32_e32 v8, v8, v5, vcc
	v_cndmask_b32_e32 v9, v9, v30, vcc
	v_cmp_lt_f32_e32 vcc, v8, v6
	v_cndmask_b32_e32 v8, v8, v6, vcc
	v_cndmask_b32_e32 v9, v9, v31, vcc
	v_cmp_lt_f32_e32 vcc, v8, v7
	v_cndmask_b32_e32 v10, v8, v7, vcc
	v_cvt_f32_u32_sdwa v8, v12 dst_sel:DWORD dst_unused:UNUSED_PAD src0_sel:WORD_0
	v_cndmask_b32_e32 v9, v9, v32, vcc
	v_or_b32_e32 v33, 8, v25
	v_or_b32_e32 v34, 9, v25
	v_cmp_lt_f32_e32 vcc, v10, v8
	v_cndmask_b32_e32 v11, v9, v33, vcc
	v_cvt_f32_u32_sdwa v9, v12 dst_sel:DWORD dst_unused:UNUSED_PAD src0_sel:WORD_1
	v_cndmask_b32_e32 v10, v10, v8, vcc
	v_or_b32_e32 v35, 10, v25
	v_or_b32_e32 v36, 11, v25
	v_cmp_lt_f32_e32 vcc, v10, v9
	v_cndmask_b32_e32 v12, v10, v9, vcc
	v_cvt_f32_u32_sdwa v10, v13 dst_sel:DWORD dst_unused:UNUSED_PAD src0_sel:WORD_0
	v_cndmask_b32_e32 v11, v11, v34, vcc
	v_or_b32_e32 v37, 12, v25
	v_or_b32_e32 v38, 13, v25
	v_cmp_lt_f32_e32 vcc, v12, v10
	v_cndmask_b32_e32 v16, v11, v35, vcc
	v_cvt_f32_u32_sdwa v11, v13 dst_sel:DWORD dst_unused:UNUSED_PAD src0_sel:WORD_1
	v_cndmask_b32_e32 v12, v12, v10, vcc
	v_or_b32_e32 v39, 14, v25
	v_or_b32_e32 v40, 15, v25
	v_cmp_lt_f32_e32 vcc, v12, v11
	v_cndmask_b32_e32 v13, v16, v36, vcc
	v_cndmask_b32_e32 v16, v12, v11, vcc
	v_cvt_f32_u32_sdwa v12, v14 dst_sel:DWORD dst_unused:UNUSED_PAD src0_sel:WORD_0
	v_cmp_lt_f32_e32 vcc, v16, v12
	v_cndmask_b32_e32 v17, v13, v37, vcc
	v_cvt_f32_u32_sdwa v13, v14 dst_sel:DWORD dst_unused:UNUSED_PAD src0_sel:WORD_1
	v_cvt_f32_u32_sdwa v14, v15 dst_sel:DWORD dst_unused:UNUSED_PAD src0_sel:WORD_0
	v_cndmask_b32_e32 v16, v16, v12, vcc
	v_cvt_f32_u32_sdwa v15, v15 dst_sel:DWORD dst_unused:UNUSED_PAD src0_sel:WORD_1
	v_cmp_lt_f32_e32 vcc, v16, v13
	v_cndmask_b32_e32 v16, v16, v13, vcc
	v_cndmask_b32_e32 v17, v17, v38, vcc
	v_cmp_lt_f32_e32 vcc, v16, v14
	v_cndmask_b32_e32 v16, v16, v14, vcc
	v_cndmask_b32_e32 v17, v17, v39, vcc
	;; [unrolled: 3-line block ×3, first 2 shown]
	s_nop 0
	v_mov_b32_dpp v19, v17 quad_perm:[1,0,3,2] row_mask:0xf bank_mask:0xf
	v_mov_b32_dpp v18, v16 quad_perm:[1,0,3,2] row_mask:0xf bank_mask:0xf
	v_cmp_eq_f32_e64 s[0:1], v16, v18
	v_cmp_lt_i32_e64 s[2:3], v19, v17
	v_cmp_lt_f32_e32 vcc, v16, v18
	s_and_b64 s[0:1], s[0:1], s[2:3]
	s_or_b64 vcc, vcc, s[0:1]
	v_cndmask_b32_e32 v16, v16, v18, vcc
	v_cndmask_b32_e32 v17, v17, v19, vcc
	s_cmp_gt_i32 s36, 0
	s_cselect_b64 s[46:47], -1, 0
	s_cmp_lt_i32 s36, 1
	v_cmp_eq_u32_e32 vcc, 0, v23
	v_mov_b32_dpp v18, v17 quad_perm:[2,3,0,1] row_mask:0xf bank_mask:0xf
	v_mov_b32_dpp v19, v16 quad_perm:[2,3,0,1] row_mask:0xf bank_mask:0xf
	s_cbranch_scc1 .LBB272_18
; %bb.7:
	s_load_dwordx4 s[40:43], s[4:5], 0x20
	v_cmp_eq_f32_e64 s[2:3], v16, v19
	v_cmp_lt_i32_e64 s[6:7], v18, v17
	v_cmp_lt_f32_e64 s[0:1], v16, v19
	s_and_b64 s[2:3], s[2:3], s[6:7]
	s_or_b64 s[0:1], s[0:1], s[2:3]
	v_cndmask_b32_e64 v44, v17, v18, s[0:1]
	v_cndmask_b32_e64 v43, v16, v19, s[0:1]
	v_mul_lo_u32 v20, v22, s39
	v_mul_lo_u32 v18, v22, s8
	;; [unrolled: 1-line block ×3, first 2 shown]
	v_mov_b32_e32 v24, 0
	s_and_saveexec_b64 s[4:5], vcc
	s_cbranch_execz .LBB272_9
; %bb.8:
	v_sub_f32_e32 v17, v43, v43
	v_mul_f32_e32 v19, 0x3fb8aa3b, v17
	s_mov_b32 s0, 0x3fb8aa3b
	v_rndne_f32_e32 v21, v19
	v_sub_f32_e32 v24, v19, v21
	v_fma_f32 v19, v17, s0, -v19
	v_fmac_f32_e32 v19, 0x32a5705f, v17
	v_add_f32_e32 v19, v24, v19
	v_exp_f32_e32 v19, v19
	v_cvt_i32_f32_e32 v21, v21
	v_cmp_le_i32_e64 s[0:1], s37, v44
	v_cmp_gt_i32_e64 s[2:3], s38, v44
	s_and_b64 s[2:3], s[0:1], s[2:3]
	s_mov_b32 s0, 0xc2ce8ed0
	v_ldexp_f32 v19, v19, v21
	v_cmp_ngt_f32_e64 s[0:1], s0, v17
	v_cndmask_b32_e64 v19, 0, v19, s[0:1]
	s_mov_b32 s0, 0x42b17218
	v_mov_b32_e32 v21, 0x7f800000
	v_cmp_nlt_f32_e64 s[0:1], s0, v17
	v_cndmask_b32_e64 v24, v21, v19, s[0:1]
	v_ashrrev_i32_e32 v21, 31, v20
	v_lshlrev_b64 v[46:47], 2, v[20:21]
	v_mov_b32_e32 v17, s35
	v_add_co_u32_e64 v46, s[0:1], s34, v46
	v_addc_co_u32_e64 v47, s[0:1], v17, v47, s[0:1]
	v_ashrrev_i32_e32 v19, 31, v18
	global_store_dword v[46:47], v24, off
	v_subrev_u32_e32 v17, s37, v44
	s_and_b64 s[0:1], s[44:45], s[2:3]
	v_lshlrev_b64 v[46:47], 2, v[18:19]
	v_cndmask_b32_e64 v17, 64, v17, s[0:1]
	s_waitcnt lgkmcnt(0)
	v_mov_b32_e32 v19, s41
	v_add_co_u32_e64 v46, s[0:1], s40, v46
	v_addc_co_u32_e64 v47, s[0:1], v19, v47, s[0:1]
	global_store_dword v[46:47], v17, off
	v_ashrrev_i32_e32 v17, 31, v16
	v_lshlrev_b64 v[46:47], 2, v[16:17]
	v_mov_b32_e32 v17, s43
	v_add_co_u32_e64 v46, s[0:1], s42, v46
	v_addc_co_u32_e64 v47, s[0:1], v17, v47, s[0:1]
	global_store_dword v[46:47], v22, off
.LBB272_9:
	s_or_b64 exec, exec, s[4:5]
	v_ashrrev_i32_e32 v19, 31, v44
	v_lshrrev_b32_e32 v17, 28, v19
	v_add_u32_e32 v17, v44, v17
	v_ashrrev_i32_e32 v17, 4, v17
	v_lshrrev_b32_e32 v21, 30, v17
	v_add_u32_e32 v21, v17, v21
	v_and_b32_e32 v21, -4, v21
	v_sub_u32_e32 v21, v17, v21
	v_cmp_eq_u32_e64 s[0:1], v23, v21
	s_and_saveexec_b64 s[48:49], s[0:1]
	s_cbranch_execz .LBB272_11
; %bb.10:
	v_lshrrev_b32_e32 v19, 26, v19
	v_add_u32_e32 v19, v44, v19
	v_lshlrev_b32_e32 v17, 4, v17
	v_sub_u32_e32 v17, v44, v17
	v_ashrrev_i32_e32 v19, 6, v19
	v_lshl_add_u32 v17, v19, 4, v17
	v_mov_b32_e32 v19, 0xff800000
	v_cmp_ne_u32_e64 s[0:1], 14, v17
	v_cmp_ne_u32_e64 s[2:3], 13, v17
	;; [unrolled: 1-line block ×16, first 2 shown]
	v_cndmask_b32_e64 v15, v19, v15, s[30:31]
	v_cndmask_b32_e64 v14, v19, v14, s[0:1]
	;; [unrolled: 1-line block ×16, first 2 shown]
.LBB272_11:
	s_or_b64 exec, exec, s[48:49]
	s_cmp_eq_u32 s36, 1
	s_cbranch_scc1 .LBB272_18
; %bb.12:
	s_add_i32 s50, s50, s33
	s_add_i32 s51, s36, -1
	v_add3_u32 v41, s50, v42, v41
	v_add_u32_e32 v16, 1, v16
	v_add_u32_e32 v18, 1, v18
	v_add_u32_e32 v20, 1, v20
	s_mov_b32 s50, 0x3fb8aa3b
	s_mov_b32 s52, 0xc2ce8ed0
	;; [unrolled: 1-line block ×3, first 2 shown]
	v_mov_b32_e32 v42, 0x7f800000
	v_mov_b32_e32 v44, 0xff800000
	s_branch .LBB272_14
.LBB272_13:                             ;   in Loop: Header=BB272_14 Depth=1
	s_or_b64 exec, exec, s[48:49]
	s_add_i32 s51, s51, -1
	v_add_u32_e32 v41, s33, v41
	v_add_u32_e32 v16, 1, v16
	;; [unrolled: 1-line block ×3, first 2 shown]
	s_cmp_eq_u32 s51, 0
	v_add_u32_e32 v20, 1, v20
	s_cbranch_scc1 .LBB272_18
.LBB272_14:                             ; =>This Inner Loop Header: Depth=1
	v_cmp_gt_f32_e64 s[0:1], v1, v0
	v_cndmask_b32_e64 v19, v0, v1, s[0:1]
	v_cndmask_b32_e64 v17, v25, v26, s[0:1]
	v_cmp_gt_f32_e64 s[0:1], v2, v19
	v_cndmask_b32_e64 v19, v19, v2, s[0:1]
	v_cndmask_b32_e64 v17, v17, v27, s[0:1]
	;; [unrolled: 3-line block ×15, first 2 shown]
	s_nop 0
	v_mov_b32_dpp v45, v21 quad_perm:[1,0,3,2] row_mask:0xf bank_mask:0xf
	v_mov_b32_dpp v19, v17 quad_perm:[1,0,3,2] row_mask:0xf bank_mask:0xf
	v_cmp_eq_f32_e64 s[2:3], v17, v19
	v_cmp_lt_i32_e64 s[4:5], v45, v21
	v_cmp_lt_f32_e64 s[0:1], v17, v19
	s_and_b64 s[2:3], s[2:3], s[4:5]
	s_or_b64 s[0:1], s[0:1], s[2:3]
	v_cndmask_b32_e64 v17, v17, v19, s[0:1]
	v_cndmask_b32_e64 v21, v21, v45, s[0:1]
	s_nop 0
	v_mov_b32_dpp v19, v17 quad_perm:[2,3,0,1] row_mask:0xf bank_mask:0xf
	v_mov_b32_dpp v45, v21 quad_perm:[2,3,0,1] row_mask:0xf bank_mask:0xf
	v_cmp_eq_f32_e64 s[2:3], v17, v19
	v_cmp_lt_i32_e64 s[4:5], v45, v21
	v_cmp_lt_f32_e64 s[0:1], v17, v19
	s_and_b64 s[2:3], s[2:3], s[4:5]
	s_or_b64 s[0:1], s[0:1], s[2:3]
	v_cndmask_b32_e64 v45, v21, v45, s[0:1]
	s_and_saveexec_b64 s[4:5], vcc
	s_cbranch_execz .LBB272_16
; %bb.15:                               ;   in Loop: Header=BB272_14 Depth=1
	v_cndmask_b32_e64 v17, v17, v19, s[0:1]
	v_sub_f32_e32 v17, v17, v43
	v_mul_f32_e32 v19, 0x3fb8aa3b, v17
	v_fma_f32 v21, v17, s50, -v19
	v_rndne_f32_e32 v46, v19
	v_fmac_f32_e32 v21, 0x32a5705f, v17
	v_sub_f32_e32 v19, v19, v46
	v_add_f32_e32 v19, v19, v21
	v_exp_f32_e32 v19, v19
	v_cvt_i32_f32_e32 v21, v46
	v_cmp_le_i32_e64 s[0:1], s37, v45
	v_cmp_gt_i32_e64 s[2:3], s38, v45
	s_and_b64 s[2:3], s[0:1], s[2:3]
	v_ldexp_f32 v19, v19, v21
	v_cmp_ngt_f32_e64 s[0:1], s52, v17
	v_ashrrev_i32_e32 v21, 31, v20
	v_cndmask_b32_e64 v19, 0, v19, s[0:1]
	v_cmp_nlt_f32_e64 s[0:1], s53, v17
	v_lshlrev_b64 v[46:47], 2, v[20:21]
	v_cndmask_b32_e64 v48, v42, v19, s[0:1]
	v_mov_b32_e32 v17, s35
	v_add_co_u32_e64 v46, s[0:1], s34, v46
	v_addc_co_u32_e64 v47, s[0:1], v17, v47, s[0:1]
	v_ashrrev_i32_e32 v19, 31, v18
	global_store_dword v[46:47], v48, off
	v_subrev_u32_e32 v17, s37, v45
	s_and_b64 s[0:1], s[44:45], s[2:3]
	v_lshlrev_b64 v[46:47], 2, v[18:19]
	v_cndmask_b32_e64 v17, 64, v17, s[0:1]
	s_waitcnt lgkmcnt(0)
	v_mov_b32_e32 v19, s41
	v_add_co_u32_e64 v46, s[0:1], s40, v46
	v_addc_co_u32_e64 v47, s[0:1], v19, v47, s[0:1]
	global_store_dword v[46:47], v17, off
	v_ashrrev_i32_e32 v17, 31, v16
	v_lshlrev_b64 v[46:47], 2, v[16:17]
	v_mov_b32_e32 v17, s43
	v_add_co_u32_e64 v46, s[0:1], s42, v46
	v_addc_co_u32_e64 v47, s[0:1], v17, v47, s[0:1]
	v_add_f32_e32 v24, v24, v48
	global_store_dword v[46:47], v41, off
.LBB272_16:                             ;   in Loop: Header=BB272_14 Depth=1
	s_or_b64 exec, exec, s[4:5]
	v_ashrrev_i32_e32 v19, 31, v45
	v_lshrrev_b32_e32 v17, 28, v19
	v_add_u32_e32 v17, v45, v17
	v_ashrrev_i32_e32 v17, 4, v17
	v_lshrrev_b32_e32 v21, 30, v17
	v_add_u32_e32 v21, v17, v21
	v_and_b32_e32 v21, -4, v21
	v_sub_u32_e32 v21, v17, v21
	v_cmp_eq_u32_e64 s[0:1], v23, v21
	s_and_saveexec_b64 s[48:49], s[0:1]
	s_cbranch_execz .LBB272_13
; %bb.17:                               ;   in Loop: Header=BB272_14 Depth=1
	v_lshrrev_b32_e32 v19, 26, v19
	v_add_u32_e32 v19, v45, v19
	v_lshlrev_b32_e32 v17, 4, v17
	v_sub_u32_e32 v17, v45, v17
	v_ashrrev_i32_e32 v19, 6, v19
	v_lshl_add_u32 v17, v19, 4, v17
	v_cmp_ne_u32_e64 s[0:1], 14, v17
	v_cmp_ne_u32_e64 s[2:3], 13, v17
	v_cmp_ne_u32_e64 s[4:5], 12, v17
	v_cmp_ne_u32_e64 s[6:7], 11, v17
	v_cmp_ne_u32_e64 s[8:9], 10, v17
	v_cmp_ne_u32_e64 s[10:11], 9, v17
	v_cmp_ne_u32_e64 s[12:13], 8, v17
	v_cmp_ne_u32_e64 s[14:15], 7, v17
	v_cmp_ne_u32_e64 s[16:17], 6, v17
	v_cmp_ne_u32_e64 s[18:19], 5, v17
	v_cmp_ne_u32_e64 s[20:21], 4, v17
	v_cmp_ne_u32_e64 s[22:23], 3, v17
	v_cmp_ne_u32_e64 s[24:25], 2, v17
	v_cmp_ne_u32_e64 s[26:27], 1, v17
	v_cmp_ne_u32_e64 s[28:29], 0, v17
	v_cmp_ne_u32_e64 s[30:31], 15, v17
	v_cndmask_b32_e64 v15, v44, v15, s[30:31]
	v_cndmask_b32_e64 v14, v44, v14, s[0:1]
	;; [unrolled: 1-line block ×16, first 2 shown]
	s_branch .LBB272_13
.LBB272_18:
	v_cmp_eq_u32_e32 vcc, 0, v23
	v_cmp_neq_f32_e64 s[0:1], 0, v24
	s_and_b64 s[0:1], vcc, s[0:1]
	s_and_b64 exec, exec, s[0:1]
	s_cbranch_execz .LBB272_29
; %bb.19:
	s_andn2_b64 vcc, exec, s[46:47]
	s_cbranch_vccnz .LBB272_29
; %bb.20:
	v_div_scale_f32 v0, s[0:1], v24, v24, 1.0
	v_rcp_f32_e32 v1, v0
	v_div_scale_f32 v2, vcc, 1.0, v24, 1.0
	s_cmp_gt_u32 s36, 3
	v_fma_f32 v3, -v0, v1, 1.0
	v_fmac_f32_e32 v1, v3, v1
	v_mul_f32_e32 v3, v2, v1
	v_fma_f32 v4, -v0, v3, v2
	v_fmac_f32_e32 v3, v4, v1
	v_fma_f32 v0, -v0, v3, v2
	v_div_fmas_f32 v0, v0, v1, v3
	v_mul_lo_u32 v2, v22, s39
	v_div_fixup_f32 v0, v0, v24, 1.0
	v_ashrrev_i32_e32 v3, 31, v2
	s_cbranch_scc0 .LBB272_24
; %bb.21:
	v_lshlrev_b64 v[4:5], 2, v[2:3]
	v_mov_b32_e32 v6, s35
	v_add_co_u32_e32 v4, vcc, s34, v4
	v_addc_co_u32_e32 v5, vcc, v5, v6, vcc
	s_and_b32 s4, s36, 0x7ffffffc
	v_add_co_u32_e32 v4, vcc, 8, v4
	v_mov_b32_e32 v1, v0
	v_addc_co_u32_e32 v5, vcc, 0, v5, vcc
	s_mov_b32 s0, s4
.LBB272_22:                             ; =>This Inner Loop Header: Depth=1
	global_load_dwordx4 v[6:9], v[4:5], off offset:-8
	s_add_i32 s0, s0, -4
	s_cmp_lg_u32 s0, 0
	s_waitcnt vmcnt(0)
	v_pk_mul_f32 v[6:7], v[0:1], v[6:7]
	v_pk_mul_f32 v[8:9], v[0:1], v[8:9]
	global_store_dwordx4 v[4:5], v[6:9], off offset:-8
	v_add_co_u32_e32 v4, vcc, 16, v4
	v_addc_co_u32_e32 v5, vcc, 0, v5, vcc
	s_cbranch_scc1 .LBB272_22
; %bb.23:
	s_cmp_lg_u32 s4, s36
	s_cselect_b64 s[0:1], -1, 0
	s_branch .LBB272_26
.LBB272_24:
	s_mov_b64 s[0:1], 0
                                        ; implicit-def: $sgpr4
	s_cbranch_execz .LBB272_26
; %bb.25:
	s_mov_b64 s[0:1], -1
	s_mov_b32 s4, 0
.LBB272_26:
	s_andn2_b64 vcc, exec, s[0:1]
	s_cbranch_vccnz .LBB272_29
; %bb.27:
	v_add_co_u32_e32 v2, vcc, s4, v2
	v_addc_co_u32_e32 v3, vcc, 0, v3, vcc
	v_lshlrev_b64 v[2:3], 2, v[2:3]
	v_mov_b32_e32 v1, s35
	v_add_co_u32_e32 v2, vcc, s34, v2
	s_sub_i32 s0, s36, s4
	v_addc_co_u32_e32 v3, vcc, v1, v3, vcc
.LBB272_28:                             ; =>This Inner Loop Header: Depth=1
	global_load_dword v1, v[2:3], off
	s_add_i32 s0, s0, -1
	s_cmp_lg_u32 s0, 0
	s_waitcnt vmcnt(0)
	v_mul_f32_e32 v1, v0, v1
	global_store_dword v[2:3], v1, off
	v_add_co_u32_e32 v2, vcc, 4, v2
	v_addc_co_u32_e32 v3, vcc, 0, v3, vcc
	s_cbranch_scc1 .LBB272_28
.LBB272_29:
	s_endpgm
	.section	.rodata,"a",@progbits
	.p2align	6, 0x0
	.amdhsa_kernel _ZN4vllm3moe17topkGatingSoftmaxItLi16ELi64ELi8ELi32ELb1ELi2ELNS0_23SharedExpertScoringFuncE1EEEvPKT_PKbPfiPiS9_iiiiii
		.amdhsa_group_segment_fixed_size 0
		.amdhsa_private_segment_fixed_size 0
		.amdhsa_kernarg_size 72
		.amdhsa_user_sgpr_count 6
		.amdhsa_user_sgpr_private_segment_buffer 1
		.amdhsa_user_sgpr_dispatch_ptr 0
		.amdhsa_user_sgpr_queue_ptr 0
		.amdhsa_user_sgpr_kernarg_segment_ptr 1
		.amdhsa_user_sgpr_dispatch_id 0
		.amdhsa_user_sgpr_flat_scratch_init 0
		.amdhsa_user_sgpr_kernarg_preload_length 0
		.amdhsa_user_sgpr_kernarg_preload_offset 0
		.amdhsa_user_sgpr_private_segment_size 0
		.amdhsa_uses_dynamic_stack 0
		.amdhsa_system_sgpr_private_segment_wavefront_offset 0
		.amdhsa_system_sgpr_workgroup_id_x 1
		.amdhsa_system_sgpr_workgroup_id_y 0
		.amdhsa_system_sgpr_workgroup_id_z 0
		.amdhsa_system_sgpr_workgroup_info 0
		.amdhsa_system_vgpr_workitem_id 1
		.amdhsa_next_free_vgpr 49
		.amdhsa_next_free_sgpr 54
		.amdhsa_accum_offset 52
		.amdhsa_reserve_vcc 1
		.amdhsa_reserve_flat_scratch 0
		.amdhsa_float_round_mode_32 0
		.amdhsa_float_round_mode_16_64 0
		.amdhsa_float_denorm_mode_32 3
		.amdhsa_float_denorm_mode_16_64 3
		.amdhsa_dx10_clamp 1
		.amdhsa_ieee_mode 1
		.amdhsa_fp16_overflow 0
		.amdhsa_tg_split 0
		.amdhsa_exception_fp_ieee_invalid_op 0
		.amdhsa_exception_fp_denorm_src 0
		.amdhsa_exception_fp_ieee_div_zero 0
		.amdhsa_exception_fp_ieee_overflow 0
		.amdhsa_exception_fp_ieee_underflow 0
		.amdhsa_exception_fp_ieee_inexact 0
		.amdhsa_exception_int_div_zero 0
	.end_amdhsa_kernel
	.section	.text._ZN4vllm3moe17topkGatingSoftmaxItLi16ELi64ELi8ELi32ELb1ELi2ELNS0_23SharedExpertScoringFuncE1EEEvPKT_PKbPfiPiS9_iiiiii,"axG",@progbits,_ZN4vllm3moe17topkGatingSoftmaxItLi16ELi64ELi8ELi32ELb1ELi2ELNS0_23SharedExpertScoringFuncE1EEEvPKT_PKbPfiPiS9_iiiiii,comdat
.Lfunc_end272:
	.size	_ZN4vllm3moe17topkGatingSoftmaxItLi16ELi64ELi8ELi32ELb1ELi2ELNS0_23SharedExpertScoringFuncE1EEEvPKT_PKbPfiPiS9_iiiiii, .Lfunc_end272-_ZN4vllm3moe17topkGatingSoftmaxItLi16ELi64ELi8ELi32ELb1ELi2ELNS0_23SharedExpertScoringFuncE1EEEvPKT_PKbPfiPiS9_iiiiii
                                        ; -- End function
	.section	.AMDGPU.csdata,"",@progbits
; Kernel info:
; codeLenInByte = 3232
; NumSgprs: 58
; NumVgprs: 49
; NumAgprs: 0
; TotalNumVgprs: 49
; ScratchSize: 0
; MemoryBound: 0
; FloatMode: 240
; IeeeMode: 1
; LDSByteSize: 0 bytes/workgroup (compile time only)
; SGPRBlocks: 7
; VGPRBlocks: 6
; NumSGPRsForWavesPerEU: 58
; NumVGPRsForWavesPerEU: 49
; AccumOffset: 52
; Occupancy: 8
; WaveLimiterHint : 0
; COMPUTE_PGM_RSRC2:SCRATCH_EN: 0
; COMPUTE_PGM_RSRC2:USER_SGPR: 6
; COMPUTE_PGM_RSRC2:TRAP_HANDLER: 0
; COMPUTE_PGM_RSRC2:TGID_X_EN: 1
; COMPUTE_PGM_RSRC2:TGID_Y_EN: 0
; COMPUTE_PGM_RSRC2:TGID_Z_EN: 0
; COMPUTE_PGM_RSRC2:TIDIG_COMP_CNT: 1
; COMPUTE_PGM_RSRC3_GFX90A:ACCUM_OFFSET: 12
; COMPUTE_PGM_RSRC3_GFX90A:TG_SPLIT: 0
	.section	.text._ZN4vllm3moe17topkGatingSoftmaxItLi16ELi64ELi8ELi32ELb0ELi2ELNS0_23SharedExpertScoringFuncE1EEEvPKT_PKbPfiPiS9_iiiiii,"axG",@progbits,_ZN4vllm3moe17topkGatingSoftmaxItLi16ELi64ELi8ELi32ELb0ELi2ELNS0_23SharedExpertScoringFuncE1EEEvPKT_PKbPfiPiS9_iiiiii,comdat
	.protected	_ZN4vllm3moe17topkGatingSoftmaxItLi16ELi64ELi8ELi32ELb0ELi2ELNS0_23SharedExpertScoringFuncE1EEEvPKT_PKbPfiPiS9_iiiiii ; -- Begin function _ZN4vllm3moe17topkGatingSoftmaxItLi16ELi64ELi8ELi32ELb0ELi2ELNS0_23SharedExpertScoringFuncE1EEEvPKT_PKbPfiPiS9_iiiiii
	.globl	_ZN4vllm3moe17topkGatingSoftmaxItLi16ELi64ELi8ELi32ELb0ELi2ELNS0_23SharedExpertScoringFuncE1EEEvPKT_PKbPfiPiS9_iiiiii
	.p2align	8
	.type	_ZN4vllm3moe17topkGatingSoftmaxItLi16ELi64ELi8ELi32ELb0ELi2ELNS0_23SharedExpertScoringFuncE1EEEvPKT_PKbPfiPiS9_iiiiii,@function
_ZN4vllm3moe17topkGatingSoftmaxItLi16ELi64ELi8ELi32ELb0ELi2ELNS0_23SharedExpertScoringFuncE1EEEvPKT_PKbPfiPiS9_iiiiii: ; @_ZN4vllm3moe17topkGatingSoftmaxItLi16ELi64ELi8ELi32ELb0ELi2ELNS0_23SharedExpertScoringFuncE1EEEvPKT_PKbPfiPiS9_iiiiii
; %bb.0:
	s_load_dword s33, s[4:5], 0x18
	v_bfe_u32 v1, v0, 10, 10
	v_and_b32_e32 v0, 0x3ff, v0
	s_lshl_b32 s50, s6, 7
	v_lshlrev_b32_e32 v40, 4, v1
	v_lshrrev_b32_e32 v41, 2, v0
	v_add3_u32 v22, s50, v40, v41
	s_waitcnt lgkmcnt(0)
	v_cmp_gt_i32_e32 vcc, s33, v22
	s_and_saveexec_b64 s[0:1], vcc
	s_cbranch_execz .LBB273_31
; %bb.1:
	s_load_dwordx4 s[0:3], s[4:5], 0x0
	s_load_dwordx2 s[34:35], s[4:5], 0x10
	s_waitcnt lgkmcnt(0)
	s_cmp_eq_u64 s[2:3], 0
	s_cbranch_scc1 .LBB273_3
; %bb.2:
	v_ashrrev_i32_e32 v1, 31, v22
	v_mov_b32_e32 v3, s3
	v_add_co_u32_e32 v2, vcc, s2, v22
	v_addc_co_u32_e32 v3, vcc, v3, v1, vcc
	global_load_ubyte v1, v[2:3], off
	s_waitcnt vmcnt(0)
	v_and_b32_e32 v1, 1, v1
	v_cmp_eq_u32_e32 vcc, 1, v1
	s_xor_b64 s[2:3], vcc, -1
	s_orn2_b64 s[46:47], s[2:3], exec
	s_branch .LBB273_4
.LBB273_3:
	s_mov_b64 s[46:47], -1
.LBB273_4:
	s_load_dwordx2 s[6:7], s[4:5], 0x40
	s_load_dwordx4 s[36:39], s[4:5], 0x30
	v_mov_b32_e32 v4, s1
	v_and_b32_e32 v23, 3, v0
	v_lshlrev_b32_e32 v0, 5, v23
	s_waitcnt lgkmcnt(0)
	v_mul_lo_u32 v2, v22, s7
	v_ashrrev_i32_e32 v3, 31, v2
	v_lshlrev_b64 v[2:3], 1, v[2:3]
	v_add_co_u32_e32 v1, vcc, s0, v2
	v_addc_co_u32_e32 v2, vcc, v4, v3, vcc
	v_add_co_u32_e32 v8, vcc, v1, v0
	v_addc_co_u32_e32 v9, vcc, 0, v2, vcc
	global_load_dwordx4 v[12:15], v[8:9], off offset:16
	global_load_dwordx4 v[4:7], v[8:9], off
	v_lshlrev_b32_e32 v26, 4, v23
	v_mov_b32_e32 v24, 0
	v_cmp_gt_u32_e32 vcc, 2, v23
	s_and_saveexec_b64 s[0:1], vcc
	s_cbranch_execz .LBB273_6
; %bb.5:
	v_lshlrev_b32_e32 v0, 1, v23
	v_add_co_u32_e32 v0, vcc, v1, v0
	v_addc_co_u32_e32 v1, vcc, 0, v2, vcc
	global_load_ushort v0, v[0:1], off offset:128
	s_mov_b32 s2, 0xbfb8aa3b
	s_mov_b32 s3, 0x42ce8ed0
	;; [unrolled: 1-line block ×3, first 2 shown]
	v_mov_b32_e32 v3, 0x7f800000
	v_mul_lo_u32 v1, v22, s39
	v_mov_b32_e32 v10, s35
	s_waitcnt vmcnt(0)
	v_cvt_f32_u32_e32 v2, v0
	v_mul_f32_e32 v0, 0xbfb8aa3b, v2
	v_fma_f32 v8, v2, s2, -v0
	v_rndne_f32_e32 v9, v0
	v_fmac_f32_e32 v8, 0xb2a5705f, v2
	v_sub_f32_e32 v0, v0, v9
	v_add_f32_e32 v0, v0, v8
	v_cvt_i32_f32_e32 v9, v9
	v_exp_f32_e32 v8, v0
	v_cmp_nlt_f32_e32 vcc, s3, v2
	v_add3_u32 v0, v1, s36, v23
	v_ashrrev_i32_e32 v1, 31, v0
	v_ldexp_f32 v8, v8, v9
	v_cndmask_b32_e32 v8, 0, v8, vcc
	v_cmp_ngt_f32_e32 vcc, s7, v2
	v_cndmask_b32_e32 v2, v3, v8, vcc
	v_add_f32_e32 v2, 1.0, v2
	v_div_scale_f32 v3, s[2:3], v2, v2, 1.0
	v_rcp_f32_e32 v8, v3
	v_div_scale_f32 v9, vcc, 1.0, v2, 1.0
	v_lshlrev_b64 v[0:1], 2, v[0:1]
	v_fma_f32 v11, -v3, v8, 1.0
	v_fmac_f32_e32 v8, v11, v8
	v_mul_f32_e32 v11, v9, v8
	v_fma_f32 v16, -v3, v11, v9
	v_fmac_f32_e32 v11, v16, v8
	v_fma_f32 v3, -v3, v11, v9
	v_div_fmas_f32 v3, v3, v8, v11
	v_add_co_u32_e32 v0, vcc, s34, v0
	v_div_fixup_f32 v2, v3, v2, 1.0
	v_addc_co_u32_e32 v1, vcc, v10, v1, vcc
	global_store_dword v[0:1], v2, off
.LBB273_6:
	s_or_b64 exec, exec, s[0:1]
	s_waitcnt vmcnt(0)
	v_cvt_f32_u32_sdwa v1, v4 dst_sel:DWORD dst_unused:UNUSED_PAD src0_sel:WORD_1
	v_cvt_f32_u32_sdwa v0, v4 dst_sel:DWORD dst_unused:UNUSED_PAD src0_sel:WORD_0
	v_cvt_f32_u32_sdwa v2, v5 dst_sel:DWORD dst_unused:UNUSED_PAD src0_sel:WORD_0
	v_or_b32_e32 v27, 1, v26
	v_or_b32_e32 v28, 2, v26
	v_cmp_lt_f32_e32 vcc, v0, v1
	v_cndmask_b32_e32 v4, v0, v1, vcc
	v_cndmask_b32_e32 v3, v26, v27, vcc
	v_cmp_lt_f32_e32 vcc, v4, v2
	v_cndmask_b32_e32 v8, v3, v28, vcc
	v_cvt_f32_u32_sdwa v3, v5 dst_sel:DWORD dst_unused:UNUSED_PAD src0_sel:WORD_1
	v_cndmask_b32_e32 v4, v4, v2, vcc
	v_or_b32_e32 v29, 3, v26
	v_or_b32_e32 v30, 4, v26
	v_cmp_lt_f32_e32 vcc, v4, v3
	v_cndmask_b32_e32 v5, v8, v29, vcc
	v_cndmask_b32_e32 v8, v4, v3, vcc
	v_cvt_f32_u32_sdwa v4, v6 dst_sel:DWORD dst_unused:UNUSED_PAD src0_sel:WORD_0
	v_or_b32_e32 v31, 5, v26
	v_or_b32_e32 v32, 6, v26
	;; [unrolled: 1-line block ×3, first 2 shown]
	v_cmp_lt_f32_e32 vcc, v8, v4
	v_cndmask_b32_e32 v9, v5, v30, vcc
	v_cvt_f32_u32_sdwa v5, v6 dst_sel:DWORD dst_unused:UNUSED_PAD src0_sel:WORD_1
	v_cvt_f32_u32_sdwa v6, v7 dst_sel:DWORD dst_unused:UNUSED_PAD src0_sel:WORD_0
	v_cndmask_b32_e32 v8, v8, v4, vcc
	v_cvt_f32_u32_sdwa v7, v7 dst_sel:DWORD dst_unused:UNUSED_PAD src0_sel:WORD_1
	v_cmp_lt_f32_e32 vcc, v8, v5
	v_cndmask_b32_e32 v8, v8, v5, vcc
	v_cndmask_b32_e32 v9, v9, v31, vcc
	v_cmp_lt_f32_e32 vcc, v8, v6
	v_cndmask_b32_e32 v8, v8, v6, vcc
	v_cndmask_b32_e32 v9, v9, v32, vcc
	v_cmp_lt_f32_e32 vcc, v8, v7
	v_cndmask_b32_e32 v10, v8, v7, vcc
	v_cvt_f32_u32_sdwa v8, v12 dst_sel:DWORD dst_unused:UNUSED_PAD src0_sel:WORD_0
	v_cndmask_b32_e32 v9, v9, v33, vcc
	v_or_b32_e32 v34, 8, v26
	v_or_b32_e32 v35, 9, v26
	v_cmp_lt_f32_e32 vcc, v10, v8
	v_cndmask_b32_e32 v11, v9, v34, vcc
	v_cvt_f32_u32_sdwa v9, v12 dst_sel:DWORD dst_unused:UNUSED_PAD src0_sel:WORD_1
	v_cndmask_b32_e32 v10, v10, v8, vcc
	v_or_b32_e32 v36, 10, v26
	v_or_b32_e32 v37, 11, v26
	v_cmp_lt_f32_e32 vcc, v10, v9
	v_cndmask_b32_e32 v12, v10, v9, vcc
	v_cvt_f32_u32_sdwa v10, v13 dst_sel:DWORD dst_unused:UNUSED_PAD src0_sel:WORD_0
	v_cndmask_b32_e32 v11, v11, v35, vcc
	v_or_b32_e32 v38, 12, v26
	v_or_b32_e32 v39, 13, v26
	v_cmp_lt_f32_e32 vcc, v12, v10
	v_cndmask_b32_e32 v16, v11, v36, vcc
	v_cvt_f32_u32_sdwa v11, v13 dst_sel:DWORD dst_unused:UNUSED_PAD src0_sel:WORD_1
	v_cndmask_b32_e32 v12, v12, v10, vcc
	v_or_b32_e32 v42, 14, v26
	v_or_b32_e32 v43, 15, v26
	v_cmp_lt_f32_e32 vcc, v12, v11
	v_cndmask_b32_e32 v13, v16, v37, vcc
	v_cndmask_b32_e32 v16, v12, v11, vcc
	v_cvt_f32_u32_sdwa v12, v14 dst_sel:DWORD dst_unused:UNUSED_PAD src0_sel:WORD_0
	v_cmp_lt_f32_e32 vcc, v16, v12
	v_cndmask_b32_e32 v17, v13, v38, vcc
	v_cvt_f32_u32_sdwa v13, v14 dst_sel:DWORD dst_unused:UNUSED_PAD src0_sel:WORD_1
	v_cvt_f32_u32_sdwa v14, v15 dst_sel:DWORD dst_unused:UNUSED_PAD src0_sel:WORD_0
	v_cndmask_b32_e32 v16, v16, v12, vcc
	v_cvt_f32_u32_sdwa v15, v15 dst_sel:DWORD dst_unused:UNUSED_PAD src0_sel:WORD_1
	v_cmp_lt_f32_e32 vcc, v16, v13
	v_cndmask_b32_e32 v16, v16, v13, vcc
	v_cndmask_b32_e32 v17, v17, v39, vcc
	v_cmp_lt_f32_e32 vcc, v16, v14
	v_cndmask_b32_e32 v16, v16, v14, vcc
	v_cndmask_b32_e32 v17, v17, v42, vcc
	v_cmp_lt_f32_e32 vcc, v16, v15
	v_cndmask_b32_e32 v17, v17, v43, vcc
	v_cndmask_b32_e32 v16, v16, v15, vcc
	s_nop 0
	v_mov_b32_dpp v19, v17 quad_perm:[1,0,3,2] row_mask:0xf bank_mask:0xf
	v_mov_b32_dpp v18, v16 quad_perm:[1,0,3,2] row_mask:0xf bank_mask:0xf
	v_cmp_eq_f32_e64 s[0:1], v16, v18
	v_cmp_lt_i32_e64 s[2:3], v19, v17
	v_cmp_lt_f32_e32 vcc, v16, v18
	s_and_b64 s[0:1], s[0:1], s[2:3]
	s_or_b64 vcc, vcc, s[0:1]
	v_cndmask_b32_e32 v18, v16, v18, vcc
	v_cndmask_b32_e32 v16, v17, v19, vcc
	s_nop 0
	v_mov_b32_dpp v19, v18 quad_perm:[2,3,0,1] row_mask:0xf bank_mask:0xf
	v_mov_b32_dpp v17, v16 quad_perm:[2,3,0,1] row_mask:0xf bank_mask:0xf
	v_cmp_eq_f32_e64 s[0:1], v18, v19
	v_cmp_lt_i32_e64 s[2:3], v17, v16
	v_cmp_lt_f32_e32 vcc, v18, v19
	s_and_b64 s[0:1], s[0:1], s[2:3]
	s_or_b64 s[0:1], vcc, s[0:1]
	s_cmp_gt_i32 s36, 0
	v_cndmask_b32_e64 v25, v18, v19, s[0:1]
	s_cselect_b64 s[44:45], -1, 0
	s_cmp_lt_i32 s36, 1
	v_cmp_eq_u32_e32 vcc, 0, v23
	s_cbranch_scc1 .LBB273_18
; %bb.7:
	s_load_dwordx4 s[40:43], s[4:5], 0x20
	v_cndmask_b32_e64 v44, v16, v17, s[0:1]
	v_mul_lo_u32 v20, v22, s39
	v_mul_lo_u32 v18, v22, s6
	v_mul_lo_u32 v16, v22, s36
	v_mov_b32_e32 v24, 0
	s_and_saveexec_b64 s[4:5], vcc
	s_cbranch_execz .LBB273_9
; %bb.8:
	v_sub_f32_e32 v17, v25, v25
	v_mul_f32_e32 v19, 0x3fb8aa3b, v17
	s_mov_b32 s0, 0x3fb8aa3b
	v_rndne_f32_e32 v21, v19
	v_sub_f32_e32 v24, v19, v21
	v_fma_f32 v19, v17, s0, -v19
	v_fmac_f32_e32 v19, 0x32a5705f, v17
	v_add_f32_e32 v19, v24, v19
	v_exp_f32_e32 v19, v19
	v_cvt_i32_f32_e32 v21, v21
	v_cmp_le_i32_e64 s[0:1], s37, v44
	v_cmp_gt_i32_e64 s[2:3], s38, v44
	s_and_b64 s[2:3], s[0:1], s[2:3]
	s_mov_b32 s0, 0xc2ce8ed0
	v_ldexp_f32 v19, v19, v21
	v_cmp_ngt_f32_e64 s[0:1], s0, v17
	v_cndmask_b32_e64 v19, 0, v19, s[0:1]
	s_mov_b32 s0, 0x42b17218
	v_mov_b32_e32 v21, 0x7f800000
	v_cmp_nlt_f32_e64 s[0:1], s0, v17
	v_cndmask_b32_e64 v24, v21, v19, s[0:1]
	v_ashrrev_i32_e32 v21, 31, v20
	v_lshlrev_b64 v[46:47], 2, v[20:21]
	v_mov_b32_e32 v17, s35
	v_add_co_u32_e64 v46, s[0:1], s34, v46
	v_addc_co_u32_e64 v47, s[0:1], v17, v47, s[0:1]
	v_ashrrev_i32_e32 v19, 31, v18
	global_store_dword v[46:47], v24, off
	v_subrev_u32_e32 v17, s37, v44
	s_and_b64 s[0:1], s[46:47], s[2:3]
	v_lshlrev_b64 v[46:47], 2, v[18:19]
	v_cndmask_b32_e64 v17, 64, v17, s[0:1]
	s_waitcnt lgkmcnt(0)
	v_mov_b32_e32 v19, s41
	v_add_co_u32_e64 v46, s[0:1], s40, v46
	v_addc_co_u32_e64 v47, s[0:1], v19, v47, s[0:1]
	global_store_dword v[46:47], v17, off
	v_ashrrev_i32_e32 v17, 31, v16
	v_lshlrev_b64 v[46:47], 2, v[16:17]
	v_mov_b32_e32 v17, s43
	v_add_co_u32_e64 v46, s[0:1], s42, v46
	v_addc_co_u32_e64 v47, s[0:1], v17, v47, s[0:1]
	global_store_dword v[46:47], v22, off
.LBB273_9:
	s_or_b64 exec, exec, s[4:5]
	v_ashrrev_i32_e32 v19, 31, v44
	v_lshrrev_b32_e32 v17, 28, v19
	v_add_u32_e32 v17, v44, v17
	v_ashrrev_i32_e32 v17, 4, v17
	v_lshrrev_b32_e32 v21, 30, v17
	v_add_u32_e32 v21, v17, v21
	v_and_b32_e32 v21, -4, v21
	v_sub_u32_e32 v21, v17, v21
	v_cmp_eq_u32_e64 s[0:1], v23, v21
	s_and_saveexec_b64 s[48:49], s[0:1]
	s_cbranch_execz .LBB273_11
; %bb.10:
	v_lshrrev_b32_e32 v19, 26, v19
	v_add_u32_e32 v19, v44, v19
	v_lshlrev_b32_e32 v17, 4, v17
	v_sub_u32_e32 v17, v44, v17
	v_ashrrev_i32_e32 v19, 6, v19
	v_lshl_add_u32 v17, v19, 4, v17
	v_mov_b32_e32 v19, 0xff800000
	v_cmp_ne_u32_e64 s[0:1], 14, v17
	v_cmp_ne_u32_e64 s[2:3], 13, v17
	;; [unrolled: 1-line block ×16, first 2 shown]
	v_cndmask_b32_e64 v15, v19, v15, s[30:31]
	v_cndmask_b32_e64 v14, v19, v14, s[0:1]
	;; [unrolled: 1-line block ×16, first 2 shown]
.LBB273_11:
	s_or_b64 exec, exec, s[48:49]
	s_cmp_eq_u32 s36, 1
	s_cbranch_scc1 .LBB273_18
; %bb.12:
	s_add_i32 s50, s50, s33
	s_add_i32 s51, s36, -1
	v_add3_u32 v40, s50, v41, v40
	v_add_u32_e32 v16, 1, v16
	v_add_u32_e32 v18, 1, v18
	;; [unrolled: 1-line block ×3, first 2 shown]
	s_mov_b32 s50, 0x3fb8aa3b
	s_mov_b32 s52, 0xc2ce8ed0
	;; [unrolled: 1-line block ×3, first 2 shown]
	v_mov_b32_e32 v41, 0x7f800000
	v_mov_b32_e32 v44, 0xff800000
	s_branch .LBB273_14
.LBB273_13:                             ;   in Loop: Header=BB273_14 Depth=1
	s_or_b64 exec, exec, s[48:49]
	s_add_i32 s51, s51, -1
	v_add_u32_e32 v40, s33, v40
	v_add_u32_e32 v16, 1, v16
	v_add_u32_e32 v18, 1, v18
	s_cmp_eq_u32 s51, 0
	v_add_u32_e32 v20, 1, v20
	s_cbranch_scc1 .LBB273_18
.LBB273_14:                             ; =>This Inner Loop Header: Depth=1
	v_cmp_gt_f32_e64 s[0:1], v1, v0
	v_cndmask_b32_e64 v19, v0, v1, s[0:1]
	v_cndmask_b32_e64 v17, v26, v27, s[0:1]
	v_cmp_gt_f32_e64 s[0:1], v2, v19
	v_cndmask_b32_e64 v19, v19, v2, s[0:1]
	v_cndmask_b32_e64 v17, v17, v28, s[0:1]
	;; [unrolled: 3-line block ×15, first 2 shown]
	s_nop 0
	v_mov_b32_dpp v45, v21 quad_perm:[1,0,3,2] row_mask:0xf bank_mask:0xf
	v_mov_b32_dpp v19, v17 quad_perm:[1,0,3,2] row_mask:0xf bank_mask:0xf
	v_cmp_eq_f32_e64 s[2:3], v17, v19
	v_cmp_lt_i32_e64 s[4:5], v45, v21
	v_cmp_lt_f32_e64 s[0:1], v17, v19
	s_and_b64 s[2:3], s[2:3], s[4:5]
	s_or_b64 s[0:1], s[0:1], s[2:3]
	v_cndmask_b32_e64 v17, v17, v19, s[0:1]
	v_cndmask_b32_e64 v21, v21, v45, s[0:1]
	s_nop 0
	v_mov_b32_dpp v19, v17 quad_perm:[2,3,0,1] row_mask:0xf bank_mask:0xf
	v_mov_b32_dpp v45, v21 quad_perm:[2,3,0,1] row_mask:0xf bank_mask:0xf
	v_cmp_eq_f32_e64 s[2:3], v17, v19
	v_cmp_lt_i32_e64 s[4:5], v45, v21
	v_cmp_lt_f32_e64 s[0:1], v17, v19
	s_and_b64 s[2:3], s[2:3], s[4:5]
	s_or_b64 s[0:1], s[0:1], s[2:3]
	v_cndmask_b32_e64 v45, v21, v45, s[0:1]
	s_and_saveexec_b64 s[4:5], vcc
	s_cbranch_execz .LBB273_16
; %bb.15:                               ;   in Loop: Header=BB273_14 Depth=1
	v_cndmask_b32_e64 v17, v17, v19, s[0:1]
	v_sub_f32_e32 v17, v17, v25
	v_mul_f32_e32 v19, 0x3fb8aa3b, v17
	v_fma_f32 v21, v17, s50, -v19
	v_rndne_f32_e32 v46, v19
	v_fmac_f32_e32 v21, 0x32a5705f, v17
	v_sub_f32_e32 v19, v19, v46
	v_add_f32_e32 v19, v19, v21
	v_exp_f32_e32 v19, v19
	v_cvt_i32_f32_e32 v21, v46
	v_cmp_le_i32_e64 s[0:1], s37, v45
	v_cmp_gt_i32_e64 s[2:3], s38, v45
	s_and_b64 s[2:3], s[0:1], s[2:3]
	v_ldexp_f32 v19, v19, v21
	v_cmp_ngt_f32_e64 s[0:1], s52, v17
	v_ashrrev_i32_e32 v21, 31, v20
	v_cndmask_b32_e64 v19, 0, v19, s[0:1]
	v_cmp_nlt_f32_e64 s[0:1], s53, v17
	v_lshlrev_b64 v[46:47], 2, v[20:21]
	v_cndmask_b32_e64 v48, v41, v19, s[0:1]
	v_mov_b32_e32 v17, s35
	v_add_co_u32_e64 v46, s[0:1], s34, v46
	v_addc_co_u32_e64 v47, s[0:1], v17, v47, s[0:1]
	v_ashrrev_i32_e32 v19, 31, v18
	global_store_dword v[46:47], v48, off
	v_subrev_u32_e32 v17, s37, v45
	s_and_b64 s[0:1], s[46:47], s[2:3]
	v_lshlrev_b64 v[46:47], 2, v[18:19]
	v_cndmask_b32_e64 v17, 64, v17, s[0:1]
	s_waitcnt lgkmcnt(0)
	v_mov_b32_e32 v19, s41
	v_add_co_u32_e64 v46, s[0:1], s40, v46
	v_addc_co_u32_e64 v47, s[0:1], v19, v47, s[0:1]
	global_store_dword v[46:47], v17, off
	v_ashrrev_i32_e32 v17, 31, v16
	v_lshlrev_b64 v[46:47], 2, v[16:17]
	v_mov_b32_e32 v17, s43
	v_add_co_u32_e64 v46, s[0:1], s42, v46
	v_addc_co_u32_e64 v47, s[0:1], v17, v47, s[0:1]
	v_add_f32_e32 v24, v24, v48
	global_store_dword v[46:47], v40, off
.LBB273_16:                             ;   in Loop: Header=BB273_14 Depth=1
	s_or_b64 exec, exec, s[4:5]
	v_ashrrev_i32_e32 v19, 31, v45
	v_lshrrev_b32_e32 v17, 28, v19
	v_add_u32_e32 v17, v45, v17
	v_ashrrev_i32_e32 v17, 4, v17
	v_lshrrev_b32_e32 v21, 30, v17
	v_add_u32_e32 v21, v17, v21
	v_and_b32_e32 v21, -4, v21
	v_sub_u32_e32 v21, v17, v21
	v_cmp_eq_u32_e64 s[0:1], v23, v21
	s_and_saveexec_b64 s[48:49], s[0:1]
	s_cbranch_execz .LBB273_13
; %bb.17:                               ;   in Loop: Header=BB273_14 Depth=1
	v_lshrrev_b32_e32 v19, 26, v19
	v_add_u32_e32 v19, v45, v19
	v_lshlrev_b32_e32 v17, 4, v17
	v_sub_u32_e32 v17, v45, v17
	v_ashrrev_i32_e32 v19, 6, v19
	v_lshl_add_u32 v17, v19, 4, v17
	v_cmp_ne_u32_e64 s[0:1], 14, v17
	v_cmp_ne_u32_e64 s[2:3], 13, v17
	;; [unrolled: 1-line block ×16, first 2 shown]
	v_cndmask_b32_e64 v15, v44, v15, s[30:31]
	v_cndmask_b32_e64 v14, v44, v14, s[0:1]
	;; [unrolled: 1-line block ×16, first 2 shown]
	s_branch .LBB273_13
.LBB273_18:
	v_sub_f32_e32 v0, v0, v25
	s_mov_b32 s2, 0x3fb8aa3b
	v_mul_f32_e32 v16, 0x3fb8aa3b, v0
	v_fma_f32 v17, v0, s2, -v16
	v_rndne_f32_e32 v18, v16
	v_fmac_f32_e32 v17, 0x32a5705f, v0
	v_sub_f32_e32 v16, v16, v18
	v_add_f32_e32 v16, v16, v17
	v_exp_f32_e32 v16, v16
	v_cvt_i32_f32_e32 v17, v18
	v_sub_f32_e32 v1, v1, v25
	s_mov_b32 s4, 0xc2ce8ed0
	s_mov_b32 s3, 0x42b17218
	v_ldexp_f32 v16, v16, v17
	v_mul_f32_e32 v17, 0x3fb8aa3b, v1
	v_fma_f32 v18, v1, s2, -v17
	v_rndne_f32_e32 v19, v17
	v_fmac_f32_e32 v18, 0x32a5705f, v1
	v_sub_f32_e32 v17, v17, v19
	v_add_f32_e32 v17, v17, v18
	v_exp_f32_e32 v17, v17
	v_cvt_i32_f32_e32 v18, v19
	v_cmp_ngt_f32_e32 vcc, s4, v1
	v_cmp_ngt_f32_e64 s[0:1], s4, v0
	v_sub_f32_e32 v2, v2, v25
	v_ldexp_f32 v17, v17, v18
	v_cndmask_b32_e32 v17, 0, v17, vcc
	v_mov_b32_e32 v18, 0x7f800000
	v_cmp_nlt_f32_e32 vcc, s3, v1
	v_cndmask_b32_e64 v1, 0, v16, s[0:1]
	v_cmp_nlt_f32_e64 s[0:1], s3, v0
	v_cndmask_b32_e64 v0, v18, v1, s[0:1]
	v_cndmask_b32_e32 v1, v18, v17, vcc
	v_add_f32_e32 v0, v0, v1
	v_mul_f32_e32 v1, 0x3fb8aa3b, v2
	v_fma_f32 v16, v2, s2, -v1
	v_rndne_f32_e32 v17, v1
	v_fmac_f32_e32 v16, 0x32a5705f, v2
	v_sub_f32_e32 v1, v1, v17
	v_add_f32_e32 v1, v1, v16
	v_exp_f32_e32 v1, v1
	v_cvt_i32_f32_e32 v16, v17
	v_cmp_ngt_f32_e32 vcc, s4, v2
	v_sub_f32_e32 v3, v3, v25
	v_sub_f32_e32 v4, v4, v25
	v_ldexp_f32 v1, v1, v16
	v_cndmask_b32_e32 v1, 0, v1, vcc
	v_cmp_nlt_f32_e32 vcc, s3, v2
	v_cndmask_b32_e32 v1, v18, v1, vcc
	v_add_f32_e32 v0, v0, v1
	v_mul_f32_e32 v1, 0x3fb8aa3b, v3
	v_fma_f32 v2, v3, s2, -v1
	v_rndne_f32_e32 v16, v1
	v_fmac_f32_e32 v2, 0x32a5705f, v3
	v_sub_f32_e32 v1, v1, v16
	v_add_f32_e32 v1, v1, v2
	v_exp_f32_e32 v1, v1
	v_cvt_i32_f32_e32 v2, v16
	v_cmp_ngt_f32_e32 vcc, s4, v3
	v_sub_f32_e32 v5, v5, v25
	v_sub_f32_e32 v6, v6, v25
	v_ldexp_f32 v1, v1, v2
	v_cndmask_b32_e32 v1, 0, v1, vcc
	v_cmp_nlt_f32_e32 vcc, s3, v3
	;; [unrolled: 16-line block ×5, first 2 shown]
	v_cndmask_b32_e32 v1, v18, v1, vcc
	v_add_f32_e32 v0, v0, v1
	v_mul_f32_e32 v1, 0x3fb8aa3b, v7
	v_fma_f32 v2, v7, s2, -v1
	v_rndne_f32_e32 v3, v1
	v_fmac_f32_e32 v2, 0x32a5705f, v7
	v_sub_f32_e32 v1, v1, v3
	v_add_f32_e32 v1, v1, v2
	v_exp_f32_e32 v1, v1
	v_cvt_i32_f32_e32 v2, v3
	v_cmp_ngt_f32_e32 vcc, s4, v7
	v_ldexp_f32 v1, v1, v2
	v_mul_f32_e32 v2, 0x3fb8aa3b, v8
	v_fma_f32 v3, v8, s2, -v2
	v_rndne_f32_e32 v4, v2
	v_fmac_f32_e32 v3, 0x32a5705f, v8
	v_sub_f32_e32 v2, v2, v4
	v_add_f32_e32 v2, v2, v3
	v_exp_f32_e32 v2, v2
	v_cvt_i32_f32_e32 v3, v4
	v_cndmask_b32_e32 v1, 0, v1, vcc
	v_cmp_nlt_f32_e32 vcc, s3, v7
	v_cndmask_b32_e32 v1, v18, v1, vcc
	v_add_f32_e32 v0, v0, v1
	v_ldexp_f32 v1, v2, v3
	v_mul_f32_e32 v2, 0x3fb8aa3b, v9
	v_fma_f32 v3, v9, s2, -v2
	v_rndne_f32_e32 v4, v2
	v_fmac_f32_e32 v3, 0x32a5705f, v9
	v_sub_f32_e32 v2, v2, v4
	v_add_f32_e32 v2, v2, v3
	v_exp_f32_e32 v2, v2
	v_cvt_i32_f32_e32 v3, v4
	v_cmp_ngt_f32_e32 vcc, s4, v8
	v_cndmask_b32_e32 v1, 0, v1, vcc
	v_cmp_nlt_f32_e32 vcc, s3, v8
	v_cndmask_b32_e32 v1, v18, v1, vcc
	v_add_f32_e32 v0, v0, v1
	v_ldexp_f32 v1, v2, v3
	v_mul_f32_e32 v2, 0x3fb8aa3b, v10
	v_fma_f32 v3, v10, s2, -v2
	v_rndne_f32_e32 v4, v2
	v_fmac_f32_e32 v3, 0x32a5705f, v10
	v_sub_f32_e32 v2, v2, v4
	v_add_f32_e32 v2, v2, v3
	v_exp_f32_e32 v2, v2
	v_cvt_i32_f32_e32 v3, v4
	v_cmp_ngt_f32_e32 vcc, s4, v9
	;; [unrolled: 14-line block ×4, first 2 shown]
	v_cndmask_b32_e32 v1, 0, v1, vcc
	v_cmp_nlt_f32_e32 vcc, s3, v11
	v_cndmask_b32_e32 v1, v18, v1, vcc
	v_add_f32_e32 v0, v0, v1
	v_ldexp_f32 v1, v2, v3
	v_sub_f32_e32 v2, v13, v25
	v_mul_f32_e32 v3, 0x3fb8aa3b, v2
	v_fma_f32 v4, v2, s2, -v3
	v_rndne_f32_e32 v5, v3
	v_fmac_f32_e32 v4, 0x32a5705f, v2
	v_sub_f32_e32 v3, v3, v5
	v_add_f32_e32 v3, v3, v4
	v_exp_f32_e32 v3, v3
	v_cvt_i32_f32_e32 v4, v5
	v_cmp_ngt_f32_e32 vcc, s4, v12
	v_cndmask_b32_e32 v1, 0, v1, vcc
	v_cmp_nlt_f32_e32 vcc, s3, v12
	v_cndmask_b32_e32 v1, v18, v1, vcc
	v_add_f32_e32 v0, v0, v1
	v_ldexp_f32 v1, v3, v4
	v_sub_f32_e32 v3, v14, v25
	v_mul_f32_e32 v4, 0x3fb8aa3b, v3
	v_fma_f32 v5, v3, s2, -v4
	v_rndne_f32_e32 v6, v4
	v_fmac_f32_e32 v5, 0x32a5705f, v3
	v_sub_f32_e32 v4, v4, v6
	v_add_f32_e32 v4, v4, v5
	v_exp_f32_e32 v4, v4
	v_cvt_i32_f32_e32 v5, v6
	v_cmp_ngt_f32_e32 vcc, s4, v2
	v_cndmask_b32_e32 v1, 0, v1, vcc
	v_cmp_nlt_f32_e32 vcc, s3, v2
	v_cndmask_b32_e32 v1, v18, v1, vcc
	v_sub_f32_e32 v2, v15, v25
	v_add_f32_e32 v0, v0, v1
	v_ldexp_f32 v1, v4, v5
	v_mul_f32_e32 v4, 0x3fb8aa3b, v2
	v_fma_f32 v5, v2, s2, -v4
	v_rndne_f32_e32 v6, v4
	v_fmac_f32_e32 v5, 0x32a5705f, v2
	v_sub_f32_e32 v4, v4, v6
	v_add_f32_e32 v4, v4, v5
	v_exp_f32_e32 v4, v4
	v_cvt_i32_f32_e32 v5, v6
	v_cmp_ngt_f32_e32 vcc, s4, v3
	v_cndmask_b32_e32 v1, 0, v1, vcc
	v_cmp_nlt_f32_e32 vcc, s3, v3
	v_cndmask_b32_e32 v1, v18, v1, vcc
	v_add_f32_e32 v0, v0, v1
	v_ldexp_f32 v1, v4, v5
	v_cmp_ngt_f32_e32 vcc, s4, v2
	v_cndmask_b32_e32 v1, 0, v1, vcc
	v_cmp_nlt_f32_e32 vcc, s3, v2
	v_cndmask_b32_e32 v1, v18, v1, vcc
	v_add_f32_e32 v0, v0, v1
	v_cmp_eq_u32_e32 vcc, 0, v23
	s_nop 0
	v_mov_b32_dpp v1, v0 quad_perm:[1,0,3,2] row_mask:0xf bank_mask:0xf
	v_add_f32_e32 v0, v0, v1
	s_nop 1
	v_mov_b32_dpp v1, v0 quad_perm:[2,3,0,1] row_mask:0xf bank_mask:0xf
	s_and_b64 exec, exec, vcc
	s_cbranch_execz .LBB273_31
; %bb.19:
	v_add_f32_e32 v0, v0, v1
	v_add_f32_e32 v0, v24, v0
	v_cmp_neq_f32_e32 vcc, 0, v0
	s_and_b64 exec, exec, vcc
	s_cbranch_execz .LBB273_31
; %bb.20:
	s_andn2_b64 vcc, exec, s[44:45]
	s_cbranch_vccnz .LBB273_31
; %bb.21:
	v_div_scale_f32 v1, s[0:1], v0, v0, 1.0
	v_rcp_f32_e32 v2, v1
	v_div_scale_f32 v3, vcc, 1.0, v0, 1.0
	s_cmp_gt_u32 s36, 3
	v_fma_f32 v4, -v1, v2, 1.0
	v_fmac_f32_e32 v2, v4, v2
	v_mul_f32_e32 v4, v3, v2
	v_fma_f32 v5, -v1, v4, v3
	v_fmac_f32_e32 v4, v5, v2
	v_fma_f32 v1, -v1, v4, v3
	v_div_fmas_f32 v1, v1, v2, v4
	v_mul_lo_u32 v2, v22, s39
	v_div_fixup_f32 v0, v1, v0, 1.0
	v_ashrrev_i32_e32 v3, 31, v2
	s_cbranch_scc0 .LBB273_25
; %bb.22:
	v_lshlrev_b64 v[4:5], 2, v[2:3]
	v_mov_b32_e32 v6, s35
	v_add_co_u32_e32 v4, vcc, s34, v4
	v_addc_co_u32_e32 v5, vcc, v5, v6, vcc
	s_and_b32 s4, s36, 0x7ffffffc
	v_add_co_u32_e32 v4, vcc, 8, v4
	v_mov_b32_e32 v1, v0
	v_addc_co_u32_e32 v5, vcc, 0, v5, vcc
	s_mov_b32 s0, s4
.LBB273_23:                             ; =>This Inner Loop Header: Depth=1
	global_load_dwordx4 v[6:9], v[4:5], off offset:-8
	s_add_i32 s0, s0, -4
	s_cmp_lg_u32 s0, 0
	s_waitcnt vmcnt(0)
	v_pk_mul_f32 v[6:7], v[0:1], v[6:7]
	v_pk_mul_f32 v[8:9], v[0:1], v[8:9]
	global_store_dwordx4 v[4:5], v[6:9], off offset:-8
	v_add_co_u32_e32 v4, vcc, 16, v4
	v_addc_co_u32_e32 v5, vcc, 0, v5, vcc
	s_cbranch_scc1 .LBB273_23
; %bb.24:
	s_cmp_lg_u32 s4, s36
	s_mov_b64 s[2:3], 0
	s_cselect_b64 s[0:1], -1, 0
	s_branch .LBB273_26
.LBB273_25:
	s_mov_b64 s[2:3], -1
	s_mov_b64 s[0:1], 0
                                        ; implicit-def: $sgpr4
.LBB273_26:
	s_and_b64 vcc, exec, s[2:3]
	s_cbranch_vccz .LBB273_28
; %bb.27:
	s_mov_b64 s[0:1], -1
	s_mov_b32 s4, 0
.LBB273_28:
	s_andn2_b64 vcc, exec, s[0:1]
	s_cbranch_vccnz .LBB273_31
; %bb.29:
	v_add_co_u32_e32 v2, vcc, s4, v2
	v_addc_co_u32_e32 v3, vcc, 0, v3, vcc
	v_lshlrev_b64 v[2:3], 2, v[2:3]
	v_mov_b32_e32 v1, s35
	v_add_co_u32_e32 v2, vcc, s34, v2
	s_sub_i32 s0, s36, s4
	v_addc_co_u32_e32 v3, vcc, v1, v3, vcc
.LBB273_30:                             ; =>This Inner Loop Header: Depth=1
	global_load_dword v1, v[2:3], off
	s_add_i32 s0, s0, -1
	s_cmp_lg_u32 s0, 0
	s_waitcnt vmcnt(0)
	v_mul_f32_e32 v1, v0, v1
	global_store_dword v[2:3], v1, off
	v_add_co_u32_e32 v2, vcc, 4, v2
	v_addc_co_u32_e32 v3, vcc, 0, v3, vcc
	s_cbranch_scc1 .LBB273_30
.LBB273_31:
	s_endpgm
	.section	.rodata,"a",@progbits
	.p2align	6, 0x0
	.amdhsa_kernel _ZN4vllm3moe17topkGatingSoftmaxItLi16ELi64ELi8ELi32ELb0ELi2ELNS0_23SharedExpertScoringFuncE1EEEvPKT_PKbPfiPiS9_iiiiii
		.amdhsa_group_segment_fixed_size 0
		.amdhsa_private_segment_fixed_size 0
		.amdhsa_kernarg_size 72
		.amdhsa_user_sgpr_count 6
		.amdhsa_user_sgpr_private_segment_buffer 1
		.amdhsa_user_sgpr_dispatch_ptr 0
		.amdhsa_user_sgpr_queue_ptr 0
		.amdhsa_user_sgpr_kernarg_segment_ptr 1
		.amdhsa_user_sgpr_dispatch_id 0
		.amdhsa_user_sgpr_flat_scratch_init 0
		.amdhsa_user_sgpr_kernarg_preload_length 0
		.amdhsa_user_sgpr_kernarg_preload_offset 0
		.amdhsa_user_sgpr_private_segment_size 0
		.amdhsa_uses_dynamic_stack 0
		.amdhsa_system_sgpr_private_segment_wavefront_offset 0
		.amdhsa_system_sgpr_workgroup_id_x 1
		.amdhsa_system_sgpr_workgroup_id_y 0
		.amdhsa_system_sgpr_workgroup_id_z 0
		.amdhsa_system_sgpr_workgroup_info 0
		.amdhsa_system_vgpr_workitem_id 1
		.amdhsa_next_free_vgpr 49
		.amdhsa_next_free_sgpr 54
		.amdhsa_accum_offset 52
		.amdhsa_reserve_vcc 1
		.amdhsa_reserve_flat_scratch 0
		.amdhsa_float_round_mode_32 0
		.amdhsa_float_round_mode_16_64 0
		.amdhsa_float_denorm_mode_32 3
		.amdhsa_float_denorm_mode_16_64 3
		.amdhsa_dx10_clamp 1
		.amdhsa_ieee_mode 1
		.amdhsa_fp16_overflow 0
		.amdhsa_tg_split 0
		.amdhsa_exception_fp_ieee_invalid_op 0
		.amdhsa_exception_fp_denorm_src 0
		.amdhsa_exception_fp_ieee_div_zero 0
		.amdhsa_exception_fp_ieee_overflow 0
		.amdhsa_exception_fp_ieee_underflow 0
		.amdhsa_exception_fp_ieee_inexact 0
		.amdhsa_exception_int_div_zero 0
	.end_amdhsa_kernel
	.section	.text._ZN4vllm3moe17topkGatingSoftmaxItLi16ELi64ELi8ELi32ELb0ELi2ELNS0_23SharedExpertScoringFuncE1EEEvPKT_PKbPfiPiS9_iiiiii,"axG",@progbits,_ZN4vllm3moe17topkGatingSoftmaxItLi16ELi64ELi8ELi32ELb0ELi2ELNS0_23SharedExpertScoringFuncE1EEEvPKT_PKbPfiPiS9_iiiiii,comdat
.Lfunc_end273:
	.size	_ZN4vllm3moe17topkGatingSoftmaxItLi16ELi64ELi8ELi32ELb0ELi2ELNS0_23SharedExpertScoringFuncE1EEEvPKT_PKbPfiPiS9_iiiiii, .Lfunc_end273-_ZN4vllm3moe17topkGatingSoftmaxItLi16ELi64ELi8ELi32ELb0ELi2ELNS0_23SharedExpertScoringFuncE1EEEvPKT_PKbPfiPiS9_iiiiii
                                        ; -- End function
	.section	.AMDGPU.csdata,"",@progbits
; Kernel info:
; codeLenInByte = 4540
; NumSgprs: 58
; NumVgprs: 49
; NumAgprs: 0
; TotalNumVgprs: 49
; ScratchSize: 0
; MemoryBound: 0
; FloatMode: 240
; IeeeMode: 1
; LDSByteSize: 0 bytes/workgroup (compile time only)
; SGPRBlocks: 7
; VGPRBlocks: 6
; NumSGPRsForWavesPerEU: 58
; NumVGPRsForWavesPerEU: 49
; AccumOffset: 52
; Occupancy: 8
; WaveLimiterHint : 0
; COMPUTE_PGM_RSRC2:SCRATCH_EN: 0
; COMPUTE_PGM_RSRC2:USER_SGPR: 6
; COMPUTE_PGM_RSRC2:TRAP_HANDLER: 0
; COMPUTE_PGM_RSRC2:TGID_X_EN: 1
; COMPUTE_PGM_RSRC2:TGID_Y_EN: 0
; COMPUTE_PGM_RSRC2:TGID_Z_EN: 0
; COMPUTE_PGM_RSRC2:TIDIG_COMP_CNT: 1
; COMPUTE_PGM_RSRC3_GFX90A:ACCUM_OFFSET: 12
; COMPUTE_PGM_RSRC3_GFX90A:TG_SPLIT: 0
	.section	.text._ZN4vllm3moe17topkGatingSoftmaxItLi16ELi64ELi8ELi32ELb1ELi4ELNS0_23SharedExpertScoringFuncE1EEEvPKT_PKbPfiPiS9_iiiiii,"axG",@progbits,_ZN4vllm3moe17topkGatingSoftmaxItLi16ELi64ELi8ELi32ELb1ELi4ELNS0_23SharedExpertScoringFuncE1EEEvPKT_PKbPfiPiS9_iiiiii,comdat
	.protected	_ZN4vllm3moe17topkGatingSoftmaxItLi16ELi64ELi8ELi32ELb1ELi4ELNS0_23SharedExpertScoringFuncE1EEEvPKT_PKbPfiPiS9_iiiiii ; -- Begin function _ZN4vllm3moe17topkGatingSoftmaxItLi16ELi64ELi8ELi32ELb1ELi4ELNS0_23SharedExpertScoringFuncE1EEEvPKT_PKbPfiPiS9_iiiiii
	.globl	_ZN4vllm3moe17topkGatingSoftmaxItLi16ELi64ELi8ELi32ELb1ELi4ELNS0_23SharedExpertScoringFuncE1EEEvPKT_PKbPfiPiS9_iiiiii
	.p2align	8
	.type	_ZN4vllm3moe17topkGatingSoftmaxItLi16ELi64ELi8ELi32ELb1ELi4ELNS0_23SharedExpertScoringFuncE1EEEvPKT_PKbPfiPiS9_iiiiii,@function
_ZN4vllm3moe17topkGatingSoftmaxItLi16ELi64ELi8ELi32ELb1ELi4ELNS0_23SharedExpertScoringFuncE1EEEvPKT_PKbPfiPiS9_iiiiii: ; @_ZN4vllm3moe17topkGatingSoftmaxItLi16ELi64ELi8ELi32ELb1ELi4ELNS0_23SharedExpertScoringFuncE1EEEvPKT_PKbPfiPiS9_iiiiii
; %bb.0:
	s_load_dword s33, s[4:5], 0x18
	v_bfe_u32 v1, v0, 10, 10
	v_and_b32_e32 v0, 0x3ff, v0
	s_lshl_b32 s50, s6, 7
	v_lshlrev_b32_e32 v22, 4, v1
	v_lshrrev_b32_e32 v23, 2, v0
	v_add3_u32 v43, s50, v22, v23
	s_waitcnt lgkmcnt(0)
	v_cmp_gt_i32_e32 vcc, s33, v43
	s_and_saveexec_b64 s[0:1], vcc
	s_cbranch_execz .LBB274_27
; %bb.1:
	s_load_dwordx4 s[0:3], s[4:5], 0x0
	s_load_dwordx2 s[34:35], s[4:5], 0x10
	s_waitcnt lgkmcnt(0)
	s_cmp_eq_u64 s[2:3], 0
	s_cbranch_scc1 .LBB274_3
; %bb.2:
	v_ashrrev_i32_e32 v1, 31, v43
	v_mov_b32_e32 v3, s3
	v_add_co_u32_e32 v2, vcc, s2, v43
	v_addc_co_u32_e32 v3, vcc, v3, v1, vcc
	global_load_ubyte v1, v[2:3], off
	s_waitcnt vmcnt(0)
	v_and_b32_e32 v1, 1, v1
	v_cmp_eq_u32_e32 vcc, 1, v1
	s_xor_b64 s[2:3], vcc, -1
	s_orn2_b64 s[44:45], s[2:3], exec
	s_branch .LBB274_4
.LBB274_3:
	s_mov_b64 s[44:45], -1
.LBB274_4:
	s_load_dwordx2 s[8:9], s[4:5], 0x40
	s_load_dwordx4 s[36:39], s[4:5], 0x30
	v_mov_b32_e32 v1, s1
	v_and_b32_e32 v24, 3, v0
	v_lshlrev_b32_e32 v0, 1, v24
	s_waitcnt lgkmcnt(0)
	v_mul_lo_u32 v2, v43, s9
	v_ashrrev_i32_e32 v3, 31, v2
	v_lshlrev_b64 v[2:3], 1, v[2:3]
	v_add_co_u32_e32 v2, vcc, s0, v2
	v_addc_co_u32_e32 v3, vcc, v1, v3, vcc
	v_add_co_u32_e32 v0, vcc, v2, v0
	v_addc_co_u32_e32 v1, vcc, 0, v3, vcc
	global_load_ushort v8, v[0:1], off offset:128
	v_lshlrev_b32_e32 v4, 5, v24
	v_add_co_u32_e32 v0, vcc, v2, v4
	v_addc_co_u32_e32 v1, vcc, 0, v3, vcc
	global_load_dwordx4 v[4:7], v[0:1], off
	global_load_dwordx4 v[12:15], v[0:1], off offset:16
	v_mul_lo_u32 v16, v43, s39
	v_add3_u32 v0, v16, s36, v24
	v_ashrrev_i32_e32 v1, 31, v0
	s_mov_b32 s0, 0xbfb8aa3b
	v_lshlrev_b64 v[2:3], 2, v[0:1]
	s_mov_b32 s1, 0x42ce8ed0
	s_mov_b32 s2, 0xc2b17218
	v_mov_b32_e32 v9, 0x7f800000
	v_mov_b32_e32 v10, s35
	v_add_co_u32_e32 v2, vcc, s34, v2
	v_lshlrev_b32_e32 v25, 4, v24
	v_addc_co_u32_e32 v3, vcc, v10, v3, vcc
	v_or_b32_e32 v26, 1, v25
	v_or_b32_e32 v27, 2, v25
	;; [unrolled: 1-line block ×15, first 2 shown]
	v_mov_b32_e32 v41, 0
	s_waitcnt vmcnt(2)
	v_cvt_f32_u32_e32 v8, v8
	s_waitcnt vmcnt(1)
	v_cvt_f32_u32_sdwa v1, v4 dst_sel:DWORD dst_unused:UNUSED_PAD src0_sel:WORD_1
	v_cvt_f32_u32_sdwa v0, v4 dst_sel:DWORD dst_unused:UNUSED_PAD src0_sel:WORD_0
	v_mul_f32_e32 v4, 0xbfb8aa3b, v8
	v_fma_f32 v11, v8, s0, -v4
	v_rndne_f32_e32 v17, v4
	v_fmac_f32_e32 v11, 0xb2a5705f, v8
	v_sub_f32_e32 v4, v4, v17
	v_add_f32_e32 v4, v4, v11
	v_cvt_i32_f32_e32 v17, v17
	v_exp_f32_e32 v4, v4
	v_cmp_nlt_f32_e64 s[0:1], s1, v8
	v_cmp_lt_f32_e32 vcc, v0, v1
	v_cndmask_b32_e32 v10, v25, v26, vcc
	v_ldexp_f32 v4, v4, v17
	v_cndmask_b32_e64 v4, 0, v4, s[0:1]
	v_cmp_ngt_f32_e64 s[0:1], s2, v8
	v_cndmask_b32_e64 v4, v9, v4, s[0:1]
	v_add_f32_e32 v4, 1.0, v4
	v_div_scale_f32 v8, s[0:1], v4, v4, 1.0
	v_rcp_f32_e32 v9, v8
	v_cndmask_b32_e32 v11, v0, v1, vcc
	v_div_scale_f32 v17, vcc, 1.0, v4, 1.0
	v_fma_f32 v18, -v8, v9, 1.0
	v_fmac_f32_e32 v9, v18, v9
	v_mul_f32_e32 v18, v17, v9
	v_fma_f32 v19, -v8, v18, v17
	v_fmac_f32_e32 v18, v19, v9
	v_fma_f32 v8, -v8, v18, v17
	v_div_fmas_f32 v8, v8, v9, v18
	v_div_fixup_f32 v4, v8, v4, 1.0
	global_store_dword v[2:3], v4, off
	v_cvt_f32_u32_sdwa v2, v5 dst_sel:DWORD dst_unused:UNUSED_PAD src0_sel:WORD_0
	v_cvt_f32_u32_sdwa v3, v5 dst_sel:DWORD dst_unused:UNUSED_PAD src0_sel:WORD_1
	v_cmp_lt_f32_e32 vcc, v11, v2
	v_cndmask_b32_e32 v8, v11, v2, vcc
	v_cndmask_b32_e32 v4, v10, v27, vcc
	v_cmp_lt_f32_e32 vcc, v8, v3
	v_cndmask_b32_e32 v5, v4, v28, vcc
	v_cvt_f32_u32_sdwa v4, v6 dst_sel:DWORD dst_unused:UNUSED_PAD src0_sel:WORD_0
	v_cndmask_b32_e32 v8, v8, v3, vcc
	v_cmp_lt_f32_e32 vcc, v8, v4
	v_cndmask_b32_e32 v9, v5, v29, vcc
	v_cvt_f32_u32_sdwa v5, v6 dst_sel:DWORD dst_unused:UNUSED_PAD src0_sel:WORD_1
	v_cvt_f32_u32_sdwa v6, v7 dst_sel:DWORD dst_unused:UNUSED_PAD src0_sel:WORD_0
	v_cndmask_b32_e32 v8, v8, v4, vcc
	v_cvt_f32_u32_sdwa v7, v7 dst_sel:DWORD dst_unused:UNUSED_PAD src0_sel:WORD_1
	v_cmp_lt_f32_e32 vcc, v8, v5
	v_cndmask_b32_e32 v8, v8, v5, vcc
	v_cndmask_b32_e32 v9, v9, v30, vcc
	v_cmp_lt_f32_e32 vcc, v8, v6
	v_cndmask_b32_e32 v8, v8, v6, vcc
	v_cndmask_b32_e32 v9, v9, v31, vcc
	v_cmp_lt_f32_e32 vcc, v8, v7
	v_cndmask_b32_e32 v10, v8, v7, vcc
	s_waitcnt vmcnt(1)
	v_cvt_f32_u32_sdwa v8, v12 dst_sel:DWORD dst_unused:UNUSED_PAD src0_sel:WORD_0
	v_cndmask_b32_e32 v9, v9, v32, vcc
	v_cmp_lt_f32_e32 vcc, v10, v8
	v_cndmask_b32_e32 v11, v9, v33, vcc
	v_cvt_f32_u32_sdwa v9, v12 dst_sel:DWORD dst_unused:UNUSED_PAD src0_sel:WORD_1
	v_cndmask_b32_e32 v10, v10, v8, vcc
	v_cmp_lt_f32_e32 vcc, v10, v9
	v_cndmask_b32_e32 v12, v10, v9, vcc
	v_cvt_f32_u32_sdwa v10, v13 dst_sel:DWORD dst_unused:UNUSED_PAD src0_sel:WORD_0
	v_cndmask_b32_e32 v11, v11, v34, vcc
	v_cmp_lt_f32_e32 vcc, v12, v10
	v_cndmask_b32_e32 v17, v11, v35, vcc
	v_cvt_f32_u32_sdwa v11, v13 dst_sel:DWORD dst_unused:UNUSED_PAD src0_sel:WORD_1
	v_cndmask_b32_e32 v12, v12, v10, vcc
	v_cmp_lt_f32_e32 vcc, v12, v11
	v_cndmask_b32_e32 v13, v17, v36, vcc
	v_cndmask_b32_e32 v17, v12, v11, vcc
	v_cvt_f32_u32_sdwa v12, v14 dst_sel:DWORD dst_unused:UNUSED_PAD src0_sel:WORD_0
	v_cmp_lt_f32_e32 vcc, v17, v12
	v_cndmask_b32_e32 v18, v13, v37, vcc
	v_cvt_f32_u32_sdwa v13, v14 dst_sel:DWORD dst_unused:UNUSED_PAD src0_sel:WORD_1
	v_cvt_f32_u32_sdwa v14, v15 dst_sel:DWORD dst_unused:UNUSED_PAD src0_sel:WORD_0
	v_cndmask_b32_e32 v17, v17, v12, vcc
	v_cvt_f32_u32_sdwa v15, v15 dst_sel:DWORD dst_unused:UNUSED_PAD src0_sel:WORD_1
	v_cmp_lt_f32_e32 vcc, v17, v13
	v_cndmask_b32_e32 v17, v17, v13, vcc
	v_cndmask_b32_e32 v18, v18, v38, vcc
	v_cmp_lt_f32_e32 vcc, v17, v14
	v_cndmask_b32_e32 v17, v17, v14, vcc
	v_cndmask_b32_e32 v18, v18, v39, vcc
	;; [unrolled: 3-line block ×3, first 2 shown]
	s_nop 0
	v_mov_b32_dpp v20, v18 quad_perm:[1,0,3,2] row_mask:0xf bank_mask:0xf
	v_mov_b32_dpp v19, v17 quad_perm:[1,0,3,2] row_mask:0xf bank_mask:0xf
	v_cmp_eq_f32_e64 s[0:1], v17, v19
	v_cmp_lt_i32_e64 s[2:3], v20, v18
	v_cmp_lt_f32_e32 vcc, v17, v19
	s_and_b64 s[0:1], s[0:1], s[2:3]
	s_or_b64 vcc, vcc, s[0:1]
	v_cndmask_b32_e32 v17, v17, v19, vcc
	v_cndmask_b32_e32 v18, v18, v20, vcc
	s_cmp_gt_i32 s36, 0
	s_cselect_b64 s[46:47], -1, 0
	s_cmp_lt_i32 s36, 1
	v_cmp_eq_u32_e32 vcc, 0, v24
	v_mov_b32_dpp v20, v18 quad_perm:[2,3,0,1] row_mask:0xf bank_mask:0xf
	v_mov_b32_dpp v19, v17 quad_perm:[2,3,0,1] row_mask:0xf bank_mask:0xf
	s_cbranch_scc1 .LBB274_16
; %bb.5:
	s_load_dwordx4 s[40:43], s[4:5], 0x20
	v_cmp_eq_f32_e64 s[2:3], v17, v19
	v_cmp_lt_i32_e64 s[6:7], v20, v18
	v_cmp_lt_f32_e64 s[0:1], v17, v19
	s_and_b64 s[2:3], s[2:3], s[6:7]
	s_or_b64 s[0:1], s[0:1], s[2:3]
	v_cndmask_b32_e64 v44, v18, v20, s[0:1]
	v_cndmask_b32_e64 v42, v17, v19, s[0:1]
	v_mul_lo_u32 v20, v43, s8
	v_mul_lo_u32 v18, v43, s36
	v_mov_b32_e32 v41, 0
	s_and_saveexec_b64 s[4:5], vcc
	s_cbranch_execz .LBB274_7
; %bb.6:
	v_sub_f32_e32 v17, v42, v42
	v_mul_f32_e32 v19, 0x3fb8aa3b, v17
	s_mov_b32 s0, 0x3fb8aa3b
	v_rndne_f32_e32 v21, v19
	v_sub_f32_e32 v41, v19, v21
	v_fma_f32 v19, v17, s0, -v19
	v_fmac_f32_e32 v19, 0x32a5705f, v17
	v_add_f32_e32 v19, v41, v19
	v_exp_f32_e32 v19, v19
	v_cvt_i32_f32_e32 v21, v21
	v_cmp_le_i32_e64 s[0:1], s37, v44
	v_cmp_gt_i32_e64 s[2:3], s38, v44
	s_and_b64 s[2:3], s[0:1], s[2:3]
	s_mov_b32 s0, 0xc2ce8ed0
	v_ldexp_f32 v19, v19, v21
	v_cmp_ngt_f32_e64 s[0:1], s0, v17
	v_cndmask_b32_e64 v19, 0, v19, s[0:1]
	s_mov_b32 s0, 0x42b17218
	v_cmp_nlt_f32_e64 s[0:1], s0, v17
	v_ashrrev_i32_e32 v17, 31, v16
	v_mov_b32_e32 v21, 0x7f800000
	v_lshlrev_b64 v[46:47], 2, v[16:17]
	v_cndmask_b32_e64 v41, v21, v19, s[0:1]
	v_mov_b32_e32 v17, s35
	v_add_co_u32_e64 v46, s[0:1], s34, v46
	v_addc_co_u32_e64 v47, s[0:1], v17, v47, s[0:1]
	v_ashrrev_i32_e32 v21, 31, v20
	global_store_dword v[46:47], v41, off
	v_subrev_u32_e32 v17, s37, v44
	s_and_b64 s[0:1], s[44:45], s[2:3]
	v_lshlrev_b64 v[46:47], 2, v[20:21]
	v_cndmask_b32_e64 v17, 64, v17, s[0:1]
	s_waitcnt lgkmcnt(0)
	v_mov_b32_e32 v19, s41
	v_add_co_u32_e64 v46, s[0:1], s40, v46
	v_addc_co_u32_e64 v47, s[0:1], v19, v47, s[0:1]
	v_ashrrev_i32_e32 v19, 31, v18
	global_store_dword v[46:47], v17, off
	v_lshlrev_b64 v[46:47], 2, v[18:19]
	v_mov_b32_e32 v17, s43
	v_add_co_u32_e64 v46, s[0:1], s42, v46
	v_addc_co_u32_e64 v47, s[0:1], v17, v47, s[0:1]
	global_store_dword v[46:47], v43, off
.LBB274_7:
	s_or_b64 exec, exec, s[4:5]
	v_ashrrev_i32_e32 v19, 31, v44
	v_lshrrev_b32_e32 v17, 28, v19
	v_add_u32_e32 v17, v44, v17
	v_ashrrev_i32_e32 v17, 4, v17
	v_lshrrev_b32_e32 v21, 30, v17
	v_add_u32_e32 v21, v17, v21
	v_and_b32_e32 v21, -4, v21
	v_sub_u32_e32 v21, v17, v21
	v_cmp_eq_u32_e64 s[0:1], v24, v21
	s_and_saveexec_b64 s[48:49], s[0:1]
	s_cbranch_execz .LBB274_9
; %bb.8:
	v_lshrrev_b32_e32 v19, 26, v19
	v_add_u32_e32 v19, v44, v19
	v_lshlrev_b32_e32 v17, 4, v17
	v_sub_u32_e32 v17, v44, v17
	v_ashrrev_i32_e32 v19, 6, v19
	v_lshl_add_u32 v17, v19, 4, v17
	v_mov_b32_e32 v19, 0xff800000
	v_cmp_ne_u32_e64 s[0:1], 14, v17
	v_cmp_ne_u32_e64 s[2:3], 13, v17
	;; [unrolled: 1-line block ×16, first 2 shown]
	v_cndmask_b32_e64 v15, v19, v15, s[30:31]
	v_cndmask_b32_e64 v14, v19, v14, s[0:1]
	v_cndmask_b32_e64 v13, v19, v13, s[2:3]
	v_cndmask_b32_e64 v12, v19, v12, s[4:5]
	v_cndmask_b32_e64 v11, v19, v11, s[6:7]
	v_cndmask_b32_e64 v10, v19, v10, s[8:9]
	v_cndmask_b32_e64 v9, v19, v9, s[10:11]
	v_cndmask_b32_e64 v8, v19, v8, s[12:13]
	v_cndmask_b32_e64 v7, v19, v7, s[14:15]
	v_cndmask_b32_e64 v6, v19, v6, s[16:17]
	v_cndmask_b32_e64 v5, v19, v5, s[18:19]
	v_cndmask_b32_e64 v4, v19, v4, s[20:21]
	v_cndmask_b32_e64 v3, v19, v3, s[22:23]
	v_cndmask_b32_e64 v2, v19, v2, s[24:25]
	v_cndmask_b32_e64 v1, v19, v1, s[26:27]
	v_cndmask_b32_e64 v0, v19, v0, s[28:29]
.LBB274_9:
	s_or_b64 exec, exec, s[48:49]
	s_cmp_eq_u32 s36, 1
	s_cbranch_scc1 .LBB274_16
; %bb.10:
	s_add_i32 s50, s50, s33
	s_add_i32 s39, s36, -1
	v_add3_u32 v17, s50, v23, v22
	v_add_u32_e32 v18, 1, v18
	v_add_u32_e32 v20, 1, v20
	;; [unrolled: 1-line block ×3, first 2 shown]
	s_mov_b32 s50, 0x3fb8aa3b
	s_mov_b32 s51, 0xc2ce8ed0
	;; [unrolled: 1-line block ×3, first 2 shown]
	v_mov_b32_e32 v43, 0x7f800000
	v_mov_b32_e32 v44, 0xff800000
	s_branch .LBB274_12
.LBB274_11:                             ;   in Loop: Header=BB274_12 Depth=1
	s_or_b64 exec, exec, s[48:49]
	s_add_i32 s39, s39, -1
	v_add_u32_e32 v17, s33, v17
	v_add_u32_e32 v18, 1, v18
	;; [unrolled: 1-line block ×3, first 2 shown]
	s_cmp_eq_u32 s39, 0
	v_add_u32_e32 v22, 1, v22
	s_cbranch_scc1 .LBB274_16
.LBB274_12:                             ; =>This Inner Loop Header: Depth=1
	v_cmp_gt_f32_e64 s[0:1], v1, v0
	v_cndmask_b32_e64 v21, v0, v1, s[0:1]
	v_cndmask_b32_e64 v19, v25, v26, s[0:1]
	v_cmp_gt_f32_e64 s[0:1], v2, v21
	v_cndmask_b32_e64 v21, v21, v2, s[0:1]
	v_cndmask_b32_e64 v19, v19, v27, s[0:1]
	v_cmp_gt_f32_e64 s[0:1], v3, v21
	v_cndmask_b32_e64 v21, v21, v3, s[0:1]
	v_cndmask_b32_e64 v19, v19, v28, s[0:1]
	v_cmp_gt_f32_e64 s[0:1], v4, v21
	v_cndmask_b32_e64 v21, v21, v4, s[0:1]
	v_cndmask_b32_e64 v19, v19, v29, s[0:1]
	v_cmp_gt_f32_e64 s[0:1], v5, v21
	v_cndmask_b32_e64 v21, v21, v5, s[0:1]
	v_cndmask_b32_e64 v19, v19, v30, s[0:1]
	v_cmp_gt_f32_e64 s[0:1], v6, v21
	v_cndmask_b32_e64 v21, v21, v6, s[0:1]
	v_cndmask_b32_e64 v19, v19, v31, s[0:1]
	v_cmp_gt_f32_e64 s[0:1], v7, v21
	v_cndmask_b32_e64 v21, v21, v7, s[0:1]
	v_cndmask_b32_e64 v19, v19, v32, s[0:1]
	v_cmp_gt_f32_e64 s[0:1], v8, v21
	v_cndmask_b32_e64 v21, v21, v8, s[0:1]
	v_cndmask_b32_e64 v19, v19, v33, s[0:1]
	v_cmp_gt_f32_e64 s[0:1], v9, v21
	v_cndmask_b32_e64 v21, v21, v9, s[0:1]
	v_cndmask_b32_e64 v19, v19, v34, s[0:1]
	v_cmp_gt_f32_e64 s[0:1], v10, v21
	v_cndmask_b32_e64 v21, v21, v10, s[0:1]
	v_cndmask_b32_e64 v19, v19, v35, s[0:1]
	v_cmp_gt_f32_e64 s[0:1], v11, v21
	v_cndmask_b32_e64 v21, v21, v11, s[0:1]
	v_cndmask_b32_e64 v19, v19, v36, s[0:1]
	v_cmp_gt_f32_e64 s[0:1], v12, v21
	v_cndmask_b32_e64 v21, v21, v12, s[0:1]
	v_cndmask_b32_e64 v19, v19, v37, s[0:1]
	v_cmp_gt_f32_e64 s[0:1], v13, v21
	v_cndmask_b32_e64 v21, v21, v13, s[0:1]
	v_cndmask_b32_e64 v19, v19, v38, s[0:1]
	v_cmp_gt_f32_e64 s[0:1], v14, v21
	v_cndmask_b32_e64 v21, v21, v14, s[0:1]
	v_cndmask_b32_e64 v19, v19, v39, s[0:1]
	v_cmp_gt_f32_e64 s[0:1], v15, v21
	v_cndmask_b32_e64 v23, v19, v40, s[0:1]
	v_cndmask_b32_e64 v19, v21, v15, s[0:1]
	s_nop 0
	v_mov_b32_dpp v45, v23 quad_perm:[1,0,3,2] row_mask:0xf bank_mask:0xf
	v_mov_b32_dpp v21, v19 quad_perm:[1,0,3,2] row_mask:0xf bank_mask:0xf
	v_cmp_eq_f32_e64 s[2:3], v19, v21
	v_cmp_lt_i32_e64 s[4:5], v45, v23
	v_cmp_lt_f32_e64 s[0:1], v19, v21
	s_and_b64 s[2:3], s[2:3], s[4:5]
	s_or_b64 s[0:1], s[0:1], s[2:3]
	v_cndmask_b32_e64 v19, v19, v21, s[0:1]
	v_cndmask_b32_e64 v23, v23, v45, s[0:1]
	s_nop 0
	v_mov_b32_dpp v21, v19 quad_perm:[2,3,0,1] row_mask:0xf bank_mask:0xf
	v_mov_b32_dpp v45, v23 quad_perm:[2,3,0,1] row_mask:0xf bank_mask:0xf
	v_cmp_eq_f32_e64 s[2:3], v19, v21
	v_cmp_lt_i32_e64 s[4:5], v45, v23
	v_cmp_lt_f32_e64 s[0:1], v19, v21
	s_and_b64 s[2:3], s[2:3], s[4:5]
	s_or_b64 s[0:1], s[0:1], s[2:3]
	v_cndmask_b32_e64 v45, v23, v45, s[0:1]
	s_and_saveexec_b64 s[4:5], vcc
	s_cbranch_execz .LBB274_14
; %bb.13:                               ;   in Loop: Header=BB274_12 Depth=1
	v_cndmask_b32_e64 v19, v19, v21, s[0:1]
	v_sub_f32_e32 v19, v19, v42
	v_mul_f32_e32 v21, 0x3fb8aa3b, v19
	v_fma_f32 v23, v19, s50, -v21
	v_rndne_f32_e32 v46, v21
	v_fmac_f32_e32 v23, 0x32a5705f, v19
	v_sub_f32_e32 v21, v21, v46
	v_add_f32_e32 v21, v21, v23
	v_exp_f32_e32 v21, v21
	v_cvt_i32_f32_e32 v23, v46
	v_cmp_le_i32_e64 s[0:1], s37, v45
	v_cmp_gt_i32_e64 s[2:3], s38, v45
	s_and_b64 s[2:3], s[0:1], s[2:3]
	v_ldexp_f32 v21, v21, v23
	v_cmp_ngt_f32_e64 s[0:1], s51, v19
	v_ashrrev_i32_e32 v23, 31, v22
	v_cndmask_b32_e64 v21, 0, v21, s[0:1]
	v_cmp_nlt_f32_e64 s[0:1], s52, v19
	v_lshlrev_b64 v[46:47], 2, v[22:23]
	v_cndmask_b32_e64 v48, v43, v21, s[0:1]
	v_mov_b32_e32 v19, s35
	v_add_co_u32_e64 v46, s[0:1], s34, v46
	v_addc_co_u32_e64 v47, s[0:1], v19, v47, s[0:1]
	v_ashrrev_i32_e32 v21, 31, v20
	global_store_dword v[46:47], v48, off
	v_subrev_u32_e32 v19, s37, v45
	s_and_b64 s[0:1], s[44:45], s[2:3]
	v_lshlrev_b64 v[46:47], 2, v[20:21]
	v_cndmask_b32_e64 v19, 64, v19, s[0:1]
	s_waitcnt lgkmcnt(0)
	v_mov_b32_e32 v21, s41
	v_add_co_u32_e64 v46, s[0:1], s40, v46
	v_addc_co_u32_e64 v47, s[0:1], v21, v47, s[0:1]
	global_store_dword v[46:47], v19, off
	v_ashrrev_i32_e32 v19, 31, v18
	v_lshlrev_b64 v[46:47], 2, v[18:19]
	v_mov_b32_e32 v19, s43
	v_add_co_u32_e64 v46, s[0:1], s42, v46
	v_addc_co_u32_e64 v47, s[0:1], v19, v47, s[0:1]
	v_add_f32_e32 v41, v41, v48
	global_store_dword v[46:47], v17, off
.LBB274_14:                             ;   in Loop: Header=BB274_12 Depth=1
	s_or_b64 exec, exec, s[4:5]
	v_ashrrev_i32_e32 v21, 31, v45
	v_lshrrev_b32_e32 v19, 28, v21
	v_add_u32_e32 v19, v45, v19
	v_ashrrev_i32_e32 v19, 4, v19
	v_lshrrev_b32_e32 v23, 30, v19
	v_add_u32_e32 v23, v19, v23
	v_and_b32_e32 v23, -4, v23
	v_sub_u32_e32 v23, v19, v23
	v_cmp_eq_u32_e64 s[0:1], v24, v23
	s_and_saveexec_b64 s[48:49], s[0:1]
	s_cbranch_execz .LBB274_11
; %bb.15:                               ;   in Loop: Header=BB274_12 Depth=1
	v_lshrrev_b32_e32 v21, 26, v21
	v_add_u32_e32 v21, v45, v21
	v_lshlrev_b32_e32 v19, 4, v19
	v_sub_u32_e32 v19, v45, v19
	v_ashrrev_i32_e32 v21, 6, v21
	v_lshl_add_u32 v19, v21, 4, v19
	v_cmp_ne_u32_e64 s[0:1], 14, v19
	v_cmp_ne_u32_e64 s[2:3], 13, v19
	v_cmp_ne_u32_e64 s[4:5], 12, v19
	v_cmp_ne_u32_e64 s[6:7], 11, v19
	v_cmp_ne_u32_e64 s[8:9], 10, v19
	v_cmp_ne_u32_e64 s[10:11], 9, v19
	v_cmp_ne_u32_e64 s[12:13], 8, v19
	v_cmp_ne_u32_e64 s[14:15], 7, v19
	v_cmp_ne_u32_e64 s[16:17], 6, v19
	v_cmp_ne_u32_e64 s[18:19], 5, v19
	v_cmp_ne_u32_e64 s[20:21], 4, v19
	v_cmp_ne_u32_e64 s[22:23], 3, v19
	v_cmp_ne_u32_e64 s[24:25], 2, v19
	v_cmp_ne_u32_e64 s[26:27], 1, v19
	v_cmp_ne_u32_e64 s[28:29], 0, v19
	v_cmp_ne_u32_e64 s[30:31], 15, v19
	v_cndmask_b32_e64 v15, v44, v15, s[30:31]
	v_cndmask_b32_e64 v14, v44, v14, s[0:1]
	;; [unrolled: 1-line block ×16, first 2 shown]
	s_branch .LBB274_11
.LBB274_16:
	v_cmp_eq_u32_e32 vcc, 0, v24
	v_cmp_neq_f32_e64 s[0:1], 0, v41
	s_and_b64 s[0:1], vcc, s[0:1]
	s_and_b64 exec, exec, s[0:1]
	s_cbranch_execz .LBB274_27
; %bb.17:
	s_andn2_b64 vcc, exec, s[46:47]
	s_cbranch_vccnz .LBB274_27
; %bb.18:
	v_div_scale_f32 v0, s[0:1], v41, v41, 1.0
	v_rcp_f32_e32 v1, v0
	v_div_scale_f32 v2, vcc, 1.0, v41, 1.0
	s_cmp_gt_u32 s36, 3
	v_fma_f32 v3, -v0, v1, 1.0
	v_fmac_f32_e32 v1, v3, v1
	v_mul_f32_e32 v3, v2, v1
	v_fma_f32 v4, -v0, v3, v2
	v_fmac_f32_e32 v3, v4, v1
	v_fma_f32 v0, -v0, v3, v2
	v_div_fmas_f32 v0, v0, v1, v3
	v_div_fixup_f32 v0, v0, v41, 1.0
	v_ashrrev_i32_e32 v17, 31, v16
	s_cbranch_scc0 .LBB274_22
; %bb.19:
	v_lshlrev_b64 v[2:3], 2, v[16:17]
	v_mov_b32_e32 v4, s35
	v_add_co_u32_e32 v2, vcc, s34, v2
	v_addc_co_u32_e32 v3, vcc, v3, v4, vcc
	s_and_b32 s4, s36, 0x7ffffffc
	v_add_co_u32_e32 v2, vcc, 8, v2
	v_mov_b32_e32 v1, v0
	v_addc_co_u32_e32 v3, vcc, 0, v3, vcc
	s_mov_b32 s0, s4
.LBB274_20:                             ; =>This Inner Loop Header: Depth=1
	global_load_dwordx4 v[4:7], v[2:3], off offset:-8
	s_add_i32 s0, s0, -4
	s_cmp_lg_u32 s0, 0
	s_waitcnt vmcnt(0)
	v_pk_mul_f32 v[4:5], v[0:1], v[4:5]
	v_pk_mul_f32 v[6:7], v[0:1], v[6:7]
	global_store_dwordx4 v[2:3], v[4:7], off offset:-8
	v_add_co_u32_e32 v2, vcc, 16, v2
	v_addc_co_u32_e32 v3, vcc, 0, v3, vcc
	s_cbranch_scc1 .LBB274_20
; %bb.21:
	s_cmp_lg_u32 s4, s36
	s_cselect_b64 s[0:1], -1, 0
	s_branch .LBB274_24
.LBB274_22:
	s_mov_b64 s[0:1], 0
                                        ; implicit-def: $sgpr4
	s_cbranch_execz .LBB274_24
; %bb.23:
	s_mov_b64 s[0:1], -1
	s_mov_b32 s4, 0
.LBB274_24:
	s_andn2_b64 vcc, exec, s[0:1]
	s_cbranch_vccnz .LBB274_27
; %bb.25:
	v_add_co_u32_e32 v2, vcc, s4, v16
	v_addc_co_u32_e32 v3, vcc, 0, v17, vcc
	v_lshlrev_b64 v[2:3], 2, v[2:3]
	v_mov_b32_e32 v1, s35
	v_add_co_u32_e32 v2, vcc, s34, v2
	s_sub_i32 s0, s36, s4
	v_addc_co_u32_e32 v3, vcc, v1, v3, vcc
.LBB274_26:                             ; =>This Inner Loop Header: Depth=1
	global_load_dword v1, v[2:3], off
	s_add_i32 s0, s0, -1
	s_cmp_lg_u32 s0, 0
	s_waitcnt vmcnt(0)
	v_mul_f32_e32 v1, v0, v1
	global_store_dword v[2:3], v1, off
	v_add_co_u32_e32 v2, vcc, 4, v2
	v_addc_co_u32_e32 v3, vcc, 0, v3, vcc
	s_cbranch_scc1 .LBB274_26
.LBB274_27:
	s_endpgm
	.section	.rodata,"a",@progbits
	.p2align	6, 0x0
	.amdhsa_kernel _ZN4vllm3moe17topkGatingSoftmaxItLi16ELi64ELi8ELi32ELb1ELi4ELNS0_23SharedExpertScoringFuncE1EEEvPKT_PKbPfiPiS9_iiiiii
		.amdhsa_group_segment_fixed_size 0
		.amdhsa_private_segment_fixed_size 0
		.amdhsa_kernarg_size 72
		.amdhsa_user_sgpr_count 6
		.amdhsa_user_sgpr_private_segment_buffer 1
		.amdhsa_user_sgpr_dispatch_ptr 0
		.amdhsa_user_sgpr_queue_ptr 0
		.amdhsa_user_sgpr_kernarg_segment_ptr 1
		.amdhsa_user_sgpr_dispatch_id 0
		.amdhsa_user_sgpr_flat_scratch_init 0
		.amdhsa_user_sgpr_kernarg_preload_length 0
		.amdhsa_user_sgpr_kernarg_preload_offset 0
		.amdhsa_user_sgpr_private_segment_size 0
		.amdhsa_uses_dynamic_stack 0
		.amdhsa_system_sgpr_private_segment_wavefront_offset 0
		.amdhsa_system_sgpr_workgroup_id_x 1
		.amdhsa_system_sgpr_workgroup_id_y 0
		.amdhsa_system_sgpr_workgroup_id_z 0
		.amdhsa_system_sgpr_workgroup_info 0
		.amdhsa_system_vgpr_workitem_id 1
		.amdhsa_next_free_vgpr 49
		.amdhsa_next_free_sgpr 53
		.amdhsa_accum_offset 52
		.amdhsa_reserve_vcc 1
		.amdhsa_reserve_flat_scratch 0
		.amdhsa_float_round_mode_32 0
		.amdhsa_float_round_mode_16_64 0
		.amdhsa_float_denorm_mode_32 3
		.amdhsa_float_denorm_mode_16_64 3
		.amdhsa_dx10_clamp 1
		.amdhsa_ieee_mode 1
		.amdhsa_fp16_overflow 0
		.amdhsa_tg_split 0
		.amdhsa_exception_fp_ieee_invalid_op 0
		.amdhsa_exception_fp_denorm_src 0
		.amdhsa_exception_fp_ieee_div_zero 0
		.amdhsa_exception_fp_ieee_overflow 0
		.amdhsa_exception_fp_ieee_underflow 0
		.amdhsa_exception_fp_ieee_inexact 0
		.amdhsa_exception_int_div_zero 0
	.end_amdhsa_kernel
	.section	.text._ZN4vllm3moe17topkGatingSoftmaxItLi16ELi64ELi8ELi32ELb1ELi4ELNS0_23SharedExpertScoringFuncE1EEEvPKT_PKbPfiPiS9_iiiiii,"axG",@progbits,_ZN4vllm3moe17topkGatingSoftmaxItLi16ELi64ELi8ELi32ELb1ELi4ELNS0_23SharedExpertScoringFuncE1EEEvPKT_PKbPfiPiS9_iiiiii,comdat
.Lfunc_end274:
	.size	_ZN4vllm3moe17topkGatingSoftmaxItLi16ELi64ELi8ELi32ELb1ELi4ELNS0_23SharedExpertScoringFuncE1EEEvPKT_PKbPfiPiS9_iiiiii, .Lfunc_end274-_ZN4vllm3moe17topkGatingSoftmaxItLi16ELi64ELi8ELi32ELb1ELi4ELNS0_23SharedExpertScoringFuncE1EEEvPKT_PKbPfiPiS9_iiiiii
                                        ; -- End function
	.section	.AMDGPU.csdata,"",@progbits
; Kernel info:
; codeLenInByte = 3220
; NumSgprs: 57
; NumVgprs: 49
; NumAgprs: 0
; TotalNumVgprs: 49
; ScratchSize: 0
; MemoryBound: 0
; FloatMode: 240
; IeeeMode: 1
; LDSByteSize: 0 bytes/workgroup (compile time only)
; SGPRBlocks: 7
; VGPRBlocks: 6
; NumSGPRsForWavesPerEU: 57
; NumVGPRsForWavesPerEU: 49
; AccumOffset: 52
; Occupancy: 8
; WaveLimiterHint : 0
; COMPUTE_PGM_RSRC2:SCRATCH_EN: 0
; COMPUTE_PGM_RSRC2:USER_SGPR: 6
; COMPUTE_PGM_RSRC2:TRAP_HANDLER: 0
; COMPUTE_PGM_RSRC2:TGID_X_EN: 1
; COMPUTE_PGM_RSRC2:TGID_Y_EN: 0
; COMPUTE_PGM_RSRC2:TGID_Z_EN: 0
; COMPUTE_PGM_RSRC2:TIDIG_COMP_CNT: 1
; COMPUTE_PGM_RSRC3_GFX90A:ACCUM_OFFSET: 12
; COMPUTE_PGM_RSRC3_GFX90A:TG_SPLIT: 0
	.section	.text._ZN4vllm3moe17topkGatingSoftmaxItLi16ELi64ELi8ELi32ELb0ELi4ELNS0_23SharedExpertScoringFuncE1EEEvPKT_PKbPfiPiS9_iiiiii,"axG",@progbits,_ZN4vllm3moe17topkGatingSoftmaxItLi16ELi64ELi8ELi32ELb0ELi4ELNS0_23SharedExpertScoringFuncE1EEEvPKT_PKbPfiPiS9_iiiiii,comdat
	.protected	_ZN4vllm3moe17topkGatingSoftmaxItLi16ELi64ELi8ELi32ELb0ELi4ELNS0_23SharedExpertScoringFuncE1EEEvPKT_PKbPfiPiS9_iiiiii ; -- Begin function _ZN4vllm3moe17topkGatingSoftmaxItLi16ELi64ELi8ELi32ELb0ELi4ELNS0_23SharedExpertScoringFuncE1EEEvPKT_PKbPfiPiS9_iiiiii
	.globl	_ZN4vllm3moe17topkGatingSoftmaxItLi16ELi64ELi8ELi32ELb0ELi4ELNS0_23SharedExpertScoringFuncE1EEEvPKT_PKbPfiPiS9_iiiiii
	.p2align	8
	.type	_ZN4vllm3moe17topkGatingSoftmaxItLi16ELi64ELi8ELi32ELb0ELi4ELNS0_23SharedExpertScoringFuncE1EEEvPKT_PKbPfiPiS9_iiiiii,@function
_ZN4vllm3moe17topkGatingSoftmaxItLi16ELi64ELi8ELi32ELb0ELi4ELNS0_23SharedExpertScoringFuncE1EEEvPKT_PKbPfiPiS9_iiiiii: ; @_ZN4vllm3moe17topkGatingSoftmaxItLi16ELi64ELi8ELi32ELb0ELi4ELNS0_23SharedExpertScoringFuncE1EEEvPKT_PKbPfiPiS9_iiiiii
; %bb.0:
	s_load_dword s33, s[4:5], 0x18
	v_bfe_u32 v1, v0, 10, 10
	v_and_b32_e32 v0, 0x3ff, v0
	s_lshl_b32 s50, s6, 7
	v_lshlrev_b32_e32 v22, 4, v1
	v_lshrrev_b32_e32 v23, 2, v0
	v_add3_u32 v43, s50, v22, v23
	s_waitcnt lgkmcnt(0)
	v_cmp_gt_i32_e32 vcc, s33, v43
	s_and_saveexec_b64 s[0:1], vcc
	s_cbranch_execz .LBB275_29
; %bb.1:
	s_load_dwordx4 s[0:3], s[4:5], 0x0
	s_load_dwordx2 s[34:35], s[4:5], 0x10
	s_waitcnt lgkmcnt(0)
	s_cmp_eq_u64 s[2:3], 0
	s_cbranch_scc1 .LBB275_3
; %bb.2:
	v_ashrrev_i32_e32 v1, 31, v43
	v_mov_b32_e32 v3, s3
	v_add_co_u32_e32 v2, vcc, s2, v43
	v_addc_co_u32_e32 v3, vcc, v3, v1, vcc
	global_load_ubyte v1, v[2:3], off
	s_waitcnt vmcnt(0)
	v_and_b32_e32 v1, 1, v1
	v_cmp_eq_u32_e32 vcc, 1, v1
	s_xor_b64 s[2:3], vcc, -1
	s_orn2_b64 s[46:47], s[2:3], exec
	s_branch .LBB275_4
.LBB275_3:
	s_mov_b64 s[46:47], -1
.LBB275_4:
	s_load_dwordx2 s[6:7], s[4:5], 0x40
	s_load_dwordx4 s[36:39], s[4:5], 0x30
	v_mov_b32_e32 v1, s1
	v_and_b32_e32 v24, 3, v0
	v_lshlrev_b32_e32 v0, 1, v24
	s_waitcnt lgkmcnt(0)
	v_mul_lo_u32 v2, v43, s7
	v_ashrrev_i32_e32 v3, 31, v2
	v_lshlrev_b64 v[2:3], 1, v[2:3]
	v_add_co_u32_e32 v2, vcc, s0, v2
	v_addc_co_u32_e32 v3, vcc, v1, v3, vcc
	v_add_co_u32_e32 v0, vcc, v2, v0
	v_addc_co_u32_e32 v1, vcc, 0, v3, vcc
	global_load_ushort v8, v[0:1], off offset:128
	v_lshlrev_b32_e32 v4, 5, v24
	v_add_co_u32_e32 v0, vcc, v2, v4
	v_addc_co_u32_e32 v1, vcc, 0, v3, vcc
	global_load_dwordx4 v[4:7], v[0:1], off
	global_load_dwordx4 v[12:15], v[0:1], off offset:16
	v_mul_lo_u32 v16, v43, s39
	v_add3_u32 v0, v16, s36, v24
	v_ashrrev_i32_e32 v1, 31, v0
	s_mov_b32 s0, 0xbfb8aa3b
	v_lshlrev_b64 v[2:3], 2, v[0:1]
	s_mov_b32 s1, 0x42ce8ed0
	s_mov_b32 s2, 0xc2b17218
	v_mov_b32_e32 v9, 0x7f800000
	v_mov_b32_e32 v10, s35
	v_add_co_u32_e32 v2, vcc, s34, v2
	v_lshlrev_b32_e32 v27, 4, v24
	v_addc_co_u32_e32 v3, vcc, v10, v3, vcc
	v_or_b32_e32 v28, 1, v27
	v_or_b32_e32 v29, 2, v27
	;; [unrolled: 1-line block ×15, first 2 shown]
	v_mov_b32_e32 v26, 0
	s_waitcnt vmcnt(2)
	v_cvt_f32_u32_e32 v8, v8
	s_waitcnt vmcnt(1)
	v_cvt_f32_u32_sdwa v1, v4 dst_sel:DWORD dst_unused:UNUSED_PAD src0_sel:WORD_1
	v_cvt_f32_u32_sdwa v0, v4 dst_sel:DWORD dst_unused:UNUSED_PAD src0_sel:WORD_0
	v_mul_f32_e32 v4, 0xbfb8aa3b, v8
	v_fma_f32 v11, v8, s0, -v4
	v_rndne_f32_e32 v17, v4
	v_fmac_f32_e32 v11, 0xb2a5705f, v8
	v_sub_f32_e32 v4, v4, v17
	v_add_f32_e32 v4, v4, v11
	v_cvt_i32_f32_e32 v17, v17
	v_exp_f32_e32 v4, v4
	v_cmp_nlt_f32_e64 s[0:1], s1, v8
	v_cmp_lt_f32_e32 vcc, v0, v1
	v_cndmask_b32_e32 v10, v27, v28, vcc
	v_ldexp_f32 v4, v4, v17
	v_cndmask_b32_e64 v4, 0, v4, s[0:1]
	v_cmp_ngt_f32_e64 s[0:1], s2, v8
	v_cndmask_b32_e64 v4, v9, v4, s[0:1]
	v_add_f32_e32 v4, 1.0, v4
	v_div_scale_f32 v8, s[0:1], v4, v4, 1.0
	v_rcp_f32_e32 v9, v8
	v_cndmask_b32_e32 v11, v0, v1, vcc
	v_div_scale_f32 v17, vcc, 1.0, v4, 1.0
	v_fma_f32 v18, -v8, v9, 1.0
	v_fmac_f32_e32 v9, v18, v9
	v_mul_f32_e32 v18, v17, v9
	v_fma_f32 v19, -v8, v18, v17
	v_fmac_f32_e32 v18, v19, v9
	v_fma_f32 v8, -v8, v18, v17
	v_div_fmas_f32 v8, v8, v9, v18
	v_div_fixup_f32 v4, v8, v4, 1.0
	global_store_dword v[2:3], v4, off
	v_cvt_f32_u32_sdwa v2, v5 dst_sel:DWORD dst_unused:UNUSED_PAD src0_sel:WORD_0
	v_cvt_f32_u32_sdwa v3, v5 dst_sel:DWORD dst_unused:UNUSED_PAD src0_sel:WORD_1
	v_cmp_lt_f32_e32 vcc, v11, v2
	v_cndmask_b32_e32 v8, v11, v2, vcc
	v_cndmask_b32_e32 v4, v10, v29, vcc
	v_cmp_lt_f32_e32 vcc, v8, v3
	v_cndmask_b32_e32 v5, v4, v30, vcc
	v_cvt_f32_u32_sdwa v4, v6 dst_sel:DWORD dst_unused:UNUSED_PAD src0_sel:WORD_0
	v_cndmask_b32_e32 v8, v8, v3, vcc
	v_cmp_lt_f32_e32 vcc, v8, v4
	v_cndmask_b32_e32 v9, v5, v31, vcc
	v_cvt_f32_u32_sdwa v5, v6 dst_sel:DWORD dst_unused:UNUSED_PAD src0_sel:WORD_1
	v_cvt_f32_u32_sdwa v6, v7 dst_sel:DWORD dst_unused:UNUSED_PAD src0_sel:WORD_0
	v_cndmask_b32_e32 v8, v8, v4, vcc
	v_cvt_f32_u32_sdwa v7, v7 dst_sel:DWORD dst_unused:UNUSED_PAD src0_sel:WORD_1
	v_cmp_lt_f32_e32 vcc, v8, v5
	v_cndmask_b32_e32 v8, v8, v5, vcc
	v_cndmask_b32_e32 v9, v9, v32, vcc
	v_cmp_lt_f32_e32 vcc, v8, v6
	v_cndmask_b32_e32 v8, v8, v6, vcc
	v_cndmask_b32_e32 v9, v9, v33, vcc
	v_cmp_lt_f32_e32 vcc, v8, v7
	v_cndmask_b32_e32 v10, v8, v7, vcc
	s_waitcnt vmcnt(1)
	v_cvt_f32_u32_sdwa v8, v12 dst_sel:DWORD dst_unused:UNUSED_PAD src0_sel:WORD_0
	v_cndmask_b32_e32 v9, v9, v34, vcc
	v_cmp_lt_f32_e32 vcc, v10, v8
	v_cndmask_b32_e32 v11, v9, v35, vcc
	v_cvt_f32_u32_sdwa v9, v12 dst_sel:DWORD dst_unused:UNUSED_PAD src0_sel:WORD_1
	v_cndmask_b32_e32 v10, v10, v8, vcc
	v_cmp_lt_f32_e32 vcc, v10, v9
	v_cndmask_b32_e32 v12, v10, v9, vcc
	v_cvt_f32_u32_sdwa v10, v13 dst_sel:DWORD dst_unused:UNUSED_PAD src0_sel:WORD_0
	v_cndmask_b32_e32 v11, v11, v36, vcc
	v_cmp_lt_f32_e32 vcc, v12, v10
	v_cndmask_b32_e32 v17, v11, v37, vcc
	v_cvt_f32_u32_sdwa v11, v13 dst_sel:DWORD dst_unused:UNUSED_PAD src0_sel:WORD_1
	v_cndmask_b32_e32 v12, v12, v10, vcc
	v_cmp_lt_f32_e32 vcc, v12, v11
	v_cndmask_b32_e32 v13, v17, v38, vcc
	v_cndmask_b32_e32 v17, v12, v11, vcc
	v_cvt_f32_u32_sdwa v12, v14 dst_sel:DWORD dst_unused:UNUSED_PAD src0_sel:WORD_0
	v_cmp_lt_f32_e32 vcc, v17, v12
	v_cndmask_b32_e32 v18, v13, v39, vcc
	v_cvt_f32_u32_sdwa v13, v14 dst_sel:DWORD dst_unused:UNUSED_PAD src0_sel:WORD_1
	v_cvt_f32_u32_sdwa v14, v15 dst_sel:DWORD dst_unused:UNUSED_PAD src0_sel:WORD_0
	v_cndmask_b32_e32 v17, v17, v12, vcc
	v_cvt_f32_u32_sdwa v15, v15 dst_sel:DWORD dst_unused:UNUSED_PAD src0_sel:WORD_1
	v_cmp_lt_f32_e32 vcc, v17, v13
	v_cndmask_b32_e32 v17, v17, v13, vcc
	v_cndmask_b32_e32 v18, v18, v40, vcc
	v_cmp_lt_f32_e32 vcc, v17, v14
	v_cndmask_b32_e32 v17, v17, v14, vcc
	v_cndmask_b32_e32 v18, v18, v41, vcc
	v_cmp_lt_f32_e32 vcc, v17, v15
	v_cndmask_b32_e32 v18, v18, v42, vcc
	v_cndmask_b32_e32 v17, v17, v15, vcc
	s_nop 0
	v_mov_b32_dpp v20, v18 quad_perm:[1,0,3,2] row_mask:0xf bank_mask:0xf
	v_mov_b32_dpp v19, v17 quad_perm:[1,0,3,2] row_mask:0xf bank_mask:0xf
	v_cmp_eq_f32_e64 s[0:1], v17, v19
	v_cmp_lt_i32_e64 s[2:3], v20, v18
	v_cmp_lt_f32_e32 vcc, v17, v19
	s_and_b64 s[0:1], s[0:1], s[2:3]
	s_or_b64 vcc, vcc, s[0:1]
	v_cndmask_b32_e32 v19, v17, v19, vcc
	v_cndmask_b32_e32 v17, v18, v20, vcc
	s_nop 0
	v_mov_b32_dpp v20, v19 quad_perm:[2,3,0,1] row_mask:0xf bank_mask:0xf
	v_mov_b32_dpp v18, v17 quad_perm:[2,3,0,1] row_mask:0xf bank_mask:0xf
	v_cmp_eq_f32_e64 s[0:1], v19, v20
	v_cmp_lt_i32_e64 s[2:3], v18, v17
	v_cmp_lt_f32_e32 vcc, v19, v20
	s_and_b64 s[0:1], s[0:1], s[2:3]
	s_or_b64 s[0:1], vcc, s[0:1]
	s_cmp_gt_i32 s36, 0
	v_cndmask_b32_e64 v25, v19, v20, s[0:1]
	s_cselect_b64 s[44:45], -1, 0
	s_cmp_lt_i32 s36, 1
	v_cmp_eq_u32_e32 vcc, 0, v24
	s_cbranch_scc1 .LBB275_16
; %bb.5:
	s_load_dwordx4 s[40:43], s[4:5], 0x20
	v_cndmask_b32_e64 v44, v17, v18, s[0:1]
	v_mul_lo_u32 v20, v43, s6
	v_mul_lo_u32 v18, v43, s36
	v_mov_b32_e32 v26, 0
	s_and_saveexec_b64 s[4:5], vcc
	s_cbranch_execz .LBB275_7
; %bb.6:
	v_sub_f32_e32 v17, v25, v25
	v_mul_f32_e32 v19, 0x3fb8aa3b, v17
	s_mov_b32 s0, 0x3fb8aa3b
	v_rndne_f32_e32 v21, v19
	v_sub_f32_e32 v26, v19, v21
	v_fma_f32 v19, v17, s0, -v19
	v_fmac_f32_e32 v19, 0x32a5705f, v17
	v_add_f32_e32 v19, v26, v19
	v_exp_f32_e32 v19, v19
	v_cvt_i32_f32_e32 v21, v21
	v_cmp_le_i32_e64 s[0:1], s37, v44
	v_cmp_gt_i32_e64 s[2:3], s38, v44
	s_and_b64 s[2:3], s[0:1], s[2:3]
	s_mov_b32 s0, 0xc2ce8ed0
	v_ldexp_f32 v19, v19, v21
	v_cmp_ngt_f32_e64 s[0:1], s0, v17
	v_cndmask_b32_e64 v19, 0, v19, s[0:1]
	s_mov_b32 s0, 0x42b17218
	v_cmp_nlt_f32_e64 s[0:1], s0, v17
	v_ashrrev_i32_e32 v17, 31, v16
	v_mov_b32_e32 v21, 0x7f800000
	v_lshlrev_b64 v[46:47], 2, v[16:17]
	v_cndmask_b32_e64 v26, v21, v19, s[0:1]
	v_mov_b32_e32 v17, s35
	v_add_co_u32_e64 v46, s[0:1], s34, v46
	v_addc_co_u32_e64 v47, s[0:1], v17, v47, s[0:1]
	v_ashrrev_i32_e32 v21, 31, v20
	global_store_dword v[46:47], v26, off
	v_subrev_u32_e32 v17, s37, v44
	s_and_b64 s[0:1], s[46:47], s[2:3]
	v_lshlrev_b64 v[46:47], 2, v[20:21]
	v_cndmask_b32_e64 v17, 64, v17, s[0:1]
	s_waitcnt lgkmcnt(0)
	v_mov_b32_e32 v19, s41
	v_add_co_u32_e64 v46, s[0:1], s40, v46
	v_addc_co_u32_e64 v47, s[0:1], v19, v47, s[0:1]
	v_ashrrev_i32_e32 v19, 31, v18
	global_store_dword v[46:47], v17, off
	v_lshlrev_b64 v[46:47], 2, v[18:19]
	v_mov_b32_e32 v17, s43
	v_add_co_u32_e64 v46, s[0:1], s42, v46
	v_addc_co_u32_e64 v47, s[0:1], v17, v47, s[0:1]
	global_store_dword v[46:47], v43, off
.LBB275_7:
	s_or_b64 exec, exec, s[4:5]
	v_ashrrev_i32_e32 v19, 31, v44
	v_lshrrev_b32_e32 v17, 28, v19
	v_add_u32_e32 v17, v44, v17
	v_ashrrev_i32_e32 v17, 4, v17
	v_lshrrev_b32_e32 v21, 30, v17
	v_add_u32_e32 v21, v17, v21
	v_and_b32_e32 v21, -4, v21
	v_sub_u32_e32 v21, v17, v21
	v_cmp_eq_u32_e64 s[0:1], v24, v21
	s_and_saveexec_b64 s[48:49], s[0:1]
	s_cbranch_execz .LBB275_9
; %bb.8:
	v_lshrrev_b32_e32 v19, 26, v19
	v_add_u32_e32 v19, v44, v19
	v_lshlrev_b32_e32 v17, 4, v17
	v_sub_u32_e32 v17, v44, v17
	v_ashrrev_i32_e32 v19, 6, v19
	v_lshl_add_u32 v17, v19, 4, v17
	v_mov_b32_e32 v19, 0xff800000
	v_cmp_ne_u32_e64 s[0:1], 14, v17
	v_cmp_ne_u32_e64 s[2:3], 13, v17
	v_cmp_ne_u32_e64 s[4:5], 12, v17
	v_cmp_ne_u32_e64 s[6:7], 11, v17
	v_cmp_ne_u32_e64 s[8:9], 10, v17
	v_cmp_ne_u32_e64 s[10:11], 9, v17
	v_cmp_ne_u32_e64 s[12:13], 8, v17
	v_cmp_ne_u32_e64 s[14:15], 7, v17
	v_cmp_ne_u32_e64 s[16:17], 6, v17
	v_cmp_ne_u32_e64 s[18:19], 5, v17
	v_cmp_ne_u32_e64 s[20:21], 4, v17
	v_cmp_ne_u32_e64 s[22:23], 3, v17
	v_cmp_ne_u32_e64 s[24:25], 2, v17
	v_cmp_ne_u32_e64 s[26:27], 1, v17
	v_cmp_ne_u32_e64 s[28:29], 0, v17
	v_cmp_ne_u32_e64 s[30:31], 15, v17
	v_cndmask_b32_e64 v15, v19, v15, s[30:31]
	v_cndmask_b32_e64 v14, v19, v14, s[0:1]
	;; [unrolled: 1-line block ×16, first 2 shown]
.LBB275_9:
	s_or_b64 exec, exec, s[48:49]
	s_cmp_eq_u32 s36, 1
	s_cbranch_scc1 .LBB275_16
; %bb.10:
	s_add_i32 s50, s50, s33
	s_add_i32 s39, s36, -1
	v_add3_u32 v17, s50, v23, v22
	v_add_u32_e32 v18, 1, v18
	v_add_u32_e32 v20, 1, v20
	;; [unrolled: 1-line block ×3, first 2 shown]
	s_mov_b32 s50, 0x3fb8aa3b
	s_mov_b32 s51, 0xc2ce8ed0
	s_mov_b32 s52, 0x42b17218
	v_mov_b32_e32 v43, 0x7f800000
	v_mov_b32_e32 v44, 0xff800000
	s_branch .LBB275_12
.LBB275_11:                             ;   in Loop: Header=BB275_12 Depth=1
	s_or_b64 exec, exec, s[48:49]
	s_add_i32 s39, s39, -1
	v_add_u32_e32 v17, s33, v17
	v_add_u32_e32 v18, 1, v18
	;; [unrolled: 1-line block ×3, first 2 shown]
	s_cmp_eq_u32 s39, 0
	v_add_u32_e32 v22, 1, v22
	s_cbranch_scc1 .LBB275_16
.LBB275_12:                             ; =>This Inner Loop Header: Depth=1
	v_cmp_gt_f32_e64 s[0:1], v1, v0
	v_cndmask_b32_e64 v21, v0, v1, s[0:1]
	v_cndmask_b32_e64 v19, v27, v28, s[0:1]
	v_cmp_gt_f32_e64 s[0:1], v2, v21
	v_cndmask_b32_e64 v21, v21, v2, s[0:1]
	v_cndmask_b32_e64 v19, v19, v29, s[0:1]
	;; [unrolled: 3-line block ×15, first 2 shown]
	s_nop 0
	v_mov_b32_dpp v45, v23 quad_perm:[1,0,3,2] row_mask:0xf bank_mask:0xf
	v_mov_b32_dpp v21, v19 quad_perm:[1,0,3,2] row_mask:0xf bank_mask:0xf
	v_cmp_eq_f32_e64 s[2:3], v19, v21
	v_cmp_lt_i32_e64 s[4:5], v45, v23
	v_cmp_lt_f32_e64 s[0:1], v19, v21
	s_and_b64 s[2:3], s[2:3], s[4:5]
	s_or_b64 s[0:1], s[0:1], s[2:3]
	v_cndmask_b32_e64 v19, v19, v21, s[0:1]
	v_cndmask_b32_e64 v23, v23, v45, s[0:1]
	s_nop 0
	v_mov_b32_dpp v21, v19 quad_perm:[2,3,0,1] row_mask:0xf bank_mask:0xf
	v_mov_b32_dpp v45, v23 quad_perm:[2,3,0,1] row_mask:0xf bank_mask:0xf
	v_cmp_eq_f32_e64 s[2:3], v19, v21
	v_cmp_lt_i32_e64 s[4:5], v45, v23
	v_cmp_lt_f32_e64 s[0:1], v19, v21
	s_and_b64 s[2:3], s[2:3], s[4:5]
	s_or_b64 s[0:1], s[0:1], s[2:3]
	v_cndmask_b32_e64 v45, v23, v45, s[0:1]
	s_and_saveexec_b64 s[4:5], vcc
	s_cbranch_execz .LBB275_14
; %bb.13:                               ;   in Loop: Header=BB275_12 Depth=1
	v_cndmask_b32_e64 v19, v19, v21, s[0:1]
	v_sub_f32_e32 v19, v19, v25
	v_mul_f32_e32 v21, 0x3fb8aa3b, v19
	v_fma_f32 v23, v19, s50, -v21
	v_rndne_f32_e32 v46, v21
	v_fmac_f32_e32 v23, 0x32a5705f, v19
	v_sub_f32_e32 v21, v21, v46
	v_add_f32_e32 v21, v21, v23
	v_exp_f32_e32 v21, v21
	v_cvt_i32_f32_e32 v23, v46
	v_cmp_le_i32_e64 s[0:1], s37, v45
	v_cmp_gt_i32_e64 s[2:3], s38, v45
	s_and_b64 s[2:3], s[0:1], s[2:3]
	v_ldexp_f32 v21, v21, v23
	v_cmp_ngt_f32_e64 s[0:1], s51, v19
	v_ashrrev_i32_e32 v23, 31, v22
	v_cndmask_b32_e64 v21, 0, v21, s[0:1]
	v_cmp_nlt_f32_e64 s[0:1], s52, v19
	v_lshlrev_b64 v[46:47], 2, v[22:23]
	v_cndmask_b32_e64 v48, v43, v21, s[0:1]
	v_mov_b32_e32 v19, s35
	v_add_co_u32_e64 v46, s[0:1], s34, v46
	v_addc_co_u32_e64 v47, s[0:1], v19, v47, s[0:1]
	v_ashrrev_i32_e32 v21, 31, v20
	global_store_dword v[46:47], v48, off
	v_subrev_u32_e32 v19, s37, v45
	s_and_b64 s[0:1], s[46:47], s[2:3]
	v_lshlrev_b64 v[46:47], 2, v[20:21]
	v_cndmask_b32_e64 v19, 64, v19, s[0:1]
	s_waitcnt lgkmcnt(0)
	v_mov_b32_e32 v21, s41
	v_add_co_u32_e64 v46, s[0:1], s40, v46
	v_addc_co_u32_e64 v47, s[0:1], v21, v47, s[0:1]
	global_store_dword v[46:47], v19, off
	v_ashrrev_i32_e32 v19, 31, v18
	v_lshlrev_b64 v[46:47], 2, v[18:19]
	v_mov_b32_e32 v19, s43
	v_add_co_u32_e64 v46, s[0:1], s42, v46
	v_addc_co_u32_e64 v47, s[0:1], v19, v47, s[0:1]
	v_add_f32_e32 v26, v26, v48
	global_store_dword v[46:47], v17, off
.LBB275_14:                             ;   in Loop: Header=BB275_12 Depth=1
	s_or_b64 exec, exec, s[4:5]
	v_ashrrev_i32_e32 v21, 31, v45
	v_lshrrev_b32_e32 v19, 28, v21
	v_add_u32_e32 v19, v45, v19
	v_ashrrev_i32_e32 v19, 4, v19
	v_lshrrev_b32_e32 v23, 30, v19
	v_add_u32_e32 v23, v19, v23
	v_and_b32_e32 v23, -4, v23
	v_sub_u32_e32 v23, v19, v23
	v_cmp_eq_u32_e64 s[0:1], v24, v23
	s_and_saveexec_b64 s[48:49], s[0:1]
	s_cbranch_execz .LBB275_11
; %bb.15:                               ;   in Loop: Header=BB275_12 Depth=1
	v_lshrrev_b32_e32 v21, 26, v21
	v_add_u32_e32 v21, v45, v21
	v_lshlrev_b32_e32 v19, 4, v19
	v_sub_u32_e32 v19, v45, v19
	v_ashrrev_i32_e32 v21, 6, v21
	v_lshl_add_u32 v19, v21, 4, v19
	v_cmp_ne_u32_e64 s[0:1], 14, v19
	v_cmp_ne_u32_e64 s[2:3], 13, v19
	;; [unrolled: 1-line block ×16, first 2 shown]
	v_cndmask_b32_e64 v15, v44, v15, s[30:31]
	v_cndmask_b32_e64 v14, v44, v14, s[0:1]
	;; [unrolled: 1-line block ×16, first 2 shown]
	s_branch .LBB275_11
.LBB275_16:
	v_sub_f32_e32 v0, v0, v25
	s_mov_b32 s2, 0x3fb8aa3b
	v_mul_f32_e32 v17, 0x3fb8aa3b, v0
	v_fma_f32 v18, v0, s2, -v17
	v_rndne_f32_e32 v19, v17
	v_fmac_f32_e32 v18, 0x32a5705f, v0
	v_sub_f32_e32 v17, v17, v19
	v_add_f32_e32 v17, v17, v18
	v_exp_f32_e32 v17, v17
	v_cvt_i32_f32_e32 v18, v19
	v_sub_f32_e32 v1, v1, v25
	s_mov_b32 s4, 0xc2ce8ed0
	s_mov_b32 s3, 0x42b17218
	v_ldexp_f32 v17, v17, v18
	v_mul_f32_e32 v18, 0x3fb8aa3b, v1
	v_fma_f32 v19, v1, s2, -v18
	v_rndne_f32_e32 v20, v18
	v_fmac_f32_e32 v19, 0x32a5705f, v1
	v_sub_f32_e32 v18, v18, v20
	v_add_f32_e32 v18, v18, v19
	v_exp_f32_e32 v18, v18
	v_cvt_i32_f32_e32 v19, v20
	v_cmp_ngt_f32_e32 vcc, s4, v1
	v_cmp_ngt_f32_e64 s[0:1], s4, v0
	v_sub_f32_e32 v2, v2, v25
	v_ldexp_f32 v18, v18, v19
	v_cndmask_b32_e32 v18, 0, v18, vcc
	v_mov_b32_e32 v19, 0x7f800000
	v_cmp_nlt_f32_e32 vcc, s3, v1
	v_cndmask_b32_e64 v1, 0, v17, s[0:1]
	v_cmp_nlt_f32_e64 s[0:1], s3, v0
	v_cndmask_b32_e64 v0, v19, v1, s[0:1]
	v_cndmask_b32_e32 v1, v19, v18, vcc
	v_add_f32_e32 v0, v0, v1
	v_mul_f32_e32 v1, 0x3fb8aa3b, v2
	v_fma_f32 v17, v2, s2, -v1
	v_rndne_f32_e32 v18, v1
	v_fmac_f32_e32 v17, 0x32a5705f, v2
	v_sub_f32_e32 v1, v1, v18
	v_add_f32_e32 v1, v1, v17
	v_exp_f32_e32 v1, v1
	v_cvt_i32_f32_e32 v17, v18
	v_cmp_ngt_f32_e32 vcc, s4, v2
	v_sub_f32_e32 v3, v3, v25
	v_sub_f32_e32 v4, v4, v25
	v_ldexp_f32 v1, v1, v17
	v_cndmask_b32_e32 v1, 0, v1, vcc
	v_cmp_nlt_f32_e32 vcc, s3, v2
	v_cndmask_b32_e32 v1, v19, v1, vcc
	v_add_f32_e32 v0, v0, v1
	v_mul_f32_e32 v1, 0x3fb8aa3b, v3
	v_fma_f32 v2, v3, s2, -v1
	v_rndne_f32_e32 v17, v1
	v_fmac_f32_e32 v2, 0x32a5705f, v3
	v_sub_f32_e32 v1, v1, v17
	v_add_f32_e32 v1, v1, v2
	v_exp_f32_e32 v1, v1
	v_cvt_i32_f32_e32 v2, v17
	v_cmp_ngt_f32_e32 vcc, s4, v3
	v_sub_f32_e32 v5, v5, v25
	v_sub_f32_e32 v6, v6, v25
	v_ldexp_f32 v1, v1, v2
	v_cndmask_b32_e32 v1, 0, v1, vcc
	v_cmp_nlt_f32_e32 vcc, s3, v3
	;; [unrolled: 16-line block ×5, first 2 shown]
	v_cndmask_b32_e32 v1, v19, v1, vcc
	v_add_f32_e32 v0, v0, v1
	v_mul_f32_e32 v1, 0x3fb8aa3b, v7
	v_fma_f32 v2, v7, s2, -v1
	v_rndne_f32_e32 v3, v1
	v_fmac_f32_e32 v2, 0x32a5705f, v7
	v_sub_f32_e32 v1, v1, v3
	v_add_f32_e32 v1, v1, v2
	v_exp_f32_e32 v1, v1
	v_cvt_i32_f32_e32 v2, v3
	v_cmp_ngt_f32_e32 vcc, s4, v7
	v_ldexp_f32 v1, v1, v2
	v_mul_f32_e32 v2, 0x3fb8aa3b, v8
	v_fma_f32 v3, v8, s2, -v2
	v_rndne_f32_e32 v4, v2
	v_fmac_f32_e32 v3, 0x32a5705f, v8
	v_sub_f32_e32 v2, v2, v4
	v_add_f32_e32 v2, v2, v3
	v_exp_f32_e32 v2, v2
	v_cvt_i32_f32_e32 v3, v4
	v_cndmask_b32_e32 v1, 0, v1, vcc
	v_cmp_nlt_f32_e32 vcc, s3, v7
	v_cndmask_b32_e32 v1, v19, v1, vcc
	v_add_f32_e32 v0, v0, v1
	v_ldexp_f32 v1, v2, v3
	v_mul_f32_e32 v2, 0x3fb8aa3b, v9
	v_fma_f32 v3, v9, s2, -v2
	v_rndne_f32_e32 v4, v2
	v_fmac_f32_e32 v3, 0x32a5705f, v9
	v_sub_f32_e32 v2, v2, v4
	v_add_f32_e32 v2, v2, v3
	v_exp_f32_e32 v2, v2
	v_cvt_i32_f32_e32 v3, v4
	v_cmp_ngt_f32_e32 vcc, s4, v8
	v_cndmask_b32_e32 v1, 0, v1, vcc
	v_cmp_nlt_f32_e32 vcc, s3, v8
	v_cndmask_b32_e32 v1, v19, v1, vcc
	v_add_f32_e32 v0, v0, v1
	v_ldexp_f32 v1, v2, v3
	v_mul_f32_e32 v2, 0x3fb8aa3b, v10
	v_fma_f32 v3, v10, s2, -v2
	v_rndne_f32_e32 v4, v2
	v_fmac_f32_e32 v3, 0x32a5705f, v10
	v_sub_f32_e32 v2, v2, v4
	v_add_f32_e32 v2, v2, v3
	v_exp_f32_e32 v2, v2
	v_cvt_i32_f32_e32 v3, v4
	v_cmp_ngt_f32_e32 vcc, s4, v9
	;; [unrolled: 14-line block ×4, first 2 shown]
	v_cndmask_b32_e32 v1, 0, v1, vcc
	v_cmp_nlt_f32_e32 vcc, s3, v11
	v_cndmask_b32_e32 v1, v19, v1, vcc
	v_add_f32_e32 v0, v0, v1
	v_ldexp_f32 v1, v2, v3
	v_sub_f32_e32 v2, v13, v25
	v_mul_f32_e32 v3, 0x3fb8aa3b, v2
	v_fma_f32 v4, v2, s2, -v3
	v_rndne_f32_e32 v5, v3
	v_fmac_f32_e32 v4, 0x32a5705f, v2
	v_sub_f32_e32 v3, v3, v5
	v_add_f32_e32 v3, v3, v4
	v_exp_f32_e32 v3, v3
	v_cvt_i32_f32_e32 v4, v5
	v_cmp_ngt_f32_e32 vcc, s4, v12
	v_cndmask_b32_e32 v1, 0, v1, vcc
	v_cmp_nlt_f32_e32 vcc, s3, v12
	v_cndmask_b32_e32 v1, v19, v1, vcc
	v_add_f32_e32 v0, v0, v1
	v_ldexp_f32 v1, v3, v4
	v_sub_f32_e32 v3, v14, v25
	v_mul_f32_e32 v4, 0x3fb8aa3b, v3
	v_fma_f32 v5, v3, s2, -v4
	v_rndne_f32_e32 v6, v4
	v_fmac_f32_e32 v5, 0x32a5705f, v3
	v_sub_f32_e32 v4, v4, v6
	v_add_f32_e32 v4, v4, v5
	v_exp_f32_e32 v4, v4
	v_cvt_i32_f32_e32 v5, v6
	v_cmp_ngt_f32_e32 vcc, s4, v2
	v_cndmask_b32_e32 v1, 0, v1, vcc
	v_cmp_nlt_f32_e32 vcc, s3, v2
	v_cndmask_b32_e32 v1, v19, v1, vcc
	v_sub_f32_e32 v2, v15, v25
	v_add_f32_e32 v0, v0, v1
	v_ldexp_f32 v1, v4, v5
	v_mul_f32_e32 v4, 0x3fb8aa3b, v2
	v_fma_f32 v5, v2, s2, -v4
	v_rndne_f32_e32 v6, v4
	v_fmac_f32_e32 v5, 0x32a5705f, v2
	v_sub_f32_e32 v4, v4, v6
	v_add_f32_e32 v4, v4, v5
	v_exp_f32_e32 v4, v4
	v_cvt_i32_f32_e32 v5, v6
	v_cmp_ngt_f32_e32 vcc, s4, v3
	v_cndmask_b32_e32 v1, 0, v1, vcc
	v_cmp_nlt_f32_e32 vcc, s3, v3
	v_cndmask_b32_e32 v1, v19, v1, vcc
	v_add_f32_e32 v0, v0, v1
	v_ldexp_f32 v1, v4, v5
	v_cmp_ngt_f32_e32 vcc, s4, v2
	v_cndmask_b32_e32 v1, 0, v1, vcc
	v_cmp_nlt_f32_e32 vcc, s3, v2
	v_cndmask_b32_e32 v1, v19, v1, vcc
	v_add_f32_e32 v0, v0, v1
	v_cmp_eq_u32_e32 vcc, 0, v24
	s_nop 0
	v_mov_b32_dpp v1, v0 quad_perm:[1,0,3,2] row_mask:0xf bank_mask:0xf
	v_add_f32_e32 v0, v0, v1
	s_nop 1
	v_mov_b32_dpp v1, v0 quad_perm:[2,3,0,1] row_mask:0xf bank_mask:0xf
	s_and_b64 exec, exec, vcc
	s_cbranch_execz .LBB275_29
; %bb.17:
	v_add_f32_e32 v0, v0, v1
	v_add_f32_e32 v0, v26, v0
	v_cmp_neq_f32_e32 vcc, 0, v0
	s_and_b64 exec, exec, vcc
	s_cbranch_execz .LBB275_29
; %bb.18:
	s_andn2_b64 vcc, exec, s[44:45]
	s_cbranch_vccnz .LBB275_29
; %bb.19:
	v_div_scale_f32 v1, s[0:1], v0, v0, 1.0
	v_rcp_f32_e32 v2, v1
	v_div_scale_f32 v3, vcc, 1.0, v0, 1.0
	s_cmp_gt_u32 s36, 3
	v_fma_f32 v4, -v1, v2, 1.0
	v_fmac_f32_e32 v2, v4, v2
	v_mul_f32_e32 v4, v3, v2
	v_fma_f32 v5, -v1, v4, v3
	v_fmac_f32_e32 v4, v5, v2
	v_fma_f32 v1, -v1, v4, v3
	v_div_fmas_f32 v1, v1, v2, v4
	v_div_fixup_f32 v0, v1, v0, 1.0
	v_ashrrev_i32_e32 v17, 31, v16
	s_cbranch_scc0 .LBB275_23
; %bb.20:
	v_lshlrev_b64 v[2:3], 2, v[16:17]
	v_mov_b32_e32 v4, s35
	v_add_co_u32_e32 v2, vcc, s34, v2
	v_addc_co_u32_e32 v3, vcc, v3, v4, vcc
	s_and_b32 s4, s36, 0x7ffffffc
	v_add_co_u32_e32 v2, vcc, 8, v2
	v_mov_b32_e32 v1, v0
	v_addc_co_u32_e32 v3, vcc, 0, v3, vcc
	s_mov_b32 s0, s4
.LBB275_21:                             ; =>This Inner Loop Header: Depth=1
	global_load_dwordx4 v[4:7], v[2:3], off offset:-8
	s_add_i32 s0, s0, -4
	s_cmp_lg_u32 s0, 0
	s_waitcnt vmcnt(0)
	v_pk_mul_f32 v[4:5], v[0:1], v[4:5]
	v_pk_mul_f32 v[6:7], v[0:1], v[6:7]
	global_store_dwordx4 v[2:3], v[4:7], off offset:-8
	v_add_co_u32_e32 v2, vcc, 16, v2
	v_addc_co_u32_e32 v3, vcc, 0, v3, vcc
	s_cbranch_scc1 .LBB275_21
; %bb.22:
	s_cmp_lg_u32 s4, s36
	s_mov_b64 s[2:3], 0
	s_cselect_b64 s[0:1], -1, 0
	s_branch .LBB275_24
.LBB275_23:
	s_mov_b64 s[2:3], -1
	s_mov_b64 s[0:1], 0
                                        ; implicit-def: $sgpr4
.LBB275_24:
	s_and_b64 vcc, exec, s[2:3]
	s_cbranch_vccz .LBB275_26
; %bb.25:
	s_mov_b64 s[0:1], -1
	s_mov_b32 s4, 0
.LBB275_26:
	s_andn2_b64 vcc, exec, s[0:1]
	s_cbranch_vccnz .LBB275_29
; %bb.27:
	v_add_co_u32_e32 v2, vcc, s4, v16
	v_addc_co_u32_e32 v3, vcc, 0, v17, vcc
	v_lshlrev_b64 v[2:3], 2, v[2:3]
	v_mov_b32_e32 v1, s35
	v_add_co_u32_e32 v2, vcc, s34, v2
	s_sub_i32 s0, s36, s4
	v_addc_co_u32_e32 v3, vcc, v1, v3, vcc
.LBB275_28:                             ; =>This Inner Loop Header: Depth=1
	global_load_dword v1, v[2:3], off
	s_add_i32 s0, s0, -1
	s_cmp_lg_u32 s0, 0
	s_waitcnt vmcnt(0)
	v_mul_f32_e32 v1, v0, v1
	global_store_dword v[2:3], v1, off
	v_add_co_u32_e32 v2, vcc, 4, v2
	v_addc_co_u32_e32 v3, vcc, 0, v3, vcc
	s_cbranch_scc1 .LBB275_28
.LBB275_29:
	s_endpgm
	.section	.rodata,"a",@progbits
	.p2align	6, 0x0
	.amdhsa_kernel _ZN4vllm3moe17topkGatingSoftmaxItLi16ELi64ELi8ELi32ELb0ELi4ELNS0_23SharedExpertScoringFuncE1EEEvPKT_PKbPfiPiS9_iiiiii
		.amdhsa_group_segment_fixed_size 0
		.amdhsa_private_segment_fixed_size 0
		.amdhsa_kernarg_size 72
		.amdhsa_user_sgpr_count 6
		.amdhsa_user_sgpr_private_segment_buffer 1
		.amdhsa_user_sgpr_dispatch_ptr 0
		.amdhsa_user_sgpr_queue_ptr 0
		.amdhsa_user_sgpr_kernarg_segment_ptr 1
		.amdhsa_user_sgpr_dispatch_id 0
		.amdhsa_user_sgpr_flat_scratch_init 0
		.amdhsa_user_sgpr_kernarg_preload_length 0
		.amdhsa_user_sgpr_kernarg_preload_offset 0
		.amdhsa_user_sgpr_private_segment_size 0
		.amdhsa_uses_dynamic_stack 0
		.amdhsa_system_sgpr_private_segment_wavefront_offset 0
		.amdhsa_system_sgpr_workgroup_id_x 1
		.amdhsa_system_sgpr_workgroup_id_y 0
		.amdhsa_system_sgpr_workgroup_id_z 0
		.amdhsa_system_sgpr_workgroup_info 0
		.amdhsa_system_vgpr_workitem_id 1
		.amdhsa_next_free_vgpr 49
		.amdhsa_next_free_sgpr 53
		.amdhsa_accum_offset 52
		.amdhsa_reserve_vcc 1
		.amdhsa_reserve_flat_scratch 0
		.amdhsa_float_round_mode_32 0
		.amdhsa_float_round_mode_16_64 0
		.amdhsa_float_denorm_mode_32 3
		.amdhsa_float_denorm_mode_16_64 3
		.amdhsa_dx10_clamp 1
		.amdhsa_ieee_mode 1
		.amdhsa_fp16_overflow 0
		.amdhsa_tg_split 0
		.amdhsa_exception_fp_ieee_invalid_op 0
		.amdhsa_exception_fp_denorm_src 0
		.amdhsa_exception_fp_ieee_div_zero 0
		.amdhsa_exception_fp_ieee_overflow 0
		.amdhsa_exception_fp_ieee_underflow 0
		.amdhsa_exception_fp_ieee_inexact 0
		.amdhsa_exception_int_div_zero 0
	.end_amdhsa_kernel
	.section	.text._ZN4vllm3moe17topkGatingSoftmaxItLi16ELi64ELi8ELi32ELb0ELi4ELNS0_23SharedExpertScoringFuncE1EEEvPKT_PKbPfiPiS9_iiiiii,"axG",@progbits,_ZN4vllm3moe17topkGatingSoftmaxItLi16ELi64ELi8ELi32ELb0ELi4ELNS0_23SharedExpertScoringFuncE1EEEvPKT_PKbPfiPiS9_iiiiii,comdat
.Lfunc_end275:
	.size	_ZN4vllm3moe17topkGatingSoftmaxItLi16ELi64ELi8ELi32ELb0ELi4ELNS0_23SharedExpertScoringFuncE1EEEvPKT_PKbPfiPiS9_iiiiii, .Lfunc_end275-_ZN4vllm3moe17topkGatingSoftmaxItLi16ELi64ELi8ELi32ELb0ELi4ELNS0_23SharedExpertScoringFuncE1EEEvPKT_PKbPfiPiS9_iiiiii
                                        ; -- End function
	.section	.AMDGPU.csdata,"",@progbits
; Kernel info:
; codeLenInByte = 4528
; NumSgprs: 57
; NumVgprs: 49
; NumAgprs: 0
; TotalNumVgprs: 49
; ScratchSize: 0
; MemoryBound: 0
; FloatMode: 240
; IeeeMode: 1
; LDSByteSize: 0 bytes/workgroup (compile time only)
; SGPRBlocks: 7
; VGPRBlocks: 6
; NumSGPRsForWavesPerEU: 57
; NumVGPRsForWavesPerEU: 49
; AccumOffset: 52
; Occupancy: 8
; WaveLimiterHint : 0
; COMPUTE_PGM_RSRC2:SCRATCH_EN: 0
; COMPUTE_PGM_RSRC2:USER_SGPR: 6
; COMPUTE_PGM_RSRC2:TRAP_HANDLER: 0
; COMPUTE_PGM_RSRC2:TGID_X_EN: 1
; COMPUTE_PGM_RSRC2:TGID_Y_EN: 0
; COMPUTE_PGM_RSRC2:TGID_Z_EN: 0
; COMPUTE_PGM_RSRC2:TIDIG_COMP_CNT: 1
; COMPUTE_PGM_RSRC3_GFX90A:ACCUM_OFFSET: 12
; COMPUTE_PGM_RSRC3_GFX90A:TG_SPLIT: 0
	.section	.text._ZN4vllm3moe17topkGatingSoftmaxItLi16ELi64ELi8ELi32ELb1ELi8ELNS0_23SharedExpertScoringFuncE1EEEvPKT_PKbPfiPiS9_iiiiii,"axG",@progbits,_ZN4vllm3moe17topkGatingSoftmaxItLi16ELi64ELi8ELi32ELb1ELi8ELNS0_23SharedExpertScoringFuncE1EEEvPKT_PKbPfiPiS9_iiiiii,comdat
	.protected	_ZN4vllm3moe17topkGatingSoftmaxItLi16ELi64ELi8ELi32ELb1ELi8ELNS0_23SharedExpertScoringFuncE1EEEvPKT_PKbPfiPiS9_iiiiii ; -- Begin function _ZN4vllm3moe17topkGatingSoftmaxItLi16ELi64ELi8ELi32ELb1ELi8ELNS0_23SharedExpertScoringFuncE1EEEvPKT_PKbPfiPiS9_iiiiii
	.globl	_ZN4vllm3moe17topkGatingSoftmaxItLi16ELi64ELi8ELi32ELb1ELi8ELNS0_23SharedExpertScoringFuncE1EEEvPKT_PKbPfiPiS9_iiiiii
	.p2align	8
	.type	_ZN4vllm3moe17topkGatingSoftmaxItLi16ELi64ELi8ELi32ELb1ELi8ELNS0_23SharedExpertScoringFuncE1EEEvPKT_PKbPfiPiS9_iiiiii,@function
_ZN4vllm3moe17topkGatingSoftmaxItLi16ELi64ELi8ELi32ELb1ELi8ELNS0_23SharedExpertScoringFuncE1EEEvPKT_PKbPfiPiS9_iiiiii: ; @_ZN4vllm3moe17topkGatingSoftmaxItLi16ELi64ELi8ELi32ELb1ELi8ELNS0_23SharedExpertScoringFuncE1EEEvPKT_PKbPfiPiS9_iiiiii
; %bb.0:
	s_load_dword s33, s[4:5], 0x18
	v_bfe_u32 v1, v0, 10, 10
	v_and_b32_e32 v0, 0x3ff, v0
	s_lshl_b32 s50, s6, 7
	v_lshlrev_b32_e32 v22, 4, v1
	v_lshrrev_b32_e32 v23, 2, v0
	v_add3_u32 v43, s50, v22, v23
	s_waitcnt lgkmcnt(0)
	v_cmp_gt_i32_e32 vcc, s33, v43
	s_and_saveexec_b64 s[0:1], vcc
	s_cbranch_execz .LBB276_30
; %bb.1:
	s_load_dwordx4 s[0:3], s[4:5], 0x0
	s_load_dwordx2 s[34:35], s[4:5], 0x10
	s_mov_b64 s[6:7], 0
	s_waitcnt lgkmcnt(0)
	s_cmp_eq_u64 s[2:3], 0
	s_cbranch_scc1 .LBB276_3
; %bb.2:
	v_ashrrev_i32_e32 v1, 31, v43
	v_mov_b32_e32 v3, s3
	v_add_co_u32_e32 v2, vcc, s2, v43
	v_addc_co_u32_e32 v3, vcc, v3, v1, vcc
	global_load_ubyte v1, v[2:3], off
	s_waitcnt vmcnt(0)
	v_and_b32_e32 v1, 1, v1
	v_cmp_eq_u32_e32 vcc, 1, v1
	s_xor_b64 s[2:3], vcc, -1
	s_orn2_b64 s[44:45], s[2:3], exec
	s_branch .LBB276_4
.LBB276_3:
	s_mov_b64 s[44:45], -1
.LBB276_4:
	s_load_dwordx2 s[8:9], s[4:5], 0x40
	s_load_dwordx4 s[36:39], s[4:5], 0x30
	v_mov_b32_e32 v1, s1
	v_and_b32_e32 v24, 3, v0
	v_lshlrev_b32_e32 v0, 5, v24
	s_waitcnt lgkmcnt(0)
	v_mul_lo_u32 v2, v43, s9
	v_ashrrev_i32_e32 v3, 31, v2
	v_lshlrev_b64 v[8:9], 1, v[2:3]
	v_add_co_u32_e32 v2, vcc, s0, v8
	v_addc_co_u32_e32 v1, vcc, v1, v9, vcc
	v_add_co_u32_e32 v0, vcc, v2, v0
	v_addc_co_u32_e32 v1, vcc, 0, v1, vcc
	global_load_dwordx4 v[12:15], v[0:1], off offset:16
	global_load_dwordx4 v[4:7], v[0:1], off
	v_lshlrev_b32_e32 v0, 1, v24
	v_add_co_u32_e32 v0, vcc, v8, v0
	v_addc_co_u32_e32 v1, vcc, 0, v9, vcc
	v_mov_b32_e32 v3, s1
	v_add_co_u32_e32 v0, vcc, s0, v0
	v_addc_co_u32_e32 v1, vcc, v1, v3, vcc
	s_movk_i32 s0, 0x80
	v_mul_lo_u32 v16, v43, s39
	v_add_co_u32_e32 v0, vcc, s0, v0
	v_lshlrev_b32_e32 v25, 4, v24
	v_add_u32_e32 v2, s36, v16
	v_addc_co_u32_e32 v1, vcc, 0, v1, vcc
	s_mov_b32 s0, 0xbfb8aa3b
	s_mov_b32 s1, 0x42ce8ed0
	;; [unrolled: 1-line block ×3, first 2 shown]
	v_mov_b32_e32 v3, 0x7f800000
	v_mov_b32_e32 v8, s35
	;; [unrolled: 1-line block ×3, first 2 shown]
.LBB276_5:                              ; =>This Inner Loop Header: Depth=1
	global_load_ushort v17, v[0:1], off
	v_add_co_u32_e32 v0, vcc, 8, v0
	v_add_u32_e32 v18, 4, v9
	v_addc_co_u32_e32 v1, vcc, 0, v1, vcc
	v_add_u32_e32 v10, v2, v9
	v_cmp_lt_u32_e32 vcc, 3, v9
	v_mov_b32_e32 v9, v18
	v_ashrrev_i32_e32 v11, 31, v10
	v_lshlrev_b64 v[10:11], 2, v[10:11]
	s_or_b64 s[6:7], vcc, s[6:7]
	v_add_co_u32_e32 v10, vcc, s34, v10
	v_addc_co_u32_e32 v11, vcc, v8, v11, vcc
	s_waitcnt vmcnt(0)
	v_cvt_f32_u32_e32 v17, v17
	v_mul_f32_e32 v18, 0xbfb8aa3b, v17
	v_rndne_f32_e32 v19, v18
	v_fma_f32 v20, v17, s0, -v18
	v_sub_f32_e32 v18, v18, v19
	v_fmac_f32_e32 v20, 0xb2a5705f, v17
	v_add_f32_e32 v18, v18, v20
	v_cvt_i32_f32_e32 v19, v19
	v_exp_f32_e32 v18, v18
	v_cmp_nlt_f32_e32 vcc, s1, v17
	v_ldexp_f32 v18, v18, v19
	v_cndmask_b32_e32 v18, 0, v18, vcc
	v_cmp_ngt_f32_e32 vcc, s2, v17
	v_cndmask_b32_e32 v17, v3, v18, vcc
	v_add_f32_e32 v17, 1.0, v17
	v_div_scale_f32 v18, s[10:11], v17, v17, 1.0
	v_rcp_f32_e32 v19, v18
	v_div_scale_f32 v20, vcc, 1.0, v17, 1.0
	v_fma_f32 v21, -v18, v19, 1.0
	v_fmac_f32_e32 v19, v21, v19
	v_mul_f32_e32 v21, v20, v19
	v_fma_f32 v26, -v18, v21, v20
	v_fmac_f32_e32 v21, v26, v19
	v_fma_f32 v18, -v18, v21, v20
	v_div_fmas_f32 v18, v18, v19, v21
	v_div_fixup_f32 v17, v18, v17, 1.0
	global_store_dword v[10:11], v17, off
	s_andn2_b64 exec, exec, s[6:7]
	s_cbranch_execnz .LBB276_5
; %bb.6:
	s_or_b64 exec, exec, s[6:7]
	v_cvt_f32_u32_sdwa v1, v4 dst_sel:DWORD dst_unused:UNUSED_PAD src0_sel:WORD_1
	v_cvt_f32_u32_sdwa v0, v4 dst_sel:DWORD dst_unused:UNUSED_PAD src0_sel:WORD_0
	v_cvt_f32_u32_sdwa v2, v5 dst_sel:DWORD dst_unused:UNUSED_PAD src0_sel:WORD_0
	v_or_b32_e32 v26, 1, v25
	v_or_b32_e32 v27, 2, v25
	v_cmp_lt_f32_e32 vcc, v0, v1
	v_cndmask_b32_e32 v4, v0, v1, vcc
	v_cndmask_b32_e32 v3, v25, v26, vcc
	v_cmp_lt_f32_e32 vcc, v4, v2
	v_cndmask_b32_e32 v8, v3, v27, vcc
	v_cvt_f32_u32_sdwa v3, v5 dst_sel:DWORD dst_unused:UNUSED_PAD src0_sel:WORD_1
	v_cndmask_b32_e32 v4, v4, v2, vcc
	v_or_b32_e32 v28, 3, v25
	v_or_b32_e32 v29, 4, v25
	v_cmp_lt_f32_e32 vcc, v4, v3
	v_cndmask_b32_e32 v5, v8, v28, vcc
	v_cndmask_b32_e32 v8, v4, v3, vcc
	v_cvt_f32_u32_sdwa v4, v6 dst_sel:DWORD dst_unused:UNUSED_PAD src0_sel:WORD_0
	v_or_b32_e32 v30, 5, v25
	v_or_b32_e32 v31, 6, v25
	;; [unrolled: 1-line block ×3, first 2 shown]
	v_cmp_lt_f32_e32 vcc, v8, v4
	v_cndmask_b32_e32 v9, v5, v29, vcc
	v_cvt_f32_u32_sdwa v5, v6 dst_sel:DWORD dst_unused:UNUSED_PAD src0_sel:WORD_1
	v_cvt_f32_u32_sdwa v6, v7 dst_sel:DWORD dst_unused:UNUSED_PAD src0_sel:WORD_0
	v_cndmask_b32_e32 v8, v8, v4, vcc
	v_cvt_f32_u32_sdwa v7, v7 dst_sel:DWORD dst_unused:UNUSED_PAD src0_sel:WORD_1
	v_cmp_lt_f32_e32 vcc, v8, v5
	v_cndmask_b32_e32 v8, v8, v5, vcc
	v_cndmask_b32_e32 v9, v9, v30, vcc
	v_cmp_lt_f32_e32 vcc, v8, v6
	v_cndmask_b32_e32 v8, v8, v6, vcc
	v_cndmask_b32_e32 v9, v9, v31, vcc
	v_cmp_lt_f32_e32 vcc, v8, v7
	v_cndmask_b32_e32 v10, v8, v7, vcc
	v_cvt_f32_u32_sdwa v8, v12 dst_sel:DWORD dst_unused:UNUSED_PAD src0_sel:WORD_0
	v_cndmask_b32_e32 v9, v9, v32, vcc
	v_or_b32_e32 v33, 8, v25
	v_or_b32_e32 v34, 9, v25
	v_cmp_lt_f32_e32 vcc, v10, v8
	v_cndmask_b32_e32 v11, v9, v33, vcc
	v_cvt_f32_u32_sdwa v9, v12 dst_sel:DWORD dst_unused:UNUSED_PAD src0_sel:WORD_1
	v_cndmask_b32_e32 v10, v10, v8, vcc
	v_or_b32_e32 v35, 10, v25
	v_or_b32_e32 v36, 11, v25
	v_cmp_lt_f32_e32 vcc, v10, v9
	v_cndmask_b32_e32 v12, v10, v9, vcc
	v_cvt_f32_u32_sdwa v10, v13 dst_sel:DWORD dst_unused:UNUSED_PAD src0_sel:WORD_0
	v_cndmask_b32_e32 v11, v11, v34, vcc
	v_or_b32_e32 v37, 12, v25
	v_or_b32_e32 v38, 13, v25
	v_cmp_lt_f32_e32 vcc, v12, v10
	v_cndmask_b32_e32 v17, v11, v35, vcc
	v_cvt_f32_u32_sdwa v11, v13 dst_sel:DWORD dst_unused:UNUSED_PAD src0_sel:WORD_1
	v_cndmask_b32_e32 v12, v12, v10, vcc
	v_or_b32_e32 v39, 14, v25
	v_or_b32_e32 v40, 15, v25
	v_cmp_lt_f32_e32 vcc, v12, v11
	v_cndmask_b32_e32 v13, v17, v36, vcc
	v_cndmask_b32_e32 v17, v12, v11, vcc
	v_cvt_f32_u32_sdwa v12, v14 dst_sel:DWORD dst_unused:UNUSED_PAD src0_sel:WORD_0
	v_cmp_lt_f32_e32 vcc, v17, v12
	v_cndmask_b32_e32 v18, v13, v37, vcc
	v_cvt_f32_u32_sdwa v13, v14 dst_sel:DWORD dst_unused:UNUSED_PAD src0_sel:WORD_1
	v_cvt_f32_u32_sdwa v14, v15 dst_sel:DWORD dst_unused:UNUSED_PAD src0_sel:WORD_0
	v_cndmask_b32_e32 v17, v17, v12, vcc
	v_cvt_f32_u32_sdwa v15, v15 dst_sel:DWORD dst_unused:UNUSED_PAD src0_sel:WORD_1
	v_cmp_lt_f32_e32 vcc, v17, v13
	v_cndmask_b32_e32 v17, v17, v13, vcc
	v_cndmask_b32_e32 v18, v18, v38, vcc
	v_cmp_lt_f32_e32 vcc, v17, v14
	v_cndmask_b32_e32 v17, v17, v14, vcc
	v_cndmask_b32_e32 v18, v18, v39, vcc
	;; [unrolled: 3-line block ×3, first 2 shown]
	s_nop 0
	v_mov_b32_dpp v20, v18 quad_perm:[1,0,3,2] row_mask:0xf bank_mask:0xf
	v_mov_b32_dpp v19, v17 quad_perm:[1,0,3,2] row_mask:0xf bank_mask:0xf
	v_cmp_eq_f32_e64 s[0:1], v17, v19
	v_cmp_lt_i32_e64 s[2:3], v20, v18
	v_cmp_lt_f32_e32 vcc, v17, v19
	s_and_b64 s[0:1], s[0:1], s[2:3]
	s_or_b64 vcc, vcc, s[0:1]
	s_cmp_gt_i32 s36, 0
	v_cndmask_b32_e32 v17, v17, v19, vcc
	v_cndmask_b32_e32 v18, v18, v20, vcc
	s_cselect_b64 s[46:47], -1, 0
	s_and_b64 vcc, exec, s[46:47]
	v_cmp_eq_u32_e64 s[0:1], 0, v24
	v_mov_b32_dpp v20, v18 quad_perm:[2,3,0,1] row_mask:0xf bank_mask:0xf
	v_mov_b32_dpp v19, v17 quad_perm:[2,3,0,1] row_mask:0xf bank_mask:0xf
	s_cbranch_vccz .LBB276_18
; %bb.7:
	s_load_dwordx4 s[40:43], s[4:5], 0x20
	v_cmp_eq_f32_e64 s[2:3], v17, v19
	v_cmp_lt_i32_e64 s[6:7], v20, v18
	v_cmp_lt_f32_e32 vcc, v17, v19
	s_and_b64 s[2:3], s[2:3], s[6:7]
	s_or_b64 vcc, vcc, s[2:3]
	v_cndmask_b32_e32 v44, v18, v20, vcc
	v_cndmask_b32_e32 v42, v17, v19, vcc
	v_mul_lo_u32 v20, v43, s8
	v_mul_lo_u32 v18, v43, s36
	v_mov_b32_e32 v41, 0
	s_and_saveexec_b64 s[4:5], s[0:1]
	s_cbranch_execz .LBB276_9
; %bb.8:
	v_sub_f32_e32 v17, v42, v42
	v_mul_f32_e32 v19, 0x3fb8aa3b, v17
	s_mov_b32 s2, 0x3fb8aa3b
	v_rndne_f32_e32 v21, v19
	v_sub_f32_e32 v41, v19, v21
	v_fma_f32 v19, v17, s2, -v19
	v_fmac_f32_e32 v19, 0x32a5705f, v17
	v_add_f32_e32 v19, v41, v19
	v_exp_f32_e32 v19, v19
	v_cvt_i32_f32_e32 v21, v21
	v_cmp_le_i32_e32 vcc, s37, v44
	v_cmp_gt_i32_e64 s[2:3], s38, v44
	s_mov_b32 s6, 0xc2ce8ed0
	s_and_b64 s[2:3], vcc, s[2:3]
	v_ldexp_f32 v19, v19, v21
	v_cmp_ngt_f32_e32 vcc, s6, v17
	s_mov_b32 s6, 0x42b17218
	v_cndmask_b32_e32 v19, 0, v19, vcc
	v_cmp_nlt_f32_e32 vcc, s6, v17
	v_ashrrev_i32_e32 v17, 31, v16
	v_mov_b32_e32 v21, 0x7f800000
	v_lshlrev_b64 v[46:47], 2, v[16:17]
	v_cndmask_b32_e32 v41, v21, v19, vcc
	v_mov_b32_e32 v17, s35
	v_add_co_u32_e32 v46, vcc, s34, v46
	v_addc_co_u32_e32 v47, vcc, v17, v47, vcc
	v_ashrrev_i32_e32 v21, 31, v20
	global_store_dword v[46:47], v41, off
	v_subrev_u32_e32 v17, s37, v44
	s_and_b64 vcc, s[44:45], s[2:3]
	v_lshlrev_b64 v[46:47], 2, v[20:21]
	v_cndmask_b32_e32 v17, 64, v17, vcc
	s_waitcnt lgkmcnt(0)
	v_mov_b32_e32 v19, s41
	v_add_co_u32_e32 v46, vcc, s40, v46
	v_addc_co_u32_e32 v47, vcc, v19, v47, vcc
	v_ashrrev_i32_e32 v19, 31, v18
	global_store_dword v[46:47], v17, off
	v_lshlrev_b64 v[46:47], 2, v[18:19]
	v_mov_b32_e32 v17, s43
	v_add_co_u32_e32 v46, vcc, s42, v46
	v_addc_co_u32_e32 v47, vcc, v17, v47, vcc
	global_store_dword v[46:47], v43, off
.LBB276_9:
	s_or_b64 exec, exec, s[4:5]
	v_ashrrev_i32_e32 v19, 31, v44
	v_lshrrev_b32_e32 v17, 28, v19
	v_add_u32_e32 v17, v44, v17
	v_ashrrev_i32_e32 v17, 4, v17
	v_lshrrev_b32_e32 v21, 30, v17
	v_add_u32_e32 v21, v17, v21
	v_and_b32_e32 v21, -4, v21
	v_sub_u32_e32 v21, v17, v21
	v_cmp_eq_u32_e32 vcc, v24, v21
	s_and_saveexec_b64 s[48:49], vcc
	s_cbranch_execz .LBB276_11
; %bb.10:
	v_lshrrev_b32_e32 v19, 26, v19
	v_add_u32_e32 v19, v44, v19
	v_lshlrev_b32_e32 v17, 4, v17
	v_sub_u32_e32 v17, v44, v17
	v_ashrrev_i32_e32 v19, 6, v19
	v_lshl_add_u32 v17, v19, 4, v17
	v_mov_b32_e32 v19, 0xff800000
	v_cmp_ne_u32_e32 vcc, 14, v17
	v_cmp_ne_u32_e64 s[2:3], 13, v17
	v_cmp_ne_u32_e64 s[4:5], 12, v17
	;; [unrolled: 1-line block ×15, first 2 shown]
	v_cndmask_b32_e64 v15, v19, v15, s[30:31]
	v_cndmask_b32_e32 v14, v19, v14, vcc
	v_cndmask_b32_e64 v13, v19, v13, s[2:3]
	v_cndmask_b32_e64 v12, v19, v12, s[4:5]
	;; [unrolled: 1-line block ×14, first 2 shown]
.LBB276_11:
	s_or_b64 exec, exec, s[48:49]
	s_cmp_eq_u32 s36, 1
	s_cbranch_scc1 .LBB276_19
; %bb.12:
	s_add_i32 s50, s50, s33
	s_add_i32 s39, s36, -1
	v_add3_u32 v17, s50, v23, v22
	v_add_u32_e32 v18, 1, v18
	v_add_u32_e32 v20, 1, v20
	v_add_u32_e32 v22, 1, v16
	s_mov_b32 s50, 0x3fb8aa3b
	s_mov_b32 s51, 0xc2ce8ed0
	;; [unrolled: 1-line block ×3, first 2 shown]
	v_mov_b32_e32 v43, 0x7f800000
	v_mov_b32_e32 v44, 0xff800000
	s_branch .LBB276_14
.LBB276_13:                             ;   in Loop: Header=BB276_14 Depth=1
	s_or_b64 exec, exec, s[48:49]
	s_add_i32 s39, s39, -1
	v_add_u32_e32 v17, s33, v17
	v_add_u32_e32 v18, 1, v18
	;; [unrolled: 1-line block ×3, first 2 shown]
	s_cmp_eq_u32 s39, 0
	v_add_u32_e32 v22, 1, v22
	s_cbranch_scc1 .LBB276_19
.LBB276_14:                             ; =>This Inner Loop Header: Depth=1
	v_cmp_gt_f32_e32 vcc, v1, v0
	v_cndmask_b32_e32 v21, v0, v1, vcc
	v_cndmask_b32_e32 v19, v25, v26, vcc
	v_cmp_gt_f32_e32 vcc, v2, v21
	v_cndmask_b32_e32 v21, v21, v2, vcc
	v_cndmask_b32_e32 v19, v19, v27, vcc
	;; [unrolled: 3-line block ×15, first 2 shown]
	s_nop 0
	v_mov_b32_dpp v45, v23 quad_perm:[1,0,3,2] row_mask:0xf bank_mask:0xf
	v_mov_b32_dpp v21, v19 quad_perm:[1,0,3,2] row_mask:0xf bank_mask:0xf
	v_cmp_eq_f32_e64 s[2:3], v19, v21
	v_cmp_lt_i32_e64 s[4:5], v45, v23
	v_cmp_lt_f32_e32 vcc, v19, v21
	s_and_b64 s[2:3], s[2:3], s[4:5]
	s_or_b64 vcc, vcc, s[2:3]
	v_cndmask_b32_e32 v19, v19, v21, vcc
	v_cndmask_b32_e32 v23, v23, v45, vcc
	s_nop 0
	v_mov_b32_dpp v21, v19 quad_perm:[2,3,0,1] row_mask:0xf bank_mask:0xf
	v_mov_b32_dpp v45, v23 quad_perm:[2,3,0,1] row_mask:0xf bank_mask:0xf
	v_cmp_eq_f32_e64 s[2:3], v19, v21
	v_cmp_lt_i32_e64 s[4:5], v45, v23
	v_cmp_lt_f32_e32 vcc, v19, v21
	s_and_b64 s[2:3], s[2:3], s[4:5]
	s_or_b64 vcc, vcc, s[2:3]
	v_cndmask_b32_e32 v45, v23, v45, vcc
	s_and_saveexec_b64 s[4:5], s[0:1]
	s_cbranch_execz .LBB276_16
; %bb.15:                               ;   in Loop: Header=BB276_14 Depth=1
	v_cndmask_b32_e32 v19, v19, v21, vcc
	v_sub_f32_e32 v19, v19, v42
	v_mul_f32_e32 v21, 0x3fb8aa3b, v19
	v_fma_f32 v23, v19, s50, -v21
	v_rndne_f32_e32 v46, v21
	v_fmac_f32_e32 v23, 0x32a5705f, v19
	v_sub_f32_e32 v21, v21, v46
	v_add_f32_e32 v21, v21, v23
	v_exp_f32_e32 v21, v21
	v_cvt_i32_f32_e32 v23, v46
	v_cmp_le_i32_e32 vcc, s37, v45
	v_cmp_gt_i32_e64 s[2:3], s38, v45
	s_and_b64 s[2:3], vcc, s[2:3]
	v_ldexp_f32 v21, v21, v23
	v_cmp_ngt_f32_e32 vcc, s51, v19
	v_ashrrev_i32_e32 v23, 31, v22
	v_cndmask_b32_e32 v21, 0, v21, vcc
	v_cmp_nlt_f32_e32 vcc, s52, v19
	v_lshlrev_b64 v[46:47], 2, v[22:23]
	v_cndmask_b32_e32 v48, v43, v21, vcc
	v_mov_b32_e32 v19, s35
	v_add_co_u32_e32 v46, vcc, s34, v46
	v_addc_co_u32_e32 v47, vcc, v19, v47, vcc
	v_ashrrev_i32_e32 v21, 31, v20
	global_store_dword v[46:47], v48, off
	v_subrev_u32_e32 v19, s37, v45
	s_and_b64 vcc, s[44:45], s[2:3]
	v_lshlrev_b64 v[46:47], 2, v[20:21]
	v_cndmask_b32_e32 v19, 64, v19, vcc
	s_waitcnt lgkmcnt(0)
	v_mov_b32_e32 v21, s41
	v_add_co_u32_e32 v46, vcc, s40, v46
	v_addc_co_u32_e32 v47, vcc, v21, v47, vcc
	global_store_dword v[46:47], v19, off
	v_ashrrev_i32_e32 v19, 31, v18
	v_lshlrev_b64 v[46:47], 2, v[18:19]
	v_mov_b32_e32 v19, s43
	v_add_co_u32_e32 v46, vcc, s42, v46
	v_addc_co_u32_e32 v47, vcc, v19, v47, vcc
	v_add_f32_e32 v41, v41, v48
	global_store_dword v[46:47], v17, off
.LBB276_16:                             ;   in Loop: Header=BB276_14 Depth=1
	s_or_b64 exec, exec, s[4:5]
	v_ashrrev_i32_e32 v21, 31, v45
	v_lshrrev_b32_e32 v19, 28, v21
	v_add_u32_e32 v19, v45, v19
	v_ashrrev_i32_e32 v19, 4, v19
	v_lshrrev_b32_e32 v23, 30, v19
	v_add_u32_e32 v23, v19, v23
	v_and_b32_e32 v23, -4, v23
	v_sub_u32_e32 v23, v19, v23
	v_cmp_eq_u32_e32 vcc, v24, v23
	s_and_saveexec_b64 s[48:49], vcc
	s_cbranch_execz .LBB276_13
; %bb.17:                               ;   in Loop: Header=BB276_14 Depth=1
	v_lshrrev_b32_e32 v21, 26, v21
	v_add_u32_e32 v21, v45, v21
	v_lshlrev_b32_e32 v19, 4, v19
	v_sub_u32_e32 v19, v45, v19
	v_ashrrev_i32_e32 v21, 6, v21
	v_lshl_add_u32 v19, v21, 4, v19
	v_cmp_ne_u32_e32 vcc, 14, v19
	v_cmp_ne_u32_e64 s[2:3], 13, v19
	v_cmp_ne_u32_e64 s[4:5], 12, v19
	;; [unrolled: 1-line block ×15, first 2 shown]
	v_cndmask_b32_e64 v15, v44, v15, s[30:31]
	v_cndmask_b32_e32 v14, v44, v14, vcc
	v_cndmask_b32_e64 v13, v44, v13, s[2:3]
	v_cndmask_b32_e64 v12, v44, v12, s[4:5]
	;; [unrolled: 1-line block ×14, first 2 shown]
	s_branch .LBB276_13
.LBB276_18:
	v_mov_b32_e32 v41, 0
.LBB276_19:
	v_cmp_eq_u32_e32 vcc, 0, v24
	v_cmp_neq_f32_e64 s[0:1], 0, v41
	s_and_b64 s[0:1], vcc, s[0:1]
	s_and_b64 exec, exec, s[0:1]
	s_cbranch_execz .LBB276_30
; %bb.20:
	s_andn2_b64 vcc, exec, s[46:47]
	s_cbranch_vccnz .LBB276_30
; %bb.21:
	v_div_scale_f32 v0, s[0:1], v41, v41, 1.0
	v_rcp_f32_e32 v1, v0
	v_div_scale_f32 v2, vcc, 1.0, v41, 1.0
	s_cmp_gt_u32 s36, 3
	v_fma_f32 v3, -v0, v1, 1.0
	v_fmac_f32_e32 v1, v3, v1
	v_mul_f32_e32 v3, v2, v1
	v_fma_f32 v4, -v0, v3, v2
	v_fmac_f32_e32 v3, v4, v1
	v_fma_f32 v0, -v0, v3, v2
	v_div_fmas_f32 v0, v0, v1, v3
	v_div_fixup_f32 v0, v0, v41, 1.0
	v_ashrrev_i32_e32 v17, 31, v16
	s_cbranch_scc0 .LBB276_25
; %bb.22:
	v_lshlrev_b64 v[2:3], 2, v[16:17]
	v_mov_b32_e32 v4, s35
	v_add_co_u32_e32 v2, vcc, s34, v2
	v_addc_co_u32_e32 v3, vcc, v3, v4, vcc
	s_and_b32 s4, s36, 0x7ffffffc
	v_add_co_u32_e32 v2, vcc, 8, v2
	v_mov_b32_e32 v1, v0
	v_addc_co_u32_e32 v3, vcc, 0, v3, vcc
	s_mov_b32 s0, s4
.LBB276_23:                             ; =>This Inner Loop Header: Depth=1
	global_load_dwordx4 v[4:7], v[2:3], off offset:-8
	s_add_i32 s0, s0, -4
	s_cmp_lg_u32 s0, 0
	s_waitcnt vmcnt(0)
	v_pk_mul_f32 v[4:5], v[0:1], v[4:5]
	v_pk_mul_f32 v[6:7], v[0:1], v[6:7]
	global_store_dwordx4 v[2:3], v[4:7], off offset:-8
	v_add_co_u32_e32 v2, vcc, 16, v2
	v_addc_co_u32_e32 v3, vcc, 0, v3, vcc
	s_cbranch_scc1 .LBB276_23
; %bb.24:
	s_cmp_lg_u32 s4, s36
	s_cselect_b64 s[0:1], -1, 0
	s_branch .LBB276_27
.LBB276_25:
	s_mov_b64 s[0:1], 0
                                        ; implicit-def: $sgpr4
	s_cbranch_execz .LBB276_27
; %bb.26:
	s_mov_b64 s[0:1], -1
	s_mov_b32 s4, 0
.LBB276_27:
	s_andn2_b64 vcc, exec, s[0:1]
	s_cbranch_vccnz .LBB276_30
; %bb.28:
	v_add_co_u32_e32 v2, vcc, s4, v16
	v_addc_co_u32_e32 v3, vcc, 0, v17, vcc
	v_lshlrev_b64 v[2:3], 2, v[2:3]
	v_mov_b32_e32 v1, s35
	v_add_co_u32_e32 v2, vcc, s34, v2
	s_sub_i32 s0, s36, s4
	v_addc_co_u32_e32 v3, vcc, v1, v3, vcc
.LBB276_29:                             ; =>This Inner Loop Header: Depth=1
	global_load_dword v1, v[2:3], off
	s_add_i32 s0, s0, -1
	s_cmp_lg_u32 s0, 0
	s_waitcnt vmcnt(0)
	v_mul_f32_e32 v1, v0, v1
	global_store_dword v[2:3], v1, off
	v_add_co_u32_e32 v2, vcc, 4, v2
	v_addc_co_u32_e32 v3, vcc, 0, v3, vcc
	s_cbranch_scc1 .LBB276_29
.LBB276_30:
	s_endpgm
	.section	.rodata,"a",@progbits
	.p2align	6, 0x0
	.amdhsa_kernel _ZN4vllm3moe17topkGatingSoftmaxItLi16ELi64ELi8ELi32ELb1ELi8ELNS0_23SharedExpertScoringFuncE1EEEvPKT_PKbPfiPiS9_iiiiii
		.amdhsa_group_segment_fixed_size 0
		.amdhsa_private_segment_fixed_size 0
		.amdhsa_kernarg_size 72
		.amdhsa_user_sgpr_count 6
		.amdhsa_user_sgpr_private_segment_buffer 1
		.amdhsa_user_sgpr_dispatch_ptr 0
		.amdhsa_user_sgpr_queue_ptr 0
		.amdhsa_user_sgpr_kernarg_segment_ptr 1
		.amdhsa_user_sgpr_dispatch_id 0
		.amdhsa_user_sgpr_flat_scratch_init 0
		.amdhsa_user_sgpr_kernarg_preload_length 0
		.amdhsa_user_sgpr_kernarg_preload_offset 0
		.amdhsa_user_sgpr_private_segment_size 0
		.amdhsa_uses_dynamic_stack 0
		.amdhsa_system_sgpr_private_segment_wavefront_offset 0
		.amdhsa_system_sgpr_workgroup_id_x 1
		.amdhsa_system_sgpr_workgroup_id_y 0
		.amdhsa_system_sgpr_workgroup_id_z 0
		.amdhsa_system_sgpr_workgroup_info 0
		.amdhsa_system_vgpr_workitem_id 1
		.amdhsa_next_free_vgpr 49
		.amdhsa_next_free_sgpr 53
		.amdhsa_accum_offset 52
		.amdhsa_reserve_vcc 1
		.amdhsa_reserve_flat_scratch 0
		.amdhsa_float_round_mode_32 0
		.amdhsa_float_round_mode_16_64 0
		.amdhsa_float_denorm_mode_32 3
		.amdhsa_float_denorm_mode_16_64 3
		.amdhsa_dx10_clamp 1
		.amdhsa_ieee_mode 1
		.amdhsa_fp16_overflow 0
		.amdhsa_tg_split 0
		.amdhsa_exception_fp_ieee_invalid_op 0
		.amdhsa_exception_fp_denorm_src 0
		.amdhsa_exception_fp_ieee_div_zero 0
		.amdhsa_exception_fp_ieee_overflow 0
		.amdhsa_exception_fp_ieee_underflow 0
		.amdhsa_exception_fp_ieee_inexact 0
		.amdhsa_exception_int_div_zero 0
	.end_amdhsa_kernel
	.section	.text._ZN4vllm3moe17topkGatingSoftmaxItLi16ELi64ELi8ELi32ELb1ELi8ELNS0_23SharedExpertScoringFuncE1EEEvPKT_PKbPfiPiS9_iiiiii,"axG",@progbits,_ZN4vllm3moe17topkGatingSoftmaxItLi16ELi64ELi8ELi32ELb1ELi8ELNS0_23SharedExpertScoringFuncE1EEEvPKT_PKbPfiPiS9_iiiiii,comdat
.Lfunc_end276:
	.size	_ZN4vllm3moe17topkGatingSoftmaxItLi16ELi64ELi8ELi32ELb1ELi8ELNS0_23SharedExpertScoringFuncE1EEEvPKT_PKbPfiPiS9_iiiiii, .Lfunc_end276-_ZN4vllm3moe17topkGatingSoftmaxItLi16ELi64ELi8ELi32ELb1ELi8ELNS0_23SharedExpertScoringFuncE1EEEvPKT_PKbPfiPiS9_iiiiii
                                        ; -- End function
	.section	.AMDGPU.csdata,"",@progbits
; Kernel info:
; codeLenInByte = 2932
; NumSgprs: 57
; NumVgprs: 49
; NumAgprs: 0
; TotalNumVgprs: 49
; ScratchSize: 0
; MemoryBound: 0
; FloatMode: 240
; IeeeMode: 1
; LDSByteSize: 0 bytes/workgroup (compile time only)
; SGPRBlocks: 7
; VGPRBlocks: 6
; NumSGPRsForWavesPerEU: 57
; NumVGPRsForWavesPerEU: 49
; AccumOffset: 52
; Occupancy: 8
; WaveLimiterHint : 0
; COMPUTE_PGM_RSRC2:SCRATCH_EN: 0
; COMPUTE_PGM_RSRC2:USER_SGPR: 6
; COMPUTE_PGM_RSRC2:TRAP_HANDLER: 0
; COMPUTE_PGM_RSRC2:TGID_X_EN: 1
; COMPUTE_PGM_RSRC2:TGID_Y_EN: 0
; COMPUTE_PGM_RSRC2:TGID_Z_EN: 0
; COMPUTE_PGM_RSRC2:TIDIG_COMP_CNT: 1
; COMPUTE_PGM_RSRC3_GFX90A:ACCUM_OFFSET: 12
; COMPUTE_PGM_RSRC3_GFX90A:TG_SPLIT: 0
	.section	.text._ZN4vllm3moe17topkGatingSoftmaxItLi16ELi64ELi8ELi32ELb0ELi8ELNS0_23SharedExpertScoringFuncE1EEEvPKT_PKbPfiPiS9_iiiiii,"axG",@progbits,_ZN4vllm3moe17topkGatingSoftmaxItLi16ELi64ELi8ELi32ELb0ELi8ELNS0_23SharedExpertScoringFuncE1EEEvPKT_PKbPfiPiS9_iiiiii,comdat
	.protected	_ZN4vllm3moe17topkGatingSoftmaxItLi16ELi64ELi8ELi32ELb0ELi8ELNS0_23SharedExpertScoringFuncE1EEEvPKT_PKbPfiPiS9_iiiiii ; -- Begin function _ZN4vllm3moe17topkGatingSoftmaxItLi16ELi64ELi8ELi32ELb0ELi8ELNS0_23SharedExpertScoringFuncE1EEEvPKT_PKbPfiPiS9_iiiiii
	.globl	_ZN4vllm3moe17topkGatingSoftmaxItLi16ELi64ELi8ELi32ELb0ELi8ELNS0_23SharedExpertScoringFuncE1EEEvPKT_PKbPfiPiS9_iiiiii
	.p2align	8
	.type	_ZN4vllm3moe17topkGatingSoftmaxItLi16ELi64ELi8ELi32ELb0ELi8ELNS0_23SharedExpertScoringFuncE1EEEvPKT_PKbPfiPiS9_iiiiii,@function
_ZN4vllm3moe17topkGatingSoftmaxItLi16ELi64ELi8ELi32ELb0ELi8ELNS0_23SharedExpertScoringFuncE1EEEvPKT_PKbPfiPiS9_iiiiii: ; @_ZN4vllm3moe17topkGatingSoftmaxItLi16ELi64ELi8ELi32ELb0ELi8ELNS0_23SharedExpertScoringFuncE1EEEvPKT_PKbPfiPiS9_iiiiii
; %bb.0:
	s_load_dword s33, s[4:5], 0x18
	v_bfe_u32 v1, v0, 10, 10
	v_and_b32_e32 v0, 0x3ff, v0
	s_lshl_b32 s50, s6, 7
	v_lshlrev_b32_e32 v22, 4, v1
	v_lshrrev_b32_e32 v23, 2, v0
	v_add3_u32 v43, s50, v22, v23
	s_waitcnt lgkmcnt(0)
	v_cmp_gt_i32_e32 vcc, s33, v43
	s_and_saveexec_b64 s[0:1], vcc
	s_cbranch_execz .LBB277_32
; %bb.1:
	s_load_dwordx4 s[0:3], s[4:5], 0x0
	s_load_dwordx2 s[34:35], s[4:5], 0x10
	s_mov_b64 s[8:9], 0
	s_waitcnt lgkmcnt(0)
	s_cmp_eq_u64 s[2:3], 0
	s_cbranch_scc1 .LBB277_3
; %bb.2:
	v_ashrrev_i32_e32 v1, 31, v43
	v_mov_b32_e32 v3, s3
	v_add_co_u32_e32 v2, vcc, s2, v43
	v_addc_co_u32_e32 v3, vcc, v3, v1, vcc
	global_load_ubyte v1, v[2:3], off
	s_waitcnt vmcnt(0)
	v_and_b32_e32 v1, 1, v1
	v_cmp_eq_u32_e32 vcc, 1, v1
	s_xor_b64 s[2:3], vcc, -1
	s_orn2_b64 s[46:47], s[2:3], exec
	s_branch .LBB277_4
.LBB277_3:
	s_mov_b64 s[46:47], -1
.LBB277_4:
	s_load_dwordx2 s[6:7], s[4:5], 0x40
	s_load_dwordx4 s[36:39], s[4:5], 0x30
	v_mov_b32_e32 v1, s1
	v_and_b32_e32 v24, 3, v0
	v_lshlrev_b32_e32 v0, 5, v24
	s_waitcnt lgkmcnt(0)
	v_mul_lo_u32 v2, v43, s7
	v_ashrrev_i32_e32 v3, 31, v2
	v_lshlrev_b64 v[8:9], 1, v[2:3]
	v_add_co_u32_e32 v2, vcc, s0, v8
	v_addc_co_u32_e32 v1, vcc, v1, v9, vcc
	v_add_co_u32_e32 v0, vcc, v2, v0
	v_addc_co_u32_e32 v1, vcc, 0, v1, vcc
	global_load_dwordx4 v[12:15], v[0:1], off offset:16
	global_load_dwordx4 v[4:7], v[0:1], off
	v_lshlrev_b32_e32 v0, 1, v24
	v_add_co_u32_e32 v0, vcc, v8, v0
	v_addc_co_u32_e32 v1, vcc, 0, v9, vcc
	v_mov_b32_e32 v3, s1
	v_add_co_u32_e32 v0, vcc, s0, v0
	v_addc_co_u32_e32 v1, vcc, v1, v3, vcc
	s_movk_i32 s0, 0x80
	v_mul_lo_u32 v16, v43, s39
	v_add_co_u32_e32 v0, vcc, s0, v0
	v_lshlrev_b32_e32 v27, 4, v24
	v_add_u32_e32 v2, s36, v16
	v_addc_co_u32_e32 v1, vcc, 0, v1, vcc
	s_mov_b32 s0, 0xbfb8aa3b
	s_mov_b32 s1, 0x42ce8ed0
	;; [unrolled: 1-line block ×3, first 2 shown]
	v_mov_b32_e32 v3, 0x7f800000
	v_mov_b32_e32 v8, s35
	;; [unrolled: 1-line block ×3, first 2 shown]
.LBB277_5:                              ; =>This Inner Loop Header: Depth=1
	global_load_ushort v17, v[0:1], off
	v_add_co_u32_e32 v0, vcc, 8, v0
	v_add_u32_e32 v18, 4, v9
	v_addc_co_u32_e32 v1, vcc, 0, v1, vcc
	v_add_u32_e32 v10, v2, v9
	v_cmp_lt_u32_e32 vcc, 3, v9
	v_mov_b32_e32 v9, v18
	v_ashrrev_i32_e32 v11, 31, v10
	v_lshlrev_b64 v[10:11], 2, v[10:11]
	s_or_b64 s[8:9], vcc, s[8:9]
	v_add_co_u32_e32 v10, vcc, s34, v10
	v_addc_co_u32_e32 v11, vcc, v8, v11, vcc
	s_waitcnt vmcnt(0)
	v_cvt_f32_u32_e32 v17, v17
	v_mul_f32_e32 v18, 0xbfb8aa3b, v17
	v_rndne_f32_e32 v19, v18
	v_fma_f32 v20, v17, s0, -v18
	v_sub_f32_e32 v18, v18, v19
	v_fmac_f32_e32 v20, 0xb2a5705f, v17
	v_add_f32_e32 v18, v18, v20
	v_cvt_i32_f32_e32 v19, v19
	v_exp_f32_e32 v18, v18
	v_cmp_nlt_f32_e32 vcc, s1, v17
	v_ldexp_f32 v18, v18, v19
	v_cndmask_b32_e32 v18, 0, v18, vcc
	v_cmp_ngt_f32_e32 vcc, s2, v17
	v_cndmask_b32_e32 v17, v3, v18, vcc
	v_add_f32_e32 v17, 1.0, v17
	v_div_scale_f32 v18, s[10:11], v17, v17, 1.0
	v_rcp_f32_e32 v19, v18
	v_div_scale_f32 v20, vcc, 1.0, v17, 1.0
	v_fma_f32 v21, -v18, v19, 1.0
	v_fmac_f32_e32 v19, v21, v19
	v_mul_f32_e32 v21, v20, v19
	v_fma_f32 v25, -v18, v21, v20
	v_fmac_f32_e32 v21, v25, v19
	v_fma_f32 v18, -v18, v21, v20
	v_div_fmas_f32 v18, v18, v19, v21
	v_div_fixup_f32 v17, v18, v17, 1.0
	global_store_dword v[10:11], v17, off
	s_andn2_b64 exec, exec, s[8:9]
	s_cbranch_execnz .LBB277_5
; %bb.6:
	s_or_b64 exec, exec, s[8:9]
	v_cvt_f32_u32_sdwa v1, v4 dst_sel:DWORD dst_unused:UNUSED_PAD src0_sel:WORD_1
	v_cvt_f32_u32_sdwa v0, v4 dst_sel:DWORD dst_unused:UNUSED_PAD src0_sel:WORD_0
	v_cvt_f32_u32_sdwa v2, v5 dst_sel:DWORD dst_unused:UNUSED_PAD src0_sel:WORD_0
	v_or_b32_e32 v28, 1, v27
	v_or_b32_e32 v29, 2, v27
	v_cmp_lt_f32_e32 vcc, v0, v1
	v_cndmask_b32_e32 v4, v0, v1, vcc
	v_cndmask_b32_e32 v3, v27, v28, vcc
	v_cmp_lt_f32_e32 vcc, v4, v2
	v_cndmask_b32_e32 v8, v3, v29, vcc
	v_cvt_f32_u32_sdwa v3, v5 dst_sel:DWORD dst_unused:UNUSED_PAD src0_sel:WORD_1
	v_cndmask_b32_e32 v4, v4, v2, vcc
	v_or_b32_e32 v30, 3, v27
	v_or_b32_e32 v31, 4, v27
	v_cmp_lt_f32_e32 vcc, v4, v3
	v_cndmask_b32_e32 v5, v8, v30, vcc
	v_cndmask_b32_e32 v8, v4, v3, vcc
	v_cvt_f32_u32_sdwa v4, v6 dst_sel:DWORD dst_unused:UNUSED_PAD src0_sel:WORD_0
	v_or_b32_e32 v32, 5, v27
	v_or_b32_e32 v33, 6, v27
	;; [unrolled: 1-line block ×3, first 2 shown]
	v_cmp_lt_f32_e32 vcc, v8, v4
	v_cndmask_b32_e32 v9, v5, v31, vcc
	v_cvt_f32_u32_sdwa v5, v6 dst_sel:DWORD dst_unused:UNUSED_PAD src0_sel:WORD_1
	v_cvt_f32_u32_sdwa v6, v7 dst_sel:DWORD dst_unused:UNUSED_PAD src0_sel:WORD_0
	v_cndmask_b32_e32 v8, v8, v4, vcc
	v_cvt_f32_u32_sdwa v7, v7 dst_sel:DWORD dst_unused:UNUSED_PAD src0_sel:WORD_1
	v_cmp_lt_f32_e32 vcc, v8, v5
	v_cndmask_b32_e32 v8, v8, v5, vcc
	v_cndmask_b32_e32 v9, v9, v32, vcc
	v_cmp_lt_f32_e32 vcc, v8, v6
	v_cndmask_b32_e32 v8, v8, v6, vcc
	v_cndmask_b32_e32 v9, v9, v33, vcc
	v_cmp_lt_f32_e32 vcc, v8, v7
	v_cndmask_b32_e32 v10, v8, v7, vcc
	v_cvt_f32_u32_sdwa v8, v12 dst_sel:DWORD dst_unused:UNUSED_PAD src0_sel:WORD_0
	v_cndmask_b32_e32 v9, v9, v34, vcc
	v_or_b32_e32 v35, 8, v27
	v_or_b32_e32 v36, 9, v27
	v_cmp_lt_f32_e32 vcc, v10, v8
	v_cndmask_b32_e32 v11, v9, v35, vcc
	v_cvt_f32_u32_sdwa v9, v12 dst_sel:DWORD dst_unused:UNUSED_PAD src0_sel:WORD_1
	v_cndmask_b32_e32 v10, v10, v8, vcc
	v_or_b32_e32 v37, 10, v27
	v_or_b32_e32 v38, 11, v27
	v_cmp_lt_f32_e32 vcc, v10, v9
	v_cndmask_b32_e32 v12, v10, v9, vcc
	v_cvt_f32_u32_sdwa v10, v13 dst_sel:DWORD dst_unused:UNUSED_PAD src0_sel:WORD_0
	v_cndmask_b32_e32 v11, v11, v36, vcc
	v_or_b32_e32 v39, 12, v27
	v_or_b32_e32 v40, 13, v27
	v_cmp_lt_f32_e32 vcc, v12, v10
	v_cndmask_b32_e32 v17, v11, v37, vcc
	v_cvt_f32_u32_sdwa v11, v13 dst_sel:DWORD dst_unused:UNUSED_PAD src0_sel:WORD_1
	v_cndmask_b32_e32 v12, v12, v10, vcc
	v_or_b32_e32 v41, 14, v27
	v_or_b32_e32 v42, 15, v27
	v_cmp_lt_f32_e32 vcc, v12, v11
	v_cndmask_b32_e32 v13, v17, v38, vcc
	v_cndmask_b32_e32 v17, v12, v11, vcc
	v_cvt_f32_u32_sdwa v12, v14 dst_sel:DWORD dst_unused:UNUSED_PAD src0_sel:WORD_0
	v_cmp_lt_f32_e32 vcc, v17, v12
	v_cndmask_b32_e32 v18, v13, v39, vcc
	v_cvt_f32_u32_sdwa v13, v14 dst_sel:DWORD dst_unused:UNUSED_PAD src0_sel:WORD_1
	v_cvt_f32_u32_sdwa v14, v15 dst_sel:DWORD dst_unused:UNUSED_PAD src0_sel:WORD_0
	v_cndmask_b32_e32 v17, v17, v12, vcc
	v_cvt_f32_u32_sdwa v15, v15 dst_sel:DWORD dst_unused:UNUSED_PAD src0_sel:WORD_1
	v_cmp_lt_f32_e32 vcc, v17, v13
	v_cndmask_b32_e32 v17, v17, v13, vcc
	v_cndmask_b32_e32 v18, v18, v40, vcc
	v_cmp_lt_f32_e32 vcc, v17, v14
	v_cndmask_b32_e32 v17, v17, v14, vcc
	v_cndmask_b32_e32 v18, v18, v41, vcc
	;; [unrolled: 3-line block ×3, first 2 shown]
	s_nop 0
	v_mov_b32_dpp v20, v18 quad_perm:[1,0,3,2] row_mask:0xf bank_mask:0xf
	v_mov_b32_dpp v19, v17 quad_perm:[1,0,3,2] row_mask:0xf bank_mask:0xf
	v_cmp_eq_f32_e64 s[0:1], v17, v19
	v_cmp_lt_i32_e64 s[2:3], v20, v18
	v_cmp_lt_f32_e32 vcc, v17, v19
	s_and_b64 s[0:1], s[0:1], s[2:3]
	s_or_b64 vcc, vcc, s[0:1]
	v_cndmask_b32_e32 v19, v17, v19, vcc
	v_cndmask_b32_e32 v17, v18, v20, vcc
	s_nop 0
	v_mov_b32_dpp v20, v19 quad_perm:[2,3,0,1] row_mask:0xf bank_mask:0xf
	v_mov_b32_dpp v18, v17 quad_perm:[2,3,0,1] row_mask:0xf bank_mask:0xf
	v_cmp_eq_f32_e64 s[0:1], v19, v20
	v_cmp_lt_i32_e64 s[2:3], v18, v17
	v_cmp_lt_f32_e32 vcc, v19, v20
	s_and_b64 s[0:1], s[0:1], s[2:3]
	s_or_b64 s[2:3], vcc, s[0:1]
	s_cmp_gt_i32 s36, 0
	s_cselect_b64 s[44:45], -1, 0
	v_cndmask_b32_e64 v25, v19, v20, s[2:3]
	s_and_b64 vcc, exec, s[44:45]
	v_cmp_eq_u32_e64 s[0:1], 0, v24
	s_cbranch_vccz .LBB277_18
; %bb.7:
	s_load_dwordx4 s[40:43], s[4:5], 0x20
	v_cndmask_b32_e64 v44, v17, v18, s[2:3]
	v_mul_lo_u32 v20, v43, s6
	v_mul_lo_u32 v18, v43, s36
	v_mov_b32_e32 v26, 0
	s_and_saveexec_b64 s[4:5], s[0:1]
	s_cbranch_execz .LBB277_9
; %bb.8:
	v_sub_f32_e32 v17, v25, v25
	v_mul_f32_e32 v19, 0x3fb8aa3b, v17
	s_mov_b32 s2, 0x3fb8aa3b
	v_rndne_f32_e32 v21, v19
	v_sub_f32_e32 v26, v19, v21
	v_fma_f32 v19, v17, s2, -v19
	v_fmac_f32_e32 v19, 0x32a5705f, v17
	v_add_f32_e32 v19, v26, v19
	v_exp_f32_e32 v19, v19
	v_cvt_i32_f32_e32 v21, v21
	v_cmp_le_i32_e32 vcc, s37, v44
	v_cmp_gt_i32_e64 s[2:3], s38, v44
	s_mov_b32 s6, 0xc2ce8ed0
	s_and_b64 s[2:3], vcc, s[2:3]
	v_ldexp_f32 v19, v19, v21
	v_cmp_ngt_f32_e32 vcc, s6, v17
	s_mov_b32 s6, 0x42b17218
	v_cndmask_b32_e32 v19, 0, v19, vcc
	v_cmp_nlt_f32_e32 vcc, s6, v17
	v_ashrrev_i32_e32 v17, 31, v16
	v_mov_b32_e32 v21, 0x7f800000
	v_lshlrev_b64 v[46:47], 2, v[16:17]
	v_cndmask_b32_e32 v26, v21, v19, vcc
	v_mov_b32_e32 v17, s35
	v_add_co_u32_e32 v46, vcc, s34, v46
	v_addc_co_u32_e32 v47, vcc, v17, v47, vcc
	v_ashrrev_i32_e32 v21, 31, v20
	global_store_dword v[46:47], v26, off
	v_subrev_u32_e32 v17, s37, v44
	s_and_b64 vcc, s[46:47], s[2:3]
	v_lshlrev_b64 v[46:47], 2, v[20:21]
	v_cndmask_b32_e32 v17, 64, v17, vcc
	s_waitcnt lgkmcnt(0)
	v_mov_b32_e32 v19, s41
	v_add_co_u32_e32 v46, vcc, s40, v46
	v_addc_co_u32_e32 v47, vcc, v19, v47, vcc
	v_ashrrev_i32_e32 v19, 31, v18
	global_store_dword v[46:47], v17, off
	v_lshlrev_b64 v[46:47], 2, v[18:19]
	v_mov_b32_e32 v17, s43
	v_add_co_u32_e32 v46, vcc, s42, v46
	v_addc_co_u32_e32 v47, vcc, v17, v47, vcc
	global_store_dword v[46:47], v43, off
.LBB277_9:
	s_or_b64 exec, exec, s[4:5]
	v_ashrrev_i32_e32 v19, 31, v44
	v_lshrrev_b32_e32 v17, 28, v19
	v_add_u32_e32 v17, v44, v17
	v_ashrrev_i32_e32 v17, 4, v17
	v_lshrrev_b32_e32 v21, 30, v17
	v_add_u32_e32 v21, v17, v21
	v_and_b32_e32 v21, -4, v21
	v_sub_u32_e32 v21, v17, v21
	v_cmp_eq_u32_e32 vcc, v24, v21
	s_and_saveexec_b64 s[48:49], vcc
	s_cbranch_execz .LBB277_11
; %bb.10:
	v_lshrrev_b32_e32 v19, 26, v19
	v_add_u32_e32 v19, v44, v19
	v_lshlrev_b32_e32 v17, 4, v17
	v_sub_u32_e32 v17, v44, v17
	v_ashrrev_i32_e32 v19, 6, v19
	v_lshl_add_u32 v17, v19, 4, v17
	v_mov_b32_e32 v19, 0xff800000
	v_cmp_ne_u32_e32 vcc, 14, v17
	v_cmp_ne_u32_e64 s[2:3], 13, v17
	v_cmp_ne_u32_e64 s[4:5], 12, v17
	;; [unrolled: 1-line block ×15, first 2 shown]
	v_cndmask_b32_e64 v15, v19, v15, s[30:31]
	v_cndmask_b32_e32 v14, v19, v14, vcc
	v_cndmask_b32_e64 v13, v19, v13, s[2:3]
	v_cndmask_b32_e64 v12, v19, v12, s[4:5]
	;; [unrolled: 1-line block ×14, first 2 shown]
.LBB277_11:
	s_or_b64 exec, exec, s[48:49]
	s_cmp_eq_u32 s36, 1
	s_cbranch_scc1 .LBB277_19
; %bb.12:
	s_add_i32 s50, s50, s33
	s_add_i32 s39, s36, -1
	v_add3_u32 v17, s50, v23, v22
	v_add_u32_e32 v18, 1, v18
	v_add_u32_e32 v20, 1, v20
	;; [unrolled: 1-line block ×3, first 2 shown]
	s_mov_b32 s50, 0x3fb8aa3b
	s_mov_b32 s51, 0xc2ce8ed0
	s_mov_b32 s52, 0x42b17218
	v_mov_b32_e32 v43, 0x7f800000
	v_mov_b32_e32 v44, 0xff800000
	s_branch .LBB277_14
.LBB277_13:                             ;   in Loop: Header=BB277_14 Depth=1
	s_or_b64 exec, exec, s[48:49]
	s_add_i32 s39, s39, -1
	v_add_u32_e32 v17, s33, v17
	v_add_u32_e32 v18, 1, v18
	;; [unrolled: 1-line block ×3, first 2 shown]
	s_cmp_eq_u32 s39, 0
	v_add_u32_e32 v22, 1, v22
	s_cbranch_scc1 .LBB277_19
.LBB277_14:                             ; =>This Inner Loop Header: Depth=1
	v_cmp_gt_f32_e32 vcc, v1, v0
	v_cndmask_b32_e32 v21, v0, v1, vcc
	v_cndmask_b32_e32 v19, v27, v28, vcc
	v_cmp_gt_f32_e32 vcc, v2, v21
	v_cndmask_b32_e32 v21, v21, v2, vcc
	v_cndmask_b32_e32 v19, v19, v29, vcc
	;; [unrolled: 3-line block ×15, first 2 shown]
	s_nop 0
	v_mov_b32_dpp v45, v23 quad_perm:[1,0,3,2] row_mask:0xf bank_mask:0xf
	v_mov_b32_dpp v21, v19 quad_perm:[1,0,3,2] row_mask:0xf bank_mask:0xf
	v_cmp_eq_f32_e64 s[2:3], v19, v21
	v_cmp_lt_i32_e64 s[4:5], v45, v23
	v_cmp_lt_f32_e32 vcc, v19, v21
	s_and_b64 s[2:3], s[2:3], s[4:5]
	s_or_b64 vcc, vcc, s[2:3]
	v_cndmask_b32_e32 v19, v19, v21, vcc
	v_cndmask_b32_e32 v23, v23, v45, vcc
	s_nop 0
	v_mov_b32_dpp v21, v19 quad_perm:[2,3,0,1] row_mask:0xf bank_mask:0xf
	v_mov_b32_dpp v45, v23 quad_perm:[2,3,0,1] row_mask:0xf bank_mask:0xf
	v_cmp_eq_f32_e64 s[2:3], v19, v21
	v_cmp_lt_i32_e64 s[4:5], v45, v23
	v_cmp_lt_f32_e32 vcc, v19, v21
	s_and_b64 s[2:3], s[2:3], s[4:5]
	s_or_b64 vcc, vcc, s[2:3]
	v_cndmask_b32_e32 v45, v23, v45, vcc
	s_and_saveexec_b64 s[4:5], s[0:1]
	s_cbranch_execz .LBB277_16
; %bb.15:                               ;   in Loop: Header=BB277_14 Depth=1
	v_cndmask_b32_e32 v19, v19, v21, vcc
	v_sub_f32_e32 v19, v19, v25
	v_mul_f32_e32 v21, 0x3fb8aa3b, v19
	v_fma_f32 v23, v19, s50, -v21
	v_rndne_f32_e32 v46, v21
	v_fmac_f32_e32 v23, 0x32a5705f, v19
	v_sub_f32_e32 v21, v21, v46
	v_add_f32_e32 v21, v21, v23
	v_exp_f32_e32 v21, v21
	v_cvt_i32_f32_e32 v23, v46
	v_cmp_le_i32_e32 vcc, s37, v45
	v_cmp_gt_i32_e64 s[2:3], s38, v45
	s_and_b64 s[2:3], vcc, s[2:3]
	v_ldexp_f32 v21, v21, v23
	v_cmp_ngt_f32_e32 vcc, s51, v19
	v_ashrrev_i32_e32 v23, 31, v22
	v_cndmask_b32_e32 v21, 0, v21, vcc
	v_cmp_nlt_f32_e32 vcc, s52, v19
	v_lshlrev_b64 v[46:47], 2, v[22:23]
	v_cndmask_b32_e32 v48, v43, v21, vcc
	v_mov_b32_e32 v19, s35
	v_add_co_u32_e32 v46, vcc, s34, v46
	v_addc_co_u32_e32 v47, vcc, v19, v47, vcc
	v_ashrrev_i32_e32 v21, 31, v20
	global_store_dword v[46:47], v48, off
	v_subrev_u32_e32 v19, s37, v45
	s_and_b64 vcc, s[46:47], s[2:3]
	v_lshlrev_b64 v[46:47], 2, v[20:21]
	v_cndmask_b32_e32 v19, 64, v19, vcc
	s_waitcnt lgkmcnt(0)
	v_mov_b32_e32 v21, s41
	v_add_co_u32_e32 v46, vcc, s40, v46
	v_addc_co_u32_e32 v47, vcc, v21, v47, vcc
	global_store_dword v[46:47], v19, off
	v_ashrrev_i32_e32 v19, 31, v18
	v_lshlrev_b64 v[46:47], 2, v[18:19]
	v_mov_b32_e32 v19, s43
	v_add_co_u32_e32 v46, vcc, s42, v46
	v_addc_co_u32_e32 v47, vcc, v19, v47, vcc
	v_add_f32_e32 v26, v26, v48
	global_store_dword v[46:47], v17, off
.LBB277_16:                             ;   in Loop: Header=BB277_14 Depth=1
	s_or_b64 exec, exec, s[4:5]
	v_ashrrev_i32_e32 v21, 31, v45
	v_lshrrev_b32_e32 v19, 28, v21
	v_add_u32_e32 v19, v45, v19
	v_ashrrev_i32_e32 v19, 4, v19
	v_lshrrev_b32_e32 v23, 30, v19
	v_add_u32_e32 v23, v19, v23
	v_and_b32_e32 v23, -4, v23
	v_sub_u32_e32 v23, v19, v23
	v_cmp_eq_u32_e32 vcc, v24, v23
	s_and_saveexec_b64 s[48:49], vcc
	s_cbranch_execz .LBB277_13
; %bb.17:                               ;   in Loop: Header=BB277_14 Depth=1
	v_lshrrev_b32_e32 v21, 26, v21
	v_add_u32_e32 v21, v45, v21
	v_lshlrev_b32_e32 v19, 4, v19
	v_sub_u32_e32 v19, v45, v19
	v_ashrrev_i32_e32 v21, 6, v21
	v_lshl_add_u32 v19, v21, 4, v19
	v_cmp_ne_u32_e32 vcc, 14, v19
	v_cmp_ne_u32_e64 s[2:3], 13, v19
	v_cmp_ne_u32_e64 s[4:5], 12, v19
	;; [unrolled: 1-line block ×15, first 2 shown]
	v_cndmask_b32_e64 v15, v44, v15, s[30:31]
	v_cndmask_b32_e32 v14, v44, v14, vcc
	v_cndmask_b32_e64 v13, v44, v13, s[2:3]
	v_cndmask_b32_e64 v12, v44, v12, s[4:5]
	;; [unrolled: 1-line block ×14, first 2 shown]
	s_branch .LBB277_13
.LBB277_18:
	v_mov_b32_e32 v26, 0
.LBB277_19:
	v_sub_f32_e32 v0, v0, v25
	s_mov_b32 s2, 0x3fb8aa3b
	v_mul_f32_e32 v17, 0x3fb8aa3b, v0
	v_fma_f32 v18, v0, s2, -v17
	v_rndne_f32_e32 v19, v17
	v_fmac_f32_e32 v18, 0x32a5705f, v0
	v_sub_f32_e32 v17, v17, v19
	v_add_f32_e32 v17, v17, v18
	v_exp_f32_e32 v17, v17
	v_cvt_i32_f32_e32 v18, v19
	v_sub_f32_e32 v1, v1, v25
	s_mov_b32 s4, 0xc2ce8ed0
	s_mov_b32 s3, 0x42b17218
	v_ldexp_f32 v17, v17, v18
	v_mul_f32_e32 v18, 0x3fb8aa3b, v1
	v_fma_f32 v19, v1, s2, -v18
	v_rndne_f32_e32 v20, v18
	v_fmac_f32_e32 v19, 0x32a5705f, v1
	v_sub_f32_e32 v18, v18, v20
	v_add_f32_e32 v18, v18, v19
	v_exp_f32_e32 v18, v18
	v_cvt_i32_f32_e32 v19, v20
	v_cmp_ngt_f32_e32 vcc, s4, v1
	v_cmp_ngt_f32_e64 s[0:1], s4, v0
	v_sub_f32_e32 v2, v2, v25
	v_ldexp_f32 v18, v18, v19
	v_cndmask_b32_e32 v18, 0, v18, vcc
	v_mov_b32_e32 v19, 0x7f800000
	v_cmp_nlt_f32_e32 vcc, s3, v1
	v_cndmask_b32_e64 v1, 0, v17, s[0:1]
	v_cmp_nlt_f32_e64 s[0:1], s3, v0
	v_cndmask_b32_e64 v0, v19, v1, s[0:1]
	v_cndmask_b32_e32 v1, v19, v18, vcc
	v_add_f32_e32 v0, v0, v1
	v_mul_f32_e32 v1, 0x3fb8aa3b, v2
	v_fma_f32 v17, v2, s2, -v1
	v_rndne_f32_e32 v18, v1
	v_fmac_f32_e32 v17, 0x32a5705f, v2
	v_sub_f32_e32 v1, v1, v18
	v_add_f32_e32 v1, v1, v17
	v_exp_f32_e32 v1, v1
	v_cvt_i32_f32_e32 v17, v18
	v_cmp_ngt_f32_e32 vcc, s4, v2
	v_sub_f32_e32 v3, v3, v25
	v_sub_f32_e32 v4, v4, v25
	v_ldexp_f32 v1, v1, v17
	v_cndmask_b32_e32 v1, 0, v1, vcc
	v_cmp_nlt_f32_e32 vcc, s3, v2
	v_cndmask_b32_e32 v1, v19, v1, vcc
	v_add_f32_e32 v0, v0, v1
	v_mul_f32_e32 v1, 0x3fb8aa3b, v3
	v_fma_f32 v2, v3, s2, -v1
	v_rndne_f32_e32 v17, v1
	v_fmac_f32_e32 v2, 0x32a5705f, v3
	v_sub_f32_e32 v1, v1, v17
	v_add_f32_e32 v1, v1, v2
	v_exp_f32_e32 v1, v1
	v_cvt_i32_f32_e32 v2, v17
	v_cmp_ngt_f32_e32 vcc, s4, v3
	v_sub_f32_e32 v5, v5, v25
	v_sub_f32_e32 v6, v6, v25
	v_ldexp_f32 v1, v1, v2
	v_cndmask_b32_e32 v1, 0, v1, vcc
	v_cmp_nlt_f32_e32 vcc, s3, v3
	;; [unrolled: 16-line block ×5, first 2 shown]
	v_cndmask_b32_e32 v1, v19, v1, vcc
	v_add_f32_e32 v0, v0, v1
	v_mul_f32_e32 v1, 0x3fb8aa3b, v7
	v_fma_f32 v2, v7, s2, -v1
	v_rndne_f32_e32 v3, v1
	v_fmac_f32_e32 v2, 0x32a5705f, v7
	v_sub_f32_e32 v1, v1, v3
	v_add_f32_e32 v1, v1, v2
	v_exp_f32_e32 v1, v1
	v_cvt_i32_f32_e32 v2, v3
	v_cmp_ngt_f32_e32 vcc, s4, v7
	v_ldexp_f32 v1, v1, v2
	v_mul_f32_e32 v2, 0x3fb8aa3b, v8
	v_fma_f32 v3, v8, s2, -v2
	v_rndne_f32_e32 v4, v2
	v_fmac_f32_e32 v3, 0x32a5705f, v8
	v_sub_f32_e32 v2, v2, v4
	v_add_f32_e32 v2, v2, v3
	v_exp_f32_e32 v2, v2
	v_cvt_i32_f32_e32 v3, v4
	v_cndmask_b32_e32 v1, 0, v1, vcc
	v_cmp_nlt_f32_e32 vcc, s3, v7
	v_cndmask_b32_e32 v1, v19, v1, vcc
	v_add_f32_e32 v0, v0, v1
	v_ldexp_f32 v1, v2, v3
	v_mul_f32_e32 v2, 0x3fb8aa3b, v9
	v_fma_f32 v3, v9, s2, -v2
	v_rndne_f32_e32 v4, v2
	v_fmac_f32_e32 v3, 0x32a5705f, v9
	v_sub_f32_e32 v2, v2, v4
	v_add_f32_e32 v2, v2, v3
	v_exp_f32_e32 v2, v2
	v_cvt_i32_f32_e32 v3, v4
	v_cmp_ngt_f32_e32 vcc, s4, v8
	v_cndmask_b32_e32 v1, 0, v1, vcc
	v_cmp_nlt_f32_e32 vcc, s3, v8
	v_cndmask_b32_e32 v1, v19, v1, vcc
	v_add_f32_e32 v0, v0, v1
	v_ldexp_f32 v1, v2, v3
	v_mul_f32_e32 v2, 0x3fb8aa3b, v10
	v_fma_f32 v3, v10, s2, -v2
	v_rndne_f32_e32 v4, v2
	v_fmac_f32_e32 v3, 0x32a5705f, v10
	v_sub_f32_e32 v2, v2, v4
	v_add_f32_e32 v2, v2, v3
	v_exp_f32_e32 v2, v2
	v_cvt_i32_f32_e32 v3, v4
	v_cmp_ngt_f32_e32 vcc, s4, v9
	;; [unrolled: 14-line block ×4, first 2 shown]
	v_cndmask_b32_e32 v1, 0, v1, vcc
	v_cmp_nlt_f32_e32 vcc, s3, v11
	v_cndmask_b32_e32 v1, v19, v1, vcc
	v_add_f32_e32 v0, v0, v1
	v_ldexp_f32 v1, v2, v3
	v_sub_f32_e32 v2, v13, v25
	v_mul_f32_e32 v3, 0x3fb8aa3b, v2
	v_fma_f32 v4, v2, s2, -v3
	v_rndne_f32_e32 v5, v3
	v_fmac_f32_e32 v4, 0x32a5705f, v2
	v_sub_f32_e32 v3, v3, v5
	v_add_f32_e32 v3, v3, v4
	v_exp_f32_e32 v3, v3
	v_cvt_i32_f32_e32 v4, v5
	v_cmp_ngt_f32_e32 vcc, s4, v12
	v_cndmask_b32_e32 v1, 0, v1, vcc
	v_cmp_nlt_f32_e32 vcc, s3, v12
	v_cndmask_b32_e32 v1, v19, v1, vcc
	v_add_f32_e32 v0, v0, v1
	v_ldexp_f32 v1, v3, v4
	v_sub_f32_e32 v3, v14, v25
	v_mul_f32_e32 v4, 0x3fb8aa3b, v3
	v_fma_f32 v5, v3, s2, -v4
	v_rndne_f32_e32 v6, v4
	v_fmac_f32_e32 v5, 0x32a5705f, v3
	v_sub_f32_e32 v4, v4, v6
	v_add_f32_e32 v4, v4, v5
	v_exp_f32_e32 v4, v4
	v_cvt_i32_f32_e32 v5, v6
	v_cmp_ngt_f32_e32 vcc, s4, v2
	v_cndmask_b32_e32 v1, 0, v1, vcc
	v_cmp_nlt_f32_e32 vcc, s3, v2
	v_cndmask_b32_e32 v1, v19, v1, vcc
	v_sub_f32_e32 v2, v15, v25
	v_add_f32_e32 v0, v0, v1
	v_ldexp_f32 v1, v4, v5
	v_mul_f32_e32 v4, 0x3fb8aa3b, v2
	v_fma_f32 v5, v2, s2, -v4
	v_rndne_f32_e32 v6, v4
	v_fmac_f32_e32 v5, 0x32a5705f, v2
	v_sub_f32_e32 v4, v4, v6
	v_add_f32_e32 v4, v4, v5
	v_exp_f32_e32 v4, v4
	v_cvt_i32_f32_e32 v5, v6
	v_cmp_ngt_f32_e32 vcc, s4, v3
	v_cndmask_b32_e32 v1, 0, v1, vcc
	v_cmp_nlt_f32_e32 vcc, s3, v3
	v_cndmask_b32_e32 v1, v19, v1, vcc
	v_add_f32_e32 v0, v0, v1
	v_ldexp_f32 v1, v4, v5
	v_cmp_ngt_f32_e32 vcc, s4, v2
	v_cndmask_b32_e32 v1, 0, v1, vcc
	v_cmp_nlt_f32_e32 vcc, s3, v2
	v_cndmask_b32_e32 v1, v19, v1, vcc
	v_add_f32_e32 v0, v0, v1
	v_cmp_eq_u32_e32 vcc, 0, v24
	s_nop 0
	v_mov_b32_dpp v1, v0 quad_perm:[1,0,3,2] row_mask:0xf bank_mask:0xf
	v_add_f32_e32 v0, v0, v1
	s_nop 1
	v_mov_b32_dpp v1, v0 quad_perm:[2,3,0,1] row_mask:0xf bank_mask:0xf
	s_and_b64 exec, exec, vcc
	s_cbranch_execz .LBB277_32
; %bb.20:
	v_add_f32_e32 v0, v0, v1
	v_add_f32_e32 v0, v26, v0
	v_cmp_neq_f32_e32 vcc, 0, v0
	s_and_b64 exec, exec, vcc
	s_cbranch_execz .LBB277_32
; %bb.21:
	s_andn2_b64 vcc, exec, s[44:45]
	s_cbranch_vccnz .LBB277_32
; %bb.22:
	v_div_scale_f32 v1, s[0:1], v0, v0, 1.0
	v_rcp_f32_e32 v2, v1
	v_div_scale_f32 v3, vcc, 1.0, v0, 1.0
	s_cmp_gt_u32 s36, 3
	v_fma_f32 v4, -v1, v2, 1.0
	v_fmac_f32_e32 v2, v4, v2
	v_mul_f32_e32 v4, v3, v2
	v_fma_f32 v5, -v1, v4, v3
	v_fmac_f32_e32 v4, v5, v2
	v_fma_f32 v1, -v1, v4, v3
	v_div_fmas_f32 v1, v1, v2, v4
	v_div_fixup_f32 v0, v1, v0, 1.0
	v_ashrrev_i32_e32 v17, 31, v16
	s_cbranch_scc0 .LBB277_26
; %bb.23:
	v_lshlrev_b64 v[2:3], 2, v[16:17]
	v_mov_b32_e32 v4, s35
	v_add_co_u32_e32 v2, vcc, s34, v2
	v_addc_co_u32_e32 v3, vcc, v3, v4, vcc
	s_and_b32 s4, s36, 0x7ffffffc
	v_add_co_u32_e32 v2, vcc, 8, v2
	v_mov_b32_e32 v1, v0
	v_addc_co_u32_e32 v3, vcc, 0, v3, vcc
	s_mov_b32 s0, s4
.LBB277_24:                             ; =>This Inner Loop Header: Depth=1
	global_load_dwordx4 v[4:7], v[2:3], off offset:-8
	s_add_i32 s0, s0, -4
	s_cmp_lg_u32 s0, 0
	s_waitcnt vmcnt(0)
	v_pk_mul_f32 v[4:5], v[0:1], v[4:5]
	v_pk_mul_f32 v[6:7], v[0:1], v[6:7]
	global_store_dwordx4 v[2:3], v[4:7], off offset:-8
	v_add_co_u32_e32 v2, vcc, 16, v2
	v_addc_co_u32_e32 v3, vcc, 0, v3, vcc
	s_cbranch_scc1 .LBB277_24
; %bb.25:
	s_cmp_lg_u32 s4, s36
	s_mov_b64 s[2:3], 0
	s_cselect_b64 s[0:1], -1, 0
	s_branch .LBB277_27
.LBB277_26:
	s_mov_b64 s[2:3], -1
	s_mov_b64 s[0:1], 0
                                        ; implicit-def: $sgpr4
.LBB277_27:
	s_and_b64 vcc, exec, s[2:3]
	s_cbranch_vccz .LBB277_29
; %bb.28:
	s_mov_b64 s[0:1], -1
	s_mov_b32 s4, 0
.LBB277_29:
	s_andn2_b64 vcc, exec, s[0:1]
	s_cbranch_vccnz .LBB277_32
; %bb.30:
	v_add_co_u32_e32 v2, vcc, s4, v16
	v_addc_co_u32_e32 v3, vcc, 0, v17, vcc
	v_lshlrev_b64 v[2:3], 2, v[2:3]
	v_mov_b32_e32 v1, s35
	v_add_co_u32_e32 v2, vcc, s34, v2
	s_sub_i32 s0, s36, s4
	v_addc_co_u32_e32 v3, vcc, v1, v3, vcc
.LBB277_31:                             ; =>This Inner Loop Header: Depth=1
	global_load_dword v1, v[2:3], off
	s_add_i32 s0, s0, -1
	s_cmp_lg_u32 s0, 0
	s_waitcnt vmcnt(0)
	v_mul_f32_e32 v1, v0, v1
	global_store_dword v[2:3], v1, off
	v_add_co_u32_e32 v2, vcc, 4, v2
	v_addc_co_u32_e32 v3, vcc, 0, v3, vcc
	s_cbranch_scc1 .LBB277_31
.LBB277_32:
	s_endpgm
	.section	.rodata,"a",@progbits
	.p2align	6, 0x0
	.amdhsa_kernel _ZN4vllm3moe17topkGatingSoftmaxItLi16ELi64ELi8ELi32ELb0ELi8ELNS0_23SharedExpertScoringFuncE1EEEvPKT_PKbPfiPiS9_iiiiii
		.amdhsa_group_segment_fixed_size 0
		.amdhsa_private_segment_fixed_size 0
		.amdhsa_kernarg_size 72
		.amdhsa_user_sgpr_count 6
		.amdhsa_user_sgpr_private_segment_buffer 1
		.amdhsa_user_sgpr_dispatch_ptr 0
		.amdhsa_user_sgpr_queue_ptr 0
		.amdhsa_user_sgpr_kernarg_segment_ptr 1
		.amdhsa_user_sgpr_dispatch_id 0
		.amdhsa_user_sgpr_flat_scratch_init 0
		.amdhsa_user_sgpr_kernarg_preload_length 0
		.amdhsa_user_sgpr_kernarg_preload_offset 0
		.amdhsa_user_sgpr_private_segment_size 0
		.amdhsa_uses_dynamic_stack 0
		.amdhsa_system_sgpr_private_segment_wavefront_offset 0
		.amdhsa_system_sgpr_workgroup_id_x 1
		.amdhsa_system_sgpr_workgroup_id_y 0
		.amdhsa_system_sgpr_workgroup_id_z 0
		.amdhsa_system_sgpr_workgroup_info 0
		.amdhsa_system_vgpr_workitem_id 1
		.amdhsa_next_free_vgpr 49
		.amdhsa_next_free_sgpr 53
		.amdhsa_accum_offset 52
		.amdhsa_reserve_vcc 1
		.amdhsa_reserve_flat_scratch 0
		.amdhsa_float_round_mode_32 0
		.amdhsa_float_round_mode_16_64 0
		.amdhsa_float_denorm_mode_32 3
		.amdhsa_float_denorm_mode_16_64 3
		.amdhsa_dx10_clamp 1
		.amdhsa_ieee_mode 1
		.amdhsa_fp16_overflow 0
		.amdhsa_tg_split 0
		.amdhsa_exception_fp_ieee_invalid_op 0
		.amdhsa_exception_fp_denorm_src 0
		.amdhsa_exception_fp_ieee_div_zero 0
		.amdhsa_exception_fp_ieee_overflow 0
		.amdhsa_exception_fp_ieee_underflow 0
		.amdhsa_exception_fp_ieee_inexact 0
		.amdhsa_exception_int_div_zero 0
	.end_amdhsa_kernel
	.section	.text._ZN4vllm3moe17topkGatingSoftmaxItLi16ELi64ELi8ELi32ELb0ELi8ELNS0_23SharedExpertScoringFuncE1EEEvPKT_PKbPfiPiS9_iiiiii,"axG",@progbits,_ZN4vllm3moe17topkGatingSoftmaxItLi16ELi64ELi8ELi32ELb0ELi8ELNS0_23SharedExpertScoringFuncE1EEEvPKT_PKbPfiPiS9_iiiiii,comdat
.Lfunc_end277:
	.size	_ZN4vllm3moe17topkGatingSoftmaxItLi16ELi64ELi8ELi32ELb0ELi8ELNS0_23SharedExpertScoringFuncE1EEEvPKT_PKbPfiPiS9_iiiiii, .Lfunc_end277-_ZN4vllm3moe17topkGatingSoftmaxItLi16ELi64ELi8ELi32ELb0ELi8ELNS0_23SharedExpertScoringFuncE1EEEvPKT_PKbPfiPiS9_iiiiii
                                        ; -- End function
	.section	.AMDGPU.csdata,"",@progbits
; Kernel info:
; codeLenInByte = 4252
; NumSgprs: 57
; NumVgprs: 49
; NumAgprs: 0
; TotalNumVgprs: 49
; ScratchSize: 0
; MemoryBound: 0
; FloatMode: 240
; IeeeMode: 1
; LDSByteSize: 0 bytes/workgroup (compile time only)
; SGPRBlocks: 7
; VGPRBlocks: 6
; NumSGPRsForWavesPerEU: 57
; NumVGPRsForWavesPerEU: 49
; AccumOffset: 52
; Occupancy: 8
; WaveLimiterHint : 0
; COMPUTE_PGM_RSRC2:SCRATCH_EN: 0
; COMPUTE_PGM_RSRC2:USER_SGPR: 6
; COMPUTE_PGM_RSRC2:TRAP_HANDLER: 0
; COMPUTE_PGM_RSRC2:TGID_X_EN: 1
; COMPUTE_PGM_RSRC2:TGID_Y_EN: 0
; COMPUTE_PGM_RSRC2:TGID_Z_EN: 0
; COMPUTE_PGM_RSRC2:TIDIG_COMP_CNT: 1
; COMPUTE_PGM_RSRC3_GFX90A:ACCUM_OFFSET: 12
; COMPUTE_PGM_RSRC3_GFX90A:TG_SPLIT: 0
	.section	.text._ZN4vllm3moe17topkGatingSoftmaxItLi16ELi128ELi8ELi32ELb1ELi0ELNS0_23SharedExpertScoringFuncE0EEEvPKT_PKbPfiPiS9_iiiiii,"axG",@progbits,_ZN4vllm3moe17topkGatingSoftmaxItLi16ELi128ELi8ELi32ELb1ELi0ELNS0_23SharedExpertScoringFuncE0EEEvPKT_PKbPfiPiS9_iiiiii,comdat
	.protected	_ZN4vllm3moe17topkGatingSoftmaxItLi16ELi128ELi8ELi32ELb1ELi0ELNS0_23SharedExpertScoringFuncE0EEEvPKT_PKbPfiPiS9_iiiiii ; -- Begin function _ZN4vllm3moe17topkGatingSoftmaxItLi16ELi128ELi8ELi32ELb1ELi0ELNS0_23SharedExpertScoringFuncE0EEEvPKT_PKbPfiPiS9_iiiiii
	.globl	_ZN4vllm3moe17topkGatingSoftmaxItLi16ELi128ELi8ELi32ELb1ELi0ELNS0_23SharedExpertScoringFuncE0EEEvPKT_PKbPfiPiS9_iiiiii
	.p2align	8
	.type	_ZN4vllm3moe17topkGatingSoftmaxItLi16ELi128ELi8ELi32ELb1ELi0ELNS0_23SharedExpertScoringFuncE0EEEvPKT_PKbPfiPiS9_iiiiii,@function
_ZN4vllm3moe17topkGatingSoftmaxItLi16ELi128ELi8ELi32ELb1ELi0ELNS0_23SharedExpertScoringFuncE0EEEvPKT_PKbPfiPiS9_iiiiii: ; @_ZN4vllm3moe17topkGatingSoftmaxItLi16ELi128ELi8ELi32ELb1ELi0ELNS0_23SharedExpertScoringFuncE0EEEvPKT_PKbPfiPiS9_iiiiii
; %bb.0:
	s_load_dword s33, s[4:5], 0x18
	v_bfe_u32 v1, v0, 10, 10
	v_and_b32_e32 v0, 0x3ff, v0
	s_lshl_b32 s50, s6, 6
	v_lshlrev_b32_e32 v42, 3, v1
	v_lshrrev_b32_e32 v43, 3, v0
	v_add3_u32 v22, s50, v42, v43
	s_waitcnt lgkmcnt(0)
	v_cmp_gt_i32_e32 vcc, s33, v22
	s_and_saveexec_b64 s[0:1], vcc
	s_cbranch_execz .LBB278_27
; %bb.1:
	s_load_dwordx4 s[0:3], s[4:5], 0x0
	s_load_dwordx2 s[34:35], s[4:5], 0x10
	s_waitcnt lgkmcnt(0)
	s_cmp_eq_u64 s[2:3], 0
	s_cbranch_scc1 .LBB278_3
; %bb.2:
	v_ashrrev_i32_e32 v1, 31, v22
	v_mov_b32_e32 v3, s3
	v_add_co_u32_e32 v2, vcc, s2, v22
	v_addc_co_u32_e32 v3, vcc, v3, v1, vcc
	global_load_ubyte v1, v[2:3], off
	s_waitcnt vmcnt(0)
	v_and_b32_e32 v1, 1, v1
	v_cmp_eq_u32_e32 vcc, 1, v1
	s_xor_b64 s[2:3], vcc, -1
	s_orn2_b64 s[44:45], s[2:3], exec
	s_branch .LBB278_4
.LBB278_3:
	s_mov_b64 s[44:45], -1
.LBB278_4:
	s_load_dwordx2 s[8:9], s[4:5], 0x40
	s_load_dwordx4 s[36:39], s[4:5], 0x30
	v_mov_b32_e32 v1, s1
	v_and_b32_e32 v23, 7, v0
	v_lshlrev_b32_e32 v0, 5, v23
	s_waitcnt lgkmcnt(0)
	v_mul_lo_u32 v2, v22, s9
	v_ashrrev_i32_e32 v3, 31, v2
	v_lshlrev_b64 v[2:3], 1, v[2:3]
	v_add_co_u32_e32 v2, vcc, s0, v2
	v_addc_co_u32_e32 v1, vcc, v1, v3, vcc
	v_add_co_u32_e32 v8, vcc, v2, v0
	v_addc_co_u32_e32 v9, vcc, 0, v1, vcc
	global_load_dwordx4 v[4:7], v[8:9], off
	global_load_dwordx4 v[12:15], v[8:9], off offset:16
	v_lshlrev_b32_e32 v24, 4, v23
	v_or_b32_e32 v25, 1, v24
	v_or_b32_e32 v26, 2, v24
	;; [unrolled: 1-line block ×15, first 2 shown]
	v_mov_b32_e32 v40, 0
	s_waitcnt vmcnt(1)
	v_cvt_f32_u32_sdwa v1, v4 dst_sel:DWORD dst_unused:UNUSED_PAD src0_sel:WORD_1
	v_cvt_f32_u32_sdwa v0, v4 dst_sel:DWORD dst_unused:UNUSED_PAD src0_sel:WORD_0
	v_cvt_f32_u32_sdwa v2, v5 dst_sel:DWORD dst_unused:UNUSED_PAD src0_sel:WORD_0
	s_waitcnt vmcnt(0)
	v_cvt_f32_u32_sdwa v8, v12 dst_sel:DWORD dst_unused:UNUSED_PAD src0_sel:WORD_0
	v_cvt_f32_u32_sdwa v9, v12 dst_sel:DWORD dst_unused:UNUSED_PAD src0_sel:WORD_1
	v_cmp_lt_f32_e32 vcc, v0, v1
	v_cndmask_b32_e32 v4, v0, v1, vcc
	v_cndmask_b32_e32 v3, v24, v25, vcc
	v_cmp_lt_f32_e32 vcc, v4, v2
	v_cndmask_b32_e32 v10, v3, v26, vcc
	v_cvt_f32_u32_sdwa v3, v5 dst_sel:DWORD dst_unused:UNUSED_PAD src0_sel:WORD_1
	v_cndmask_b32_e32 v4, v4, v2, vcc
	v_cmp_lt_f32_e32 vcc, v4, v3
	v_cndmask_b32_e32 v5, v10, v27, vcc
	v_cndmask_b32_e32 v10, v4, v3, vcc
	v_cvt_f32_u32_sdwa v4, v6 dst_sel:DWORD dst_unused:UNUSED_PAD src0_sel:WORD_0
	v_cmp_lt_f32_e32 vcc, v10, v4
	v_cndmask_b32_e32 v11, v5, v28, vcc
	v_cvt_f32_u32_sdwa v5, v6 dst_sel:DWORD dst_unused:UNUSED_PAD src0_sel:WORD_1
	v_cvt_f32_u32_sdwa v6, v7 dst_sel:DWORD dst_unused:UNUSED_PAD src0_sel:WORD_0
	v_cndmask_b32_e32 v10, v10, v4, vcc
	v_cvt_f32_u32_sdwa v7, v7 dst_sel:DWORD dst_unused:UNUSED_PAD src0_sel:WORD_1
	v_cmp_lt_f32_e32 vcc, v10, v5
	v_cndmask_b32_e32 v10, v10, v5, vcc
	v_cndmask_b32_e32 v11, v11, v29, vcc
	v_cmp_lt_f32_e32 vcc, v10, v6
	v_cndmask_b32_e32 v10, v10, v6, vcc
	v_cndmask_b32_e32 v11, v11, v30, vcc
	;; [unrolled: 3-line block ×4, first 2 shown]
	v_cmp_lt_f32_e32 vcc, v10, v9
	v_cndmask_b32_e32 v12, v10, v9, vcc
	v_cvt_f32_u32_sdwa v10, v13 dst_sel:DWORD dst_unused:UNUSED_PAD src0_sel:WORD_0
	v_cndmask_b32_e32 v11, v11, v33, vcc
	v_cmp_lt_f32_e32 vcc, v12, v10
	v_cndmask_b32_e32 v16, v11, v34, vcc
	v_cvt_f32_u32_sdwa v11, v13 dst_sel:DWORD dst_unused:UNUSED_PAD src0_sel:WORD_1
	v_cndmask_b32_e32 v12, v12, v10, vcc
	v_cmp_lt_f32_e32 vcc, v12, v11
	v_cndmask_b32_e32 v13, v16, v35, vcc
	v_cndmask_b32_e32 v16, v12, v11, vcc
	v_cvt_f32_u32_sdwa v12, v14 dst_sel:DWORD dst_unused:UNUSED_PAD src0_sel:WORD_0
	v_cmp_lt_f32_e32 vcc, v16, v12
	v_cndmask_b32_e32 v17, v13, v36, vcc
	v_cvt_f32_u32_sdwa v13, v14 dst_sel:DWORD dst_unused:UNUSED_PAD src0_sel:WORD_1
	v_cvt_f32_u32_sdwa v14, v15 dst_sel:DWORD dst_unused:UNUSED_PAD src0_sel:WORD_0
	v_cndmask_b32_e32 v16, v16, v12, vcc
	v_cvt_f32_u32_sdwa v15, v15 dst_sel:DWORD dst_unused:UNUSED_PAD src0_sel:WORD_1
	v_cmp_lt_f32_e32 vcc, v16, v13
	v_cndmask_b32_e32 v16, v16, v13, vcc
	v_cndmask_b32_e32 v17, v17, v37, vcc
	v_cmp_lt_f32_e32 vcc, v16, v14
	v_cndmask_b32_e32 v16, v16, v14, vcc
	v_cndmask_b32_e32 v17, v17, v38, vcc
	;; [unrolled: 3-line block ×3, first 2 shown]
	s_nop 0
	v_mov_b32_dpp v18, v17 quad_perm:[1,0,3,2] row_mask:0xf bank_mask:0xf
	v_mov_b32_dpp v19, v16 quad_perm:[1,0,3,2] row_mask:0xf bank_mask:0xf
	v_cmp_lt_i32_e32 vcc, v18, v17
	v_cmp_eq_f32_e64 s[2:3], v16, v19
	v_cmp_lt_f32_e64 s[0:1], v16, v19
	s_and_b64 s[2:3], s[2:3], vcc
	s_or_b64 vcc, s[0:1], s[2:3]
	v_cndmask_b32_e32 v16, v16, v19, vcc
	v_cndmask_b32_e32 v17, v17, v18, vcc
	s_nop 0
	v_mov_b32_dpp v18, v16 quad_perm:[2,3,0,1] row_mask:0xf bank_mask:0xf
	v_mov_b32_dpp v19, v17 quad_perm:[2,3,0,1] row_mask:0xf bank_mask:0xf
	v_cmp_eq_f32_e64 s[0:1], v16, v18
	v_cmp_lt_i32_e64 s[2:3], v19, v17
	v_cmp_lt_f32_e32 vcc, v16, v18
	s_and_b64 s[0:1], s[0:1], s[2:3]
	s_or_b64 vcc, vcc, s[0:1]
	v_cndmask_b32_e32 v16, v16, v18, vcc
	v_cndmask_b32_e32 v17, v17, v19, vcc
	s_cmp_gt_i32 s36, 0
	v_cmp_eq_u32_e32 vcc, 0, v23
	s_cselect_b64 s[46:47], -1, 0
	s_cmp_lt_i32 s36, 1
	v_mov_b32_dpp v18, v17 row_half_mirror row_mask:0xf bank_mask:0xf
	v_mov_b32_dpp v19, v16 row_half_mirror row_mask:0xf bank_mask:0xf
	s_cbranch_scc1 .LBB278_16
; %bb.5:
	s_load_dwordx4 s[40:43], s[4:5], 0x20
	v_cmp_eq_f32_e64 s[2:3], v16, v19
	v_cmp_lt_i32_e64 s[6:7], v18, v17
	v_cmp_lt_f32_e64 s[0:1], v16, v19
	s_and_b64 s[2:3], s[2:3], s[6:7]
	s_or_b64 s[0:1], s[0:1], s[2:3]
	v_cndmask_b32_e64 v44, v17, v18, s[0:1]
	v_cndmask_b32_e64 v41, v16, v19, s[0:1]
	v_mul_lo_u32 v20, v22, s39
	v_mul_lo_u32 v18, v22, s8
	v_mul_lo_u32 v16, v22, s36
	v_mov_b32_e32 v40, 0
	s_and_saveexec_b64 s[4:5], vcc
	s_cbranch_execz .LBB278_7
; %bb.6:
	v_sub_f32_e32 v17, v41, v41
	v_mul_f32_e32 v19, 0x3fb8aa3b, v17
	s_mov_b32 s0, 0x3fb8aa3b
	v_rndne_f32_e32 v21, v19
	v_sub_f32_e32 v40, v19, v21
	v_fma_f32 v19, v17, s0, -v19
	v_fmac_f32_e32 v19, 0x32a5705f, v17
	v_add_f32_e32 v19, v40, v19
	v_exp_f32_e32 v19, v19
	v_cvt_i32_f32_e32 v21, v21
	v_cmp_le_i32_e64 s[0:1], s37, v44
	v_cmp_gt_i32_e64 s[2:3], s38, v44
	s_and_b64 s[2:3], s[0:1], s[2:3]
	s_mov_b32 s0, 0xc2ce8ed0
	v_ldexp_f32 v19, v19, v21
	v_cmp_ngt_f32_e64 s[0:1], s0, v17
	v_cndmask_b32_e64 v19, 0, v19, s[0:1]
	s_mov_b32 s0, 0x42b17218
	v_mov_b32_e32 v21, 0x7f800000
	v_cmp_nlt_f32_e64 s[0:1], s0, v17
	v_cndmask_b32_e64 v40, v21, v19, s[0:1]
	v_ashrrev_i32_e32 v21, 31, v20
	v_lshlrev_b64 v[46:47], 2, v[20:21]
	v_mov_b32_e32 v17, s35
	v_add_co_u32_e64 v46, s[0:1], s34, v46
	v_addc_co_u32_e64 v47, s[0:1], v17, v47, s[0:1]
	v_subrev_u32_e32 v17, s37, v44
	v_mov_b32_e32 v19, 0x80
	s_and_b64 s[0:1], s[44:45], s[2:3]
	v_cndmask_b32_e64 v17, v19, v17, s[0:1]
	v_ashrrev_i32_e32 v19, 31, v18
	global_store_dword v[46:47], v40, off
	v_lshlrev_b64 v[46:47], 2, v[18:19]
	s_waitcnt lgkmcnt(0)
	v_mov_b32_e32 v19, s41
	v_add_co_u32_e64 v46, s[0:1], s40, v46
	v_addc_co_u32_e64 v47, s[0:1], v19, v47, s[0:1]
	global_store_dword v[46:47], v17, off
	v_ashrrev_i32_e32 v17, 31, v16
	v_lshlrev_b64 v[46:47], 2, v[16:17]
	v_mov_b32_e32 v17, s43
	v_add_co_u32_e64 v46, s[0:1], s42, v46
	v_addc_co_u32_e64 v47, s[0:1], v17, v47, s[0:1]
	global_store_dword v[46:47], v22, off
.LBB278_7:
	s_or_b64 exec, exec, s[4:5]
	v_ashrrev_i32_e32 v19, 31, v44
	v_lshrrev_b32_e32 v17, 28, v19
	v_add_u32_e32 v17, v44, v17
	v_ashrrev_i32_e32 v17, 4, v17
	v_lshrrev_b32_e32 v21, 29, v17
	v_add_u32_e32 v21, v17, v21
	v_and_b32_e32 v21, -8, v21
	v_sub_u32_e32 v21, v17, v21
	v_cmp_eq_u32_e64 s[0:1], v23, v21
	s_and_saveexec_b64 s[48:49], s[0:1]
	s_cbranch_execz .LBB278_9
; %bb.8:
	v_lshrrev_b32_e32 v19, 25, v19
	v_add_u32_e32 v19, v44, v19
	v_lshlrev_b32_e32 v17, 4, v17
	v_sub_u32_e32 v17, v44, v17
	v_ashrrev_i32_e32 v19, 7, v19
	v_lshl_add_u32 v17, v19, 4, v17
	v_mov_b32_e32 v19, 0xff800000
	v_cmp_ne_u32_e64 s[0:1], 14, v17
	v_cmp_ne_u32_e64 s[2:3], 13, v17
	v_cmp_ne_u32_e64 s[4:5], 12, v17
	v_cmp_ne_u32_e64 s[6:7], 11, v17
	v_cmp_ne_u32_e64 s[8:9], 10, v17
	v_cmp_ne_u32_e64 s[10:11], 9, v17
	v_cmp_ne_u32_e64 s[12:13], 8, v17
	v_cmp_ne_u32_e64 s[14:15], 7, v17
	v_cmp_ne_u32_e64 s[16:17], 6, v17
	v_cmp_ne_u32_e64 s[18:19], 5, v17
	v_cmp_ne_u32_e64 s[20:21], 4, v17
	v_cmp_ne_u32_e64 s[22:23], 3, v17
	v_cmp_ne_u32_e64 s[24:25], 2, v17
	v_cmp_ne_u32_e64 s[26:27], 1, v17
	v_cmp_ne_u32_e64 s[28:29], 0, v17
	v_cmp_ne_u32_e64 s[30:31], 15, v17
	v_cndmask_b32_e64 v15, v19, v15, s[30:31]
	v_cndmask_b32_e64 v14, v19, v14, s[0:1]
	;; [unrolled: 1-line block ×16, first 2 shown]
.LBB278_9:
	s_or_b64 exec, exec, s[48:49]
	s_cmp_eq_u32 s36, 1
	s_cbranch_scc1 .LBB278_16
; %bb.10:
	s_add_i32 s50, s50, s33
	s_add_i32 s51, s36, -1
	v_add3_u32 v42, s50, v43, v42
	v_add_u32_e32 v16, 1, v16
	v_add_u32_e32 v18, 1, v18
	;; [unrolled: 1-line block ×3, first 2 shown]
	s_mov_b32 s50, 0x3fb8aa3b
	s_mov_b32 s52, 0xc2ce8ed0
	;; [unrolled: 1-line block ×3, first 2 shown]
	v_mov_b32_e32 v43, 0x7f800000
	v_mov_b32_e32 v44, 0x80
	;; [unrolled: 1-line block ×3, first 2 shown]
	s_branch .LBB278_12
.LBB278_11:                             ;   in Loop: Header=BB278_12 Depth=1
	s_or_b64 exec, exec, s[48:49]
	s_add_i32 s51, s51, -1
	v_add_u32_e32 v42, s33, v42
	v_add_u32_e32 v16, 1, v16
	;; [unrolled: 1-line block ×3, first 2 shown]
	s_cmp_eq_u32 s51, 0
	v_add_u32_e32 v20, 1, v20
	s_cbranch_scc1 .LBB278_16
.LBB278_12:                             ; =>This Inner Loop Header: Depth=1
	v_cmp_gt_f32_e64 s[0:1], v1, v0
	v_cndmask_b32_e64 v19, v0, v1, s[0:1]
	v_cndmask_b32_e64 v17, v24, v25, s[0:1]
	v_cmp_gt_f32_e64 s[0:1], v2, v19
	v_cndmask_b32_e64 v19, v19, v2, s[0:1]
	v_cndmask_b32_e64 v17, v17, v26, s[0:1]
	v_cmp_gt_f32_e64 s[0:1], v3, v19
	v_cndmask_b32_e64 v19, v19, v3, s[0:1]
	v_cndmask_b32_e64 v17, v17, v27, s[0:1]
	v_cmp_gt_f32_e64 s[0:1], v4, v19
	v_cndmask_b32_e64 v19, v19, v4, s[0:1]
	v_cndmask_b32_e64 v17, v17, v28, s[0:1]
	v_cmp_gt_f32_e64 s[0:1], v5, v19
	v_cndmask_b32_e64 v19, v19, v5, s[0:1]
	v_cndmask_b32_e64 v17, v17, v29, s[0:1]
	v_cmp_gt_f32_e64 s[0:1], v6, v19
	v_cndmask_b32_e64 v19, v19, v6, s[0:1]
	v_cndmask_b32_e64 v17, v17, v30, s[0:1]
	v_cmp_gt_f32_e64 s[0:1], v7, v19
	v_cndmask_b32_e64 v19, v19, v7, s[0:1]
	v_cndmask_b32_e64 v17, v17, v31, s[0:1]
	v_cmp_gt_f32_e64 s[0:1], v8, v19
	v_cndmask_b32_e64 v19, v19, v8, s[0:1]
	v_cndmask_b32_e64 v17, v17, v32, s[0:1]
	v_cmp_gt_f32_e64 s[0:1], v9, v19
	v_cndmask_b32_e64 v19, v19, v9, s[0:1]
	v_cndmask_b32_e64 v17, v17, v33, s[0:1]
	v_cmp_gt_f32_e64 s[0:1], v10, v19
	v_cndmask_b32_e64 v19, v19, v10, s[0:1]
	v_cndmask_b32_e64 v17, v17, v34, s[0:1]
	v_cmp_gt_f32_e64 s[0:1], v11, v19
	v_cndmask_b32_e64 v19, v19, v11, s[0:1]
	v_cndmask_b32_e64 v17, v17, v35, s[0:1]
	v_cmp_gt_f32_e64 s[0:1], v12, v19
	v_cndmask_b32_e64 v19, v19, v12, s[0:1]
	v_cndmask_b32_e64 v17, v17, v36, s[0:1]
	v_cmp_gt_f32_e64 s[0:1], v13, v19
	v_cndmask_b32_e64 v19, v19, v13, s[0:1]
	v_cndmask_b32_e64 v17, v17, v37, s[0:1]
	v_cmp_gt_f32_e64 s[0:1], v14, v19
	v_cndmask_b32_e64 v19, v19, v14, s[0:1]
	v_cndmask_b32_e64 v17, v17, v38, s[0:1]
	v_cmp_gt_f32_e64 s[0:1], v15, v19
	v_cndmask_b32_e64 v17, v17, v39, s[0:1]
	v_cndmask_b32_e64 v19, v19, v15, s[0:1]
	s_nop 0
	v_mov_b32_dpp v46, v17 quad_perm:[1,0,3,2] row_mask:0xf bank_mask:0xf
	v_mov_b32_dpp v21, v19 quad_perm:[1,0,3,2] row_mask:0xf bank_mask:0xf
	v_cmp_eq_f32_e64 s[2:3], v19, v21
	v_cmp_lt_i32_e64 s[4:5], v46, v17
	v_cmp_lt_f32_e64 s[0:1], v19, v21
	s_and_b64 s[2:3], s[2:3], s[4:5]
	s_or_b64 s[0:1], s[0:1], s[2:3]
	v_cndmask_b32_e64 v19, v19, v21, s[0:1]
	v_cndmask_b32_e64 v21, v17, v46, s[0:1]
	s_nop 0
	v_mov_b32_dpp v17, v19 quad_perm:[2,3,0,1] row_mask:0xf bank_mask:0xf
	v_mov_b32_dpp v46, v21 quad_perm:[2,3,0,1] row_mask:0xf bank_mask:0xf
	v_cmp_eq_f32_e64 s[2:3], v19, v17
	v_cmp_lt_i32_e64 s[4:5], v46, v21
	v_cmp_lt_f32_e64 s[0:1], v19, v17
	s_and_b64 s[2:3], s[2:3], s[4:5]
	s_or_b64 s[0:1], s[0:1], s[2:3]
	v_cndmask_b32_e64 v17, v19, v17, s[0:1]
	v_cndmask_b32_e64 v21, v21, v46, s[0:1]
	s_nop 0
	v_mov_b32_dpp v19, v17 row_half_mirror row_mask:0xf bank_mask:0xf
	v_mov_b32_dpp v46, v21 row_half_mirror row_mask:0xf bank_mask:0xf
	v_cmp_eq_f32_e64 s[2:3], v17, v19
	v_cmp_lt_i32_e64 s[4:5], v46, v21
	v_cmp_lt_f32_e64 s[0:1], v17, v19
	s_and_b64 s[2:3], s[2:3], s[4:5]
	s_or_b64 s[0:1], s[0:1], s[2:3]
	v_cndmask_b32_e64 v46, v21, v46, s[0:1]
	s_and_saveexec_b64 s[4:5], vcc
	s_cbranch_execz .LBB278_14
; %bb.13:                               ;   in Loop: Header=BB278_12 Depth=1
	v_cndmask_b32_e64 v17, v17, v19, s[0:1]
	v_sub_f32_e32 v17, v17, v41
	v_mul_f32_e32 v19, 0x3fb8aa3b, v17
	v_fma_f32 v21, v17, s50, -v19
	v_rndne_f32_e32 v47, v19
	v_fmac_f32_e32 v21, 0x32a5705f, v17
	v_sub_f32_e32 v19, v19, v47
	v_add_f32_e32 v19, v19, v21
	v_exp_f32_e32 v19, v19
	v_cvt_i32_f32_e32 v21, v47
	v_cmp_le_i32_e64 s[0:1], s37, v46
	v_cmp_gt_i32_e64 s[2:3], s38, v46
	s_and_b64 s[2:3], s[0:1], s[2:3]
	v_ldexp_f32 v19, v19, v21
	v_cmp_ngt_f32_e64 s[0:1], s52, v17
	v_ashrrev_i32_e32 v21, 31, v20
	v_cndmask_b32_e64 v19, 0, v19, s[0:1]
	v_cmp_nlt_f32_e64 s[0:1], s53, v17
	v_lshlrev_b64 v[48:49], 2, v[20:21]
	v_cndmask_b32_e64 v47, v43, v19, s[0:1]
	v_mov_b32_e32 v17, s35
	v_add_co_u32_e64 v48, s[0:1], s34, v48
	v_addc_co_u32_e64 v49, s[0:1], v17, v49, s[0:1]
	v_ashrrev_i32_e32 v19, 31, v18
	global_store_dword v[48:49], v47, off
	v_subrev_u32_e32 v17, s37, v46
	s_and_b64 s[0:1], s[44:45], s[2:3]
	v_lshlrev_b64 v[48:49], 2, v[18:19]
	v_cndmask_b32_e64 v17, v44, v17, s[0:1]
	s_waitcnt lgkmcnt(0)
	v_mov_b32_e32 v19, s41
	v_add_co_u32_e64 v48, s[0:1], s40, v48
	v_addc_co_u32_e64 v49, s[0:1], v19, v49, s[0:1]
	global_store_dword v[48:49], v17, off
	v_ashrrev_i32_e32 v17, 31, v16
	v_lshlrev_b64 v[48:49], 2, v[16:17]
	v_mov_b32_e32 v17, s43
	v_add_co_u32_e64 v48, s[0:1], s42, v48
	v_addc_co_u32_e64 v49, s[0:1], v17, v49, s[0:1]
	v_add_f32_e32 v40, v40, v47
	global_store_dword v[48:49], v42, off
.LBB278_14:                             ;   in Loop: Header=BB278_12 Depth=1
	s_or_b64 exec, exec, s[4:5]
	v_ashrrev_i32_e32 v19, 31, v46
	v_lshrrev_b32_e32 v17, 28, v19
	v_add_u32_e32 v17, v46, v17
	v_ashrrev_i32_e32 v17, 4, v17
	v_lshrrev_b32_e32 v21, 29, v17
	v_add_u32_e32 v21, v17, v21
	v_and_b32_e32 v21, -8, v21
	v_sub_u32_e32 v21, v17, v21
	v_cmp_eq_u32_e64 s[0:1], v23, v21
	s_and_saveexec_b64 s[48:49], s[0:1]
	s_cbranch_execz .LBB278_11
; %bb.15:                               ;   in Loop: Header=BB278_12 Depth=1
	v_lshrrev_b32_e32 v19, 25, v19
	v_add_u32_e32 v19, v46, v19
	v_lshlrev_b32_e32 v17, 4, v17
	v_sub_u32_e32 v17, v46, v17
	v_ashrrev_i32_e32 v19, 7, v19
	v_lshl_add_u32 v17, v19, 4, v17
	v_cmp_ne_u32_e64 s[0:1], 14, v17
	v_cmp_ne_u32_e64 s[2:3], 13, v17
	;; [unrolled: 1-line block ×16, first 2 shown]
	v_cndmask_b32_e64 v15, v45, v15, s[30:31]
	v_cndmask_b32_e64 v14, v45, v14, s[0:1]
	;; [unrolled: 1-line block ×16, first 2 shown]
	s_branch .LBB278_11
.LBB278_16:
	v_cmp_eq_u32_e32 vcc, 0, v23
	v_cmp_neq_f32_e64 s[0:1], 0, v40
	s_and_b64 s[0:1], vcc, s[0:1]
	s_and_b64 exec, exec, s[0:1]
	s_cbranch_execz .LBB278_27
; %bb.17:
	s_andn2_b64 vcc, exec, s[46:47]
	s_cbranch_vccnz .LBB278_27
; %bb.18:
	v_div_scale_f32 v0, s[0:1], v40, v40, 1.0
	v_rcp_f32_e32 v1, v0
	v_div_scale_f32 v2, vcc, 1.0, v40, 1.0
	s_cmp_gt_u32 s36, 3
	v_fma_f32 v3, -v0, v1, 1.0
	v_fmac_f32_e32 v1, v3, v1
	v_mul_f32_e32 v3, v2, v1
	v_fma_f32 v4, -v0, v3, v2
	v_fmac_f32_e32 v3, v4, v1
	v_fma_f32 v0, -v0, v3, v2
	v_div_fmas_f32 v0, v0, v1, v3
	v_mul_lo_u32 v2, v22, s39
	v_div_fixup_f32 v0, v0, v40, 1.0
	v_ashrrev_i32_e32 v3, 31, v2
	s_cbranch_scc0 .LBB278_22
; %bb.19:
	v_lshlrev_b64 v[4:5], 2, v[2:3]
	v_mov_b32_e32 v6, s35
	v_add_co_u32_e32 v4, vcc, s34, v4
	v_addc_co_u32_e32 v5, vcc, v5, v6, vcc
	s_and_b32 s4, s36, 0x7ffffffc
	v_add_co_u32_e32 v4, vcc, 8, v4
	v_mov_b32_e32 v1, v0
	v_addc_co_u32_e32 v5, vcc, 0, v5, vcc
	s_mov_b32 s0, s4
.LBB278_20:                             ; =>This Inner Loop Header: Depth=1
	global_load_dwordx4 v[6:9], v[4:5], off offset:-8
	s_add_i32 s0, s0, -4
	s_cmp_lg_u32 s0, 0
	s_waitcnt vmcnt(0)
	v_pk_mul_f32 v[6:7], v[0:1], v[6:7]
	v_pk_mul_f32 v[8:9], v[0:1], v[8:9]
	global_store_dwordx4 v[4:5], v[6:9], off offset:-8
	v_add_co_u32_e32 v4, vcc, 16, v4
	v_addc_co_u32_e32 v5, vcc, 0, v5, vcc
	s_cbranch_scc1 .LBB278_20
; %bb.21:
	s_cmp_lg_u32 s4, s36
	s_cselect_b64 s[0:1], -1, 0
	s_branch .LBB278_24
.LBB278_22:
	s_mov_b64 s[0:1], 0
                                        ; implicit-def: $sgpr4
	s_cbranch_execz .LBB278_24
; %bb.23:
	s_mov_b64 s[0:1], -1
	s_mov_b32 s4, 0
.LBB278_24:
	s_andn2_b64 vcc, exec, s[0:1]
	s_cbranch_vccnz .LBB278_27
; %bb.25:
	v_add_co_u32_e32 v2, vcc, s4, v2
	v_addc_co_u32_e32 v3, vcc, 0, v3, vcc
	v_lshlrev_b64 v[2:3], 2, v[2:3]
	v_mov_b32_e32 v1, s35
	v_add_co_u32_e32 v2, vcc, s34, v2
	s_sub_i32 s0, s36, s4
	v_addc_co_u32_e32 v3, vcc, v1, v3, vcc
.LBB278_26:                             ; =>This Inner Loop Header: Depth=1
	global_load_dword v1, v[2:3], off
	s_add_i32 s0, s0, -1
	s_cmp_lg_u32 s0, 0
	s_waitcnt vmcnt(0)
	v_mul_f32_e32 v1, v0, v1
	global_store_dword v[2:3], v1, off
	v_add_co_u32_e32 v2, vcc, 4, v2
	v_addc_co_u32_e32 v3, vcc, 0, v3, vcc
	s_cbranch_scc1 .LBB278_26
.LBB278_27:
	s_endpgm
	.section	.rodata,"a",@progbits
	.p2align	6, 0x0
	.amdhsa_kernel _ZN4vllm3moe17topkGatingSoftmaxItLi16ELi128ELi8ELi32ELb1ELi0ELNS0_23SharedExpertScoringFuncE0EEEvPKT_PKbPfiPiS9_iiiiii
		.amdhsa_group_segment_fixed_size 0
		.amdhsa_private_segment_fixed_size 0
		.amdhsa_kernarg_size 72
		.amdhsa_user_sgpr_count 6
		.amdhsa_user_sgpr_private_segment_buffer 1
		.amdhsa_user_sgpr_dispatch_ptr 0
		.amdhsa_user_sgpr_queue_ptr 0
		.amdhsa_user_sgpr_kernarg_segment_ptr 1
		.amdhsa_user_sgpr_dispatch_id 0
		.amdhsa_user_sgpr_flat_scratch_init 0
		.amdhsa_user_sgpr_kernarg_preload_length 0
		.amdhsa_user_sgpr_kernarg_preload_offset 0
		.amdhsa_user_sgpr_private_segment_size 0
		.amdhsa_uses_dynamic_stack 0
		.amdhsa_system_sgpr_private_segment_wavefront_offset 0
		.amdhsa_system_sgpr_workgroup_id_x 1
		.amdhsa_system_sgpr_workgroup_id_y 0
		.amdhsa_system_sgpr_workgroup_id_z 0
		.amdhsa_system_sgpr_workgroup_info 0
		.amdhsa_system_vgpr_workitem_id 1
		.amdhsa_next_free_vgpr 50
		.amdhsa_next_free_sgpr 54
		.amdhsa_accum_offset 52
		.amdhsa_reserve_vcc 1
		.amdhsa_reserve_flat_scratch 0
		.amdhsa_float_round_mode_32 0
		.amdhsa_float_round_mode_16_64 0
		.amdhsa_float_denorm_mode_32 3
		.amdhsa_float_denorm_mode_16_64 3
		.amdhsa_dx10_clamp 1
		.amdhsa_ieee_mode 1
		.amdhsa_fp16_overflow 0
		.amdhsa_tg_split 0
		.amdhsa_exception_fp_ieee_invalid_op 0
		.amdhsa_exception_fp_denorm_src 0
		.amdhsa_exception_fp_ieee_div_zero 0
		.amdhsa_exception_fp_ieee_overflow 0
		.amdhsa_exception_fp_ieee_underflow 0
		.amdhsa_exception_fp_ieee_inexact 0
		.amdhsa_exception_int_div_zero 0
	.end_amdhsa_kernel
	.section	.text._ZN4vllm3moe17topkGatingSoftmaxItLi16ELi128ELi8ELi32ELb1ELi0ELNS0_23SharedExpertScoringFuncE0EEEvPKT_PKbPfiPiS9_iiiiii,"axG",@progbits,_ZN4vllm3moe17topkGatingSoftmaxItLi16ELi128ELi8ELi32ELb1ELi0ELNS0_23SharedExpertScoringFuncE0EEEvPKT_PKbPfiPiS9_iiiiii,comdat
.Lfunc_end278:
	.size	_ZN4vllm3moe17topkGatingSoftmaxItLi16ELi128ELi8ELi32ELb1ELi0ELNS0_23SharedExpertScoringFuncE0EEEvPKT_PKbPfiPiS9_iiiiii, .Lfunc_end278-_ZN4vllm3moe17topkGatingSoftmaxItLi16ELi128ELi8ELi32ELb1ELi0ELNS0_23SharedExpertScoringFuncE0EEEvPKT_PKbPfiPiS9_iiiiii
                                        ; -- End function
	.section	.AMDGPU.csdata,"",@progbits
; Kernel info:
; codeLenInByte = 3108
; NumSgprs: 58
; NumVgprs: 50
; NumAgprs: 0
; TotalNumVgprs: 50
; ScratchSize: 0
; MemoryBound: 0
; FloatMode: 240
; IeeeMode: 1
; LDSByteSize: 0 bytes/workgroup (compile time only)
; SGPRBlocks: 7
; VGPRBlocks: 6
; NumSGPRsForWavesPerEU: 58
; NumVGPRsForWavesPerEU: 50
; AccumOffset: 52
; Occupancy: 8
; WaveLimiterHint : 0
; COMPUTE_PGM_RSRC2:SCRATCH_EN: 0
; COMPUTE_PGM_RSRC2:USER_SGPR: 6
; COMPUTE_PGM_RSRC2:TRAP_HANDLER: 0
; COMPUTE_PGM_RSRC2:TGID_X_EN: 1
; COMPUTE_PGM_RSRC2:TGID_Y_EN: 0
; COMPUTE_PGM_RSRC2:TGID_Z_EN: 0
; COMPUTE_PGM_RSRC2:TIDIG_COMP_CNT: 1
; COMPUTE_PGM_RSRC3_GFX90A:ACCUM_OFFSET: 12
; COMPUTE_PGM_RSRC3_GFX90A:TG_SPLIT: 0
	.section	.text._ZN4vllm3moe17topkGatingSoftmaxItLi16ELi128ELi8ELi32ELb0ELi0ELNS0_23SharedExpertScoringFuncE0EEEvPKT_PKbPfiPiS9_iiiiii,"axG",@progbits,_ZN4vllm3moe17topkGatingSoftmaxItLi16ELi128ELi8ELi32ELb0ELi0ELNS0_23SharedExpertScoringFuncE0EEEvPKT_PKbPfiPiS9_iiiiii,comdat
	.protected	_ZN4vllm3moe17topkGatingSoftmaxItLi16ELi128ELi8ELi32ELb0ELi0ELNS0_23SharedExpertScoringFuncE0EEEvPKT_PKbPfiPiS9_iiiiii ; -- Begin function _ZN4vllm3moe17topkGatingSoftmaxItLi16ELi128ELi8ELi32ELb0ELi0ELNS0_23SharedExpertScoringFuncE0EEEvPKT_PKbPfiPiS9_iiiiii
	.globl	_ZN4vllm3moe17topkGatingSoftmaxItLi16ELi128ELi8ELi32ELb0ELi0ELNS0_23SharedExpertScoringFuncE0EEEvPKT_PKbPfiPiS9_iiiiii
	.p2align	8
	.type	_ZN4vllm3moe17topkGatingSoftmaxItLi16ELi128ELi8ELi32ELb0ELi0ELNS0_23SharedExpertScoringFuncE0EEEvPKT_PKbPfiPiS9_iiiiii,@function
_ZN4vllm3moe17topkGatingSoftmaxItLi16ELi128ELi8ELi32ELb0ELi0ELNS0_23SharedExpertScoringFuncE0EEEvPKT_PKbPfiPiS9_iiiiii: ; @_ZN4vllm3moe17topkGatingSoftmaxItLi16ELi128ELi8ELi32ELb0ELi0ELNS0_23SharedExpertScoringFuncE0EEEvPKT_PKbPfiPiS9_iiiiii
; %bb.0:
	s_load_dword s33, s[4:5], 0x18
	v_bfe_u32 v1, v0, 10, 10
	v_and_b32_e32 v0, 0x3ff, v0
	s_lshl_b32 s50, s6, 6
	v_lshlrev_b32_e32 v42, 3, v1
	v_lshrrev_b32_e32 v43, 3, v0
	v_add3_u32 v22, s50, v42, v43
	s_waitcnt lgkmcnt(0)
	v_cmp_gt_i32_e32 vcc, s33, v22
	s_and_saveexec_b64 s[0:1], vcc
	s_cbranch_execz .LBB279_29
; %bb.1:
	s_load_dwordx4 s[0:3], s[4:5], 0x0
	s_load_dwordx2 s[34:35], s[4:5], 0x10
	s_waitcnt lgkmcnt(0)
	s_cmp_eq_u64 s[2:3], 0
	s_cbranch_scc1 .LBB279_3
; %bb.2:
	v_ashrrev_i32_e32 v1, 31, v22
	v_mov_b32_e32 v3, s3
	v_add_co_u32_e32 v2, vcc, s2, v22
	v_addc_co_u32_e32 v3, vcc, v3, v1, vcc
	global_load_ubyte v1, v[2:3], off
	s_waitcnt vmcnt(0)
	v_and_b32_e32 v1, 1, v1
	v_cmp_eq_u32_e32 vcc, 1, v1
	s_xor_b64 s[2:3], vcc, -1
	s_orn2_b64 s[46:47], s[2:3], exec
	s_branch .LBB279_4
.LBB279_3:
	s_mov_b64 s[46:47], -1
.LBB279_4:
	s_load_dwordx2 s[6:7], s[4:5], 0x40
	s_load_dwordx4 s[36:39], s[4:5], 0x30
	v_mov_b32_e32 v1, s1
	v_and_b32_e32 v23, 7, v0
	v_lshlrev_b32_e32 v0, 5, v23
	s_waitcnt lgkmcnt(0)
	v_mul_lo_u32 v2, v22, s7
	v_ashrrev_i32_e32 v3, 31, v2
	v_lshlrev_b64 v[2:3], 1, v[2:3]
	v_add_co_u32_e32 v2, vcc, s0, v2
	v_addc_co_u32_e32 v1, vcc, v1, v3, vcc
	v_add_co_u32_e32 v8, vcc, v2, v0
	v_addc_co_u32_e32 v9, vcc, 0, v1, vcc
	global_load_dwordx4 v[4:7], v[8:9], off
	global_load_dwordx4 v[12:15], v[8:9], off offset:16
	v_lshlrev_b32_e32 v26, 4, v23
	v_or_b32_e32 v27, 1, v26
	v_or_b32_e32 v28, 2, v26
	;; [unrolled: 1-line block ×15, first 2 shown]
	v_mov_b32_e32 v25, 0
	s_waitcnt vmcnt(1)
	v_cvt_f32_u32_sdwa v1, v4 dst_sel:DWORD dst_unused:UNUSED_PAD src0_sel:WORD_1
	v_cvt_f32_u32_sdwa v0, v4 dst_sel:DWORD dst_unused:UNUSED_PAD src0_sel:WORD_0
	v_cvt_f32_u32_sdwa v2, v5 dst_sel:DWORD dst_unused:UNUSED_PAD src0_sel:WORD_0
	s_waitcnt vmcnt(0)
	v_cvt_f32_u32_sdwa v8, v12 dst_sel:DWORD dst_unused:UNUSED_PAD src0_sel:WORD_0
	v_cvt_f32_u32_sdwa v9, v12 dst_sel:DWORD dst_unused:UNUSED_PAD src0_sel:WORD_1
	v_cmp_lt_f32_e32 vcc, v0, v1
	v_cndmask_b32_e32 v4, v0, v1, vcc
	v_cndmask_b32_e32 v3, v26, v27, vcc
	v_cmp_lt_f32_e32 vcc, v4, v2
	v_cndmask_b32_e32 v10, v3, v28, vcc
	v_cvt_f32_u32_sdwa v3, v5 dst_sel:DWORD dst_unused:UNUSED_PAD src0_sel:WORD_1
	v_cndmask_b32_e32 v4, v4, v2, vcc
	v_cmp_lt_f32_e32 vcc, v4, v3
	v_cndmask_b32_e32 v5, v10, v29, vcc
	v_cndmask_b32_e32 v10, v4, v3, vcc
	v_cvt_f32_u32_sdwa v4, v6 dst_sel:DWORD dst_unused:UNUSED_PAD src0_sel:WORD_0
	v_cmp_lt_f32_e32 vcc, v10, v4
	v_cndmask_b32_e32 v11, v5, v30, vcc
	v_cvt_f32_u32_sdwa v5, v6 dst_sel:DWORD dst_unused:UNUSED_PAD src0_sel:WORD_1
	v_cvt_f32_u32_sdwa v6, v7 dst_sel:DWORD dst_unused:UNUSED_PAD src0_sel:WORD_0
	v_cndmask_b32_e32 v10, v10, v4, vcc
	v_cvt_f32_u32_sdwa v7, v7 dst_sel:DWORD dst_unused:UNUSED_PAD src0_sel:WORD_1
	v_cmp_lt_f32_e32 vcc, v10, v5
	v_cndmask_b32_e32 v10, v10, v5, vcc
	v_cndmask_b32_e32 v11, v11, v31, vcc
	v_cmp_lt_f32_e32 vcc, v10, v6
	v_cndmask_b32_e32 v10, v10, v6, vcc
	v_cndmask_b32_e32 v11, v11, v32, vcc
	;; [unrolled: 3-line block ×4, first 2 shown]
	v_cmp_lt_f32_e32 vcc, v10, v9
	v_cndmask_b32_e32 v12, v10, v9, vcc
	v_cvt_f32_u32_sdwa v10, v13 dst_sel:DWORD dst_unused:UNUSED_PAD src0_sel:WORD_0
	v_cndmask_b32_e32 v11, v11, v35, vcc
	v_cmp_lt_f32_e32 vcc, v12, v10
	v_cndmask_b32_e32 v16, v11, v36, vcc
	v_cvt_f32_u32_sdwa v11, v13 dst_sel:DWORD dst_unused:UNUSED_PAD src0_sel:WORD_1
	v_cndmask_b32_e32 v12, v12, v10, vcc
	v_cmp_lt_f32_e32 vcc, v12, v11
	v_cndmask_b32_e32 v13, v16, v37, vcc
	v_cndmask_b32_e32 v16, v12, v11, vcc
	v_cvt_f32_u32_sdwa v12, v14 dst_sel:DWORD dst_unused:UNUSED_PAD src0_sel:WORD_0
	v_cmp_lt_f32_e32 vcc, v16, v12
	v_cndmask_b32_e32 v17, v13, v38, vcc
	v_cvt_f32_u32_sdwa v13, v14 dst_sel:DWORD dst_unused:UNUSED_PAD src0_sel:WORD_1
	v_cvt_f32_u32_sdwa v14, v15 dst_sel:DWORD dst_unused:UNUSED_PAD src0_sel:WORD_0
	v_cndmask_b32_e32 v16, v16, v12, vcc
	v_cvt_f32_u32_sdwa v15, v15 dst_sel:DWORD dst_unused:UNUSED_PAD src0_sel:WORD_1
	v_cmp_lt_f32_e32 vcc, v16, v13
	v_cndmask_b32_e32 v16, v16, v13, vcc
	v_cndmask_b32_e32 v17, v17, v39, vcc
	v_cmp_lt_f32_e32 vcc, v16, v14
	v_cndmask_b32_e32 v16, v16, v14, vcc
	v_cndmask_b32_e32 v17, v17, v40, vcc
	;; [unrolled: 3-line block ×3, first 2 shown]
	s_nop 0
	v_mov_b32_dpp v18, v17 quad_perm:[1,0,3,2] row_mask:0xf bank_mask:0xf
	v_mov_b32_dpp v19, v16 quad_perm:[1,0,3,2] row_mask:0xf bank_mask:0xf
	v_cmp_lt_i32_e32 vcc, v18, v17
	v_cmp_eq_f32_e64 s[2:3], v16, v19
	v_cmp_lt_f32_e64 s[0:1], v16, v19
	s_and_b64 s[2:3], s[2:3], vcc
	s_or_b64 vcc, s[0:1], s[2:3]
	v_cndmask_b32_e32 v16, v16, v19, vcc
	v_cndmask_b32_e32 v17, v17, v18, vcc
	s_nop 0
	v_mov_b32_dpp v18, v16 quad_perm:[2,3,0,1] row_mask:0xf bank_mask:0xf
	v_mov_b32_dpp v19, v17 quad_perm:[2,3,0,1] row_mask:0xf bank_mask:0xf
	v_cmp_eq_f32_e64 s[0:1], v16, v18
	v_cmp_lt_i32_e64 s[2:3], v19, v17
	v_cmp_lt_f32_e32 vcc, v16, v18
	s_and_b64 s[0:1], s[0:1], s[2:3]
	s_or_b64 vcc, vcc, s[0:1]
	v_cndmask_b32_e32 v18, v16, v18, vcc
	v_cndmask_b32_e32 v16, v17, v19, vcc
	s_nop 0
	v_mov_b32_dpp v19, v18 row_half_mirror row_mask:0xf bank_mask:0xf
	v_mov_b32_dpp v17, v16 row_half_mirror row_mask:0xf bank_mask:0xf
	v_cmp_eq_f32_e64 s[0:1], v18, v19
	v_cmp_lt_i32_e64 s[2:3], v17, v16
	v_cmp_lt_f32_e32 vcc, v18, v19
	s_and_b64 s[0:1], s[0:1], s[2:3]
	s_or_b64 s[0:1], vcc, s[0:1]
	s_cmp_gt_i32 s36, 0
	v_cndmask_b32_e64 v24, v18, v19, s[0:1]
	s_cselect_b64 s[44:45], -1, 0
	s_cmp_lt_i32 s36, 1
	v_cmp_eq_u32_e32 vcc, 0, v23
	s_cbranch_scc1 .LBB279_16
; %bb.5:
	s_load_dwordx4 s[40:43], s[4:5], 0x20
	v_cndmask_b32_e64 v44, v16, v17, s[0:1]
	v_mul_lo_u32 v20, v22, s39
	v_mul_lo_u32 v18, v22, s6
	;; [unrolled: 1-line block ×3, first 2 shown]
	v_mov_b32_e32 v25, 0
	s_and_saveexec_b64 s[4:5], vcc
	s_cbranch_execz .LBB279_7
; %bb.6:
	v_sub_f32_e32 v17, v24, v24
	v_mul_f32_e32 v19, 0x3fb8aa3b, v17
	s_mov_b32 s0, 0x3fb8aa3b
	v_rndne_f32_e32 v21, v19
	v_sub_f32_e32 v25, v19, v21
	v_fma_f32 v19, v17, s0, -v19
	v_fmac_f32_e32 v19, 0x32a5705f, v17
	v_add_f32_e32 v19, v25, v19
	v_exp_f32_e32 v19, v19
	v_cvt_i32_f32_e32 v21, v21
	v_cmp_le_i32_e64 s[0:1], s37, v44
	v_cmp_gt_i32_e64 s[2:3], s38, v44
	s_and_b64 s[2:3], s[0:1], s[2:3]
	s_mov_b32 s0, 0xc2ce8ed0
	v_ldexp_f32 v19, v19, v21
	v_cmp_ngt_f32_e64 s[0:1], s0, v17
	v_cndmask_b32_e64 v19, 0, v19, s[0:1]
	s_mov_b32 s0, 0x42b17218
	v_mov_b32_e32 v21, 0x7f800000
	v_cmp_nlt_f32_e64 s[0:1], s0, v17
	v_cndmask_b32_e64 v25, v21, v19, s[0:1]
	v_ashrrev_i32_e32 v21, 31, v20
	v_lshlrev_b64 v[46:47], 2, v[20:21]
	v_mov_b32_e32 v17, s35
	v_add_co_u32_e64 v46, s[0:1], s34, v46
	v_addc_co_u32_e64 v47, s[0:1], v17, v47, s[0:1]
	v_subrev_u32_e32 v17, s37, v44
	v_mov_b32_e32 v19, 0x80
	s_and_b64 s[0:1], s[46:47], s[2:3]
	v_cndmask_b32_e64 v17, v19, v17, s[0:1]
	v_ashrrev_i32_e32 v19, 31, v18
	global_store_dword v[46:47], v25, off
	v_lshlrev_b64 v[46:47], 2, v[18:19]
	s_waitcnt lgkmcnt(0)
	v_mov_b32_e32 v19, s41
	v_add_co_u32_e64 v46, s[0:1], s40, v46
	v_addc_co_u32_e64 v47, s[0:1], v19, v47, s[0:1]
	global_store_dword v[46:47], v17, off
	v_ashrrev_i32_e32 v17, 31, v16
	v_lshlrev_b64 v[46:47], 2, v[16:17]
	v_mov_b32_e32 v17, s43
	v_add_co_u32_e64 v46, s[0:1], s42, v46
	v_addc_co_u32_e64 v47, s[0:1], v17, v47, s[0:1]
	global_store_dword v[46:47], v22, off
.LBB279_7:
	s_or_b64 exec, exec, s[4:5]
	v_ashrrev_i32_e32 v19, 31, v44
	v_lshrrev_b32_e32 v17, 28, v19
	v_add_u32_e32 v17, v44, v17
	v_ashrrev_i32_e32 v17, 4, v17
	v_lshrrev_b32_e32 v21, 29, v17
	v_add_u32_e32 v21, v17, v21
	v_and_b32_e32 v21, -8, v21
	v_sub_u32_e32 v21, v17, v21
	v_cmp_eq_u32_e64 s[0:1], v23, v21
	s_and_saveexec_b64 s[48:49], s[0:1]
	s_cbranch_execz .LBB279_9
; %bb.8:
	v_lshrrev_b32_e32 v19, 25, v19
	v_add_u32_e32 v19, v44, v19
	v_lshlrev_b32_e32 v17, 4, v17
	v_sub_u32_e32 v17, v44, v17
	v_ashrrev_i32_e32 v19, 7, v19
	v_lshl_add_u32 v17, v19, 4, v17
	v_mov_b32_e32 v19, 0xff800000
	v_cmp_ne_u32_e64 s[0:1], 14, v17
	v_cmp_ne_u32_e64 s[2:3], 13, v17
	;; [unrolled: 1-line block ×16, first 2 shown]
	v_cndmask_b32_e64 v15, v19, v15, s[30:31]
	v_cndmask_b32_e64 v14, v19, v14, s[0:1]
	;; [unrolled: 1-line block ×16, first 2 shown]
.LBB279_9:
	s_or_b64 exec, exec, s[48:49]
	s_cmp_eq_u32 s36, 1
	s_cbranch_scc1 .LBB279_16
; %bb.10:
	s_add_i32 s50, s50, s33
	s_add_i32 s51, s36, -1
	v_add3_u32 v42, s50, v43, v42
	v_add_u32_e32 v16, 1, v16
	v_add_u32_e32 v18, 1, v18
	;; [unrolled: 1-line block ×3, first 2 shown]
	s_mov_b32 s50, 0x3fb8aa3b
	s_mov_b32 s52, 0xc2ce8ed0
	;; [unrolled: 1-line block ×3, first 2 shown]
	v_mov_b32_e32 v43, 0x7f800000
	v_mov_b32_e32 v44, 0x80
	;; [unrolled: 1-line block ×3, first 2 shown]
	s_branch .LBB279_12
.LBB279_11:                             ;   in Loop: Header=BB279_12 Depth=1
	s_or_b64 exec, exec, s[48:49]
	s_add_i32 s51, s51, -1
	v_add_u32_e32 v42, s33, v42
	v_add_u32_e32 v16, 1, v16
	;; [unrolled: 1-line block ×3, first 2 shown]
	s_cmp_eq_u32 s51, 0
	v_add_u32_e32 v20, 1, v20
	s_cbranch_scc1 .LBB279_16
.LBB279_12:                             ; =>This Inner Loop Header: Depth=1
	v_cmp_gt_f32_e64 s[0:1], v1, v0
	v_cndmask_b32_e64 v19, v0, v1, s[0:1]
	v_cndmask_b32_e64 v17, v26, v27, s[0:1]
	v_cmp_gt_f32_e64 s[0:1], v2, v19
	v_cndmask_b32_e64 v19, v19, v2, s[0:1]
	v_cndmask_b32_e64 v17, v17, v28, s[0:1]
	;; [unrolled: 3-line block ×15, first 2 shown]
	s_nop 0
	v_mov_b32_dpp v46, v17 quad_perm:[1,0,3,2] row_mask:0xf bank_mask:0xf
	v_mov_b32_dpp v21, v19 quad_perm:[1,0,3,2] row_mask:0xf bank_mask:0xf
	v_cmp_eq_f32_e64 s[2:3], v19, v21
	v_cmp_lt_i32_e64 s[4:5], v46, v17
	v_cmp_lt_f32_e64 s[0:1], v19, v21
	s_and_b64 s[2:3], s[2:3], s[4:5]
	s_or_b64 s[0:1], s[0:1], s[2:3]
	v_cndmask_b32_e64 v19, v19, v21, s[0:1]
	v_cndmask_b32_e64 v21, v17, v46, s[0:1]
	s_nop 0
	v_mov_b32_dpp v17, v19 quad_perm:[2,3,0,1] row_mask:0xf bank_mask:0xf
	v_mov_b32_dpp v46, v21 quad_perm:[2,3,0,1] row_mask:0xf bank_mask:0xf
	v_cmp_eq_f32_e64 s[2:3], v19, v17
	v_cmp_lt_i32_e64 s[4:5], v46, v21
	v_cmp_lt_f32_e64 s[0:1], v19, v17
	s_and_b64 s[2:3], s[2:3], s[4:5]
	s_or_b64 s[0:1], s[0:1], s[2:3]
	v_cndmask_b32_e64 v17, v19, v17, s[0:1]
	v_cndmask_b32_e64 v21, v21, v46, s[0:1]
	s_nop 0
	v_mov_b32_dpp v19, v17 row_half_mirror row_mask:0xf bank_mask:0xf
	v_mov_b32_dpp v46, v21 row_half_mirror row_mask:0xf bank_mask:0xf
	v_cmp_eq_f32_e64 s[2:3], v17, v19
	v_cmp_lt_i32_e64 s[4:5], v46, v21
	v_cmp_lt_f32_e64 s[0:1], v17, v19
	s_and_b64 s[2:3], s[2:3], s[4:5]
	s_or_b64 s[0:1], s[0:1], s[2:3]
	v_cndmask_b32_e64 v46, v21, v46, s[0:1]
	s_and_saveexec_b64 s[4:5], vcc
	s_cbranch_execz .LBB279_14
; %bb.13:                               ;   in Loop: Header=BB279_12 Depth=1
	v_cndmask_b32_e64 v17, v17, v19, s[0:1]
	v_sub_f32_e32 v17, v17, v24
	v_mul_f32_e32 v19, 0x3fb8aa3b, v17
	v_fma_f32 v21, v17, s50, -v19
	v_rndne_f32_e32 v47, v19
	v_fmac_f32_e32 v21, 0x32a5705f, v17
	v_sub_f32_e32 v19, v19, v47
	v_add_f32_e32 v19, v19, v21
	v_exp_f32_e32 v19, v19
	v_cvt_i32_f32_e32 v21, v47
	v_cmp_le_i32_e64 s[0:1], s37, v46
	v_cmp_gt_i32_e64 s[2:3], s38, v46
	s_and_b64 s[2:3], s[0:1], s[2:3]
	v_ldexp_f32 v19, v19, v21
	v_cmp_ngt_f32_e64 s[0:1], s52, v17
	v_ashrrev_i32_e32 v21, 31, v20
	v_cndmask_b32_e64 v19, 0, v19, s[0:1]
	v_cmp_nlt_f32_e64 s[0:1], s53, v17
	v_lshlrev_b64 v[48:49], 2, v[20:21]
	v_cndmask_b32_e64 v47, v43, v19, s[0:1]
	v_mov_b32_e32 v17, s35
	v_add_co_u32_e64 v48, s[0:1], s34, v48
	v_addc_co_u32_e64 v49, s[0:1], v17, v49, s[0:1]
	v_ashrrev_i32_e32 v19, 31, v18
	global_store_dword v[48:49], v47, off
	v_subrev_u32_e32 v17, s37, v46
	s_and_b64 s[0:1], s[46:47], s[2:3]
	v_lshlrev_b64 v[48:49], 2, v[18:19]
	v_cndmask_b32_e64 v17, v44, v17, s[0:1]
	s_waitcnt lgkmcnt(0)
	v_mov_b32_e32 v19, s41
	v_add_co_u32_e64 v48, s[0:1], s40, v48
	v_addc_co_u32_e64 v49, s[0:1], v19, v49, s[0:1]
	global_store_dword v[48:49], v17, off
	v_ashrrev_i32_e32 v17, 31, v16
	v_lshlrev_b64 v[48:49], 2, v[16:17]
	v_mov_b32_e32 v17, s43
	v_add_co_u32_e64 v48, s[0:1], s42, v48
	v_addc_co_u32_e64 v49, s[0:1], v17, v49, s[0:1]
	v_add_f32_e32 v25, v25, v47
	global_store_dword v[48:49], v42, off
.LBB279_14:                             ;   in Loop: Header=BB279_12 Depth=1
	s_or_b64 exec, exec, s[4:5]
	v_ashrrev_i32_e32 v19, 31, v46
	v_lshrrev_b32_e32 v17, 28, v19
	v_add_u32_e32 v17, v46, v17
	v_ashrrev_i32_e32 v17, 4, v17
	v_lshrrev_b32_e32 v21, 29, v17
	v_add_u32_e32 v21, v17, v21
	v_and_b32_e32 v21, -8, v21
	v_sub_u32_e32 v21, v17, v21
	v_cmp_eq_u32_e64 s[0:1], v23, v21
	s_and_saveexec_b64 s[48:49], s[0:1]
	s_cbranch_execz .LBB279_11
; %bb.15:                               ;   in Loop: Header=BB279_12 Depth=1
	v_lshrrev_b32_e32 v19, 25, v19
	v_add_u32_e32 v19, v46, v19
	v_lshlrev_b32_e32 v17, 4, v17
	v_sub_u32_e32 v17, v46, v17
	v_ashrrev_i32_e32 v19, 7, v19
	v_lshl_add_u32 v17, v19, 4, v17
	v_cmp_ne_u32_e64 s[0:1], 14, v17
	v_cmp_ne_u32_e64 s[2:3], 13, v17
	;; [unrolled: 1-line block ×16, first 2 shown]
	v_cndmask_b32_e64 v15, v45, v15, s[30:31]
	v_cndmask_b32_e64 v14, v45, v14, s[0:1]
	;; [unrolled: 1-line block ×16, first 2 shown]
	s_branch .LBB279_11
.LBB279_16:
	v_sub_f32_e32 v0, v0, v24
	s_mov_b32 s2, 0x3fb8aa3b
	v_mul_f32_e32 v16, 0x3fb8aa3b, v0
	v_fma_f32 v17, v0, s2, -v16
	v_rndne_f32_e32 v18, v16
	v_fmac_f32_e32 v17, 0x32a5705f, v0
	v_sub_f32_e32 v16, v16, v18
	v_add_f32_e32 v16, v16, v17
	v_exp_f32_e32 v16, v16
	v_cvt_i32_f32_e32 v17, v18
	v_sub_f32_e32 v1, v1, v24
	s_mov_b32 s4, 0xc2ce8ed0
	s_mov_b32 s3, 0x42b17218
	v_ldexp_f32 v16, v16, v17
	v_mul_f32_e32 v17, 0x3fb8aa3b, v1
	v_fma_f32 v18, v1, s2, -v17
	v_rndne_f32_e32 v19, v17
	v_fmac_f32_e32 v18, 0x32a5705f, v1
	v_sub_f32_e32 v17, v17, v19
	v_add_f32_e32 v17, v17, v18
	v_exp_f32_e32 v17, v17
	v_cvt_i32_f32_e32 v18, v19
	v_cmp_ngt_f32_e32 vcc, s4, v1
	v_cmp_ngt_f32_e64 s[0:1], s4, v0
	v_sub_f32_e32 v2, v2, v24
	v_ldexp_f32 v17, v17, v18
	v_cndmask_b32_e32 v17, 0, v17, vcc
	v_mov_b32_e32 v18, 0x7f800000
	v_cmp_nlt_f32_e32 vcc, s3, v1
	v_cndmask_b32_e64 v1, 0, v16, s[0:1]
	v_cmp_nlt_f32_e64 s[0:1], s3, v0
	v_cndmask_b32_e64 v0, v18, v1, s[0:1]
	v_cndmask_b32_e32 v1, v18, v17, vcc
	v_add_f32_e32 v0, v0, v1
	v_mul_f32_e32 v1, 0x3fb8aa3b, v2
	v_fma_f32 v16, v2, s2, -v1
	v_rndne_f32_e32 v17, v1
	v_fmac_f32_e32 v16, 0x32a5705f, v2
	v_sub_f32_e32 v1, v1, v17
	v_add_f32_e32 v1, v1, v16
	v_exp_f32_e32 v1, v1
	v_cvt_i32_f32_e32 v16, v17
	v_cmp_ngt_f32_e32 vcc, s4, v2
	v_sub_f32_e32 v3, v3, v24
	v_sub_f32_e32 v4, v4, v24
	v_ldexp_f32 v1, v1, v16
	v_cndmask_b32_e32 v1, 0, v1, vcc
	v_cmp_nlt_f32_e32 vcc, s3, v2
	v_cndmask_b32_e32 v1, v18, v1, vcc
	v_add_f32_e32 v0, v0, v1
	v_mul_f32_e32 v1, 0x3fb8aa3b, v3
	v_fma_f32 v2, v3, s2, -v1
	v_rndne_f32_e32 v16, v1
	v_fmac_f32_e32 v2, 0x32a5705f, v3
	v_sub_f32_e32 v1, v1, v16
	v_add_f32_e32 v1, v1, v2
	v_exp_f32_e32 v1, v1
	v_cvt_i32_f32_e32 v2, v16
	v_cmp_ngt_f32_e32 vcc, s4, v3
	v_sub_f32_e32 v5, v5, v24
	v_sub_f32_e32 v6, v6, v24
	v_ldexp_f32 v1, v1, v2
	v_cndmask_b32_e32 v1, 0, v1, vcc
	v_cmp_nlt_f32_e32 vcc, s3, v3
	v_cndmask_b32_e32 v1, v18, v1, vcc
	v_add_f32_e32 v0, v0, v1
	v_mul_f32_e32 v1, 0x3fb8aa3b, v4
	v_fma_f32 v2, v4, s2, -v1
	v_rndne_f32_e32 v3, v1
	v_fmac_f32_e32 v2, 0x32a5705f, v4
	v_sub_f32_e32 v1, v1, v3
	v_add_f32_e32 v1, v1, v2
	v_exp_f32_e32 v1, v1
	v_cvt_i32_f32_e32 v2, v3
	v_cmp_ngt_f32_e32 vcc, s4, v4
	v_sub_f32_e32 v7, v7, v24
	v_sub_f32_e32 v8, v8, v24
	v_ldexp_f32 v1, v1, v2
	v_cndmask_b32_e32 v1, 0, v1, vcc
	v_cmp_nlt_f32_e32 vcc, s3, v4
	v_cndmask_b32_e32 v1, v18, v1, vcc
	v_add_f32_e32 v0, v0, v1
	v_mul_f32_e32 v1, 0x3fb8aa3b, v5
	v_fma_f32 v2, v5, s2, -v1
	v_rndne_f32_e32 v3, v1
	v_fmac_f32_e32 v2, 0x32a5705f, v5
	v_sub_f32_e32 v1, v1, v3
	v_add_f32_e32 v1, v1, v2
	v_exp_f32_e32 v1, v1
	v_cvt_i32_f32_e32 v2, v3
	v_cmp_ngt_f32_e32 vcc, s4, v5
	v_sub_f32_e32 v9, v9, v24
	v_sub_f32_e32 v10, v10, v24
	v_ldexp_f32 v1, v1, v2
	v_cndmask_b32_e32 v1, 0, v1, vcc
	v_cmp_nlt_f32_e32 vcc, s3, v5
	v_cndmask_b32_e32 v1, v18, v1, vcc
	v_add_f32_e32 v0, v0, v1
	v_mul_f32_e32 v1, 0x3fb8aa3b, v6
	v_fma_f32 v2, v6, s2, -v1
	v_rndne_f32_e32 v3, v1
	v_fmac_f32_e32 v2, 0x32a5705f, v6
	v_sub_f32_e32 v1, v1, v3
	v_add_f32_e32 v1, v1, v2
	v_exp_f32_e32 v1, v1
	v_cvt_i32_f32_e32 v2, v3
	v_cmp_ngt_f32_e32 vcc, s4, v6
	v_sub_f32_e32 v11, v11, v24
	v_sub_f32_e32 v12, v12, v24
	v_ldexp_f32 v1, v1, v2
	v_cndmask_b32_e32 v1, 0, v1, vcc
	v_cmp_nlt_f32_e32 vcc, s3, v6
	v_cndmask_b32_e32 v1, v18, v1, vcc
	v_add_f32_e32 v0, v0, v1
	v_mul_f32_e32 v1, 0x3fb8aa3b, v7
	v_fma_f32 v2, v7, s2, -v1
	v_rndne_f32_e32 v3, v1
	v_fmac_f32_e32 v2, 0x32a5705f, v7
	v_sub_f32_e32 v1, v1, v3
	v_add_f32_e32 v1, v1, v2
	v_exp_f32_e32 v1, v1
	v_cvt_i32_f32_e32 v2, v3
	v_cmp_ngt_f32_e32 vcc, s4, v7
	v_ldexp_f32 v1, v1, v2
	v_mul_f32_e32 v2, 0x3fb8aa3b, v8
	v_fma_f32 v3, v8, s2, -v2
	v_rndne_f32_e32 v4, v2
	v_fmac_f32_e32 v3, 0x32a5705f, v8
	v_sub_f32_e32 v2, v2, v4
	v_add_f32_e32 v2, v2, v3
	v_exp_f32_e32 v2, v2
	v_cvt_i32_f32_e32 v3, v4
	v_cndmask_b32_e32 v1, 0, v1, vcc
	v_cmp_nlt_f32_e32 vcc, s3, v7
	v_cndmask_b32_e32 v1, v18, v1, vcc
	v_add_f32_e32 v0, v0, v1
	v_ldexp_f32 v1, v2, v3
	v_mul_f32_e32 v2, 0x3fb8aa3b, v9
	v_fma_f32 v3, v9, s2, -v2
	v_rndne_f32_e32 v4, v2
	v_fmac_f32_e32 v3, 0x32a5705f, v9
	v_sub_f32_e32 v2, v2, v4
	v_add_f32_e32 v2, v2, v3
	v_exp_f32_e32 v2, v2
	v_cvt_i32_f32_e32 v3, v4
	v_cmp_ngt_f32_e32 vcc, s4, v8
	v_cndmask_b32_e32 v1, 0, v1, vcc
	v_cmp_nlt_f32_e32 vcc, s3, v8
	v_cndmask_b32_e32 v1, v18, v1, vcc
	v_add_f32_e32 v0, v0, v1
	v_ldexp_f32 v1, v2, v3
	v_mul_f32_e32 v2, 0x3fb8aa3b, v10
	v_fma_f32 v3, v10, s2, -v2
	v_rndne_f32_e32 v4, v2
	v_fmac_f32_e32 v3, 0x32a5705f, v10
	v_sub_f32_e32 v2, v2, v4
	v_add_f32_e32 v2, v2, v3
	v_exp_f32_e32 v2, v2
	v_cvt_i32_f32_e32 v3, v4
	v_cmp_ngt_f32_e32 vcc, s4, v9
	;; [unrolled: 14-line block ×4, first 2 shown]
	v_cndmask_b32_e32 v1, 0, v1, vcc
	v_cmp_nlt_f32_e32 vcc, s3, v11
	v_cndmask_b32_e32 v1, v18, v1, vcc
	v_add_f32_e32 v0, v0, v1
	v_ldexp_f32 v1, v2, v3
	v_sub_f32_e32 v2, v13, v24
	v_mul_f32_e32 v3, 0x3fb8aa3b, v2
	v_fma_f32 v4, v2, s2, -v3
	v_rndne_f32_e32 v5, v3
	v_fmac_f32_e32 v4, 0x32a5705f, v2
	v_sub_f32_e32 v3, v3, v5
	v_add_f32_e32 v3, v3, v4
	v_exp_f32_e32 v3, v3
	v_cvt_i32_f32_e32 v4, v5
	v_cmp_ngt_f32_e32 vcc, s4, v12
	v_cndmask_b32_e32 v1, 0, v1, vcc
	v_cmp_nlt_f32_e32 vcc, s3, v12
	v_cndmask_b32_e32 v1, v18, v1, vcc
	v_add_f32_e32 v0, v0, v1
	v_ldexp_f32 v1, v3, v4
	v_sub_f32_e32 v3, v14, v24
	v_mul_f32_e32 v4, 0x3fb8aa3b, v3
	v_fma_f32 v5, v3, s2, -v4
	v_rndne_f32_e32 v6, v4
	v_fmac_f32_e32 v5, 0x32a5705f, v3
	v_sub_f32_e32 v4, v4, v6
	v_add_f32_e32 v4, v4, v5
	v_exp_f32_e32 v4, v4
	v_cvt_i32_f32_e32 v5, v6
	v_cmp_ngt_f32_e32 vcc, s4, v2
	v_cndmask_b32_e32 v1, 0, v1, vcc
	v_cmp_nlt_f32_e32 vcc, s3, v2
	v_cndmask_b32_e32 v1, v18, v1, vcc
	v_sub_f32_e32 v2, v15, v24
	v_add_f32_e32 v0, v0, v1
	v_ldexp_f32 v1, v4, v5
	v_mul_f32_e32 v4, 0x3fb8aa3b, v2
	v_fma_f32 v5, v2, s2, -v4
	v_rndne_f32_e32 v6, v4
	v_fmac_f32_e32 v5, 0x32a5705f, v2
	v_sub_f32_e32 v4, v4, v6
	v_add_f32_e32 v4, v4, v5
	v_exp_f32_e32 v4, v4
	v_cvt_i32_f32_e32 v5, v6
	v_cmp_ngt_f32_e32 vcc, s4, v3
	v_cndmask_b32_e32 v1, 0, v1, vcc
	v_cmp_nlt_f32_e32 vcc, s3, v3
	v_cndmask_b32_e32 v1, v18, v1, vcc
	v_add_f32_e32 v0, v0, v1
	v_ldexp_f32 v1, v4, v5
	v_cmp_ngt_f32_e32 vcc, s4, v2
	v_cndmask_b32_e32 v1, 0, v1, vcc
	v_cmp_nlt_f32_e32 vcc, s3, v2
	v_cndmask_b32_e32 v1, v18, v1, vcc
	v_add_f32_e32 v0, v0, v1
	v_cmp_eq_u32_e32 vcc, 0, v23
	s_nop 0
	v_mov_b32_dpp v1, v0 quad_perm:[1,0,3,2] row_mask:0xf bank_mask:0xf
	v_add_f32_e32 v0, v0, v1
	s_nop 1
	v_mov_b32_dpp v1, v0 quad_perm:[2,3,0,1] row_mask:0xf bank_mask:0xf
	v_add_f32_e32 v0, v0, v1
	s_nop 1
	v_mov_b32_dpp v1, v0 row_half_mirror row_mask:0xf bank_mask:0xf
	s_and_b64 exec, exec, vcc
	s_cbranch_execz .LBB279_29
; %bb.17:
	v_add_f32_e32 v0, v0, v1
	v_add_f32_e32 v0, v25, v0
	v_cmp_neq_f32_e32 vcc, 0, v0
	s_and_b64 exec, exec, vcc
	s_cbranch_execz .LBB279_29
; %bb.18:
	s_andn2_b64 vcc, exec, s[44:45]
	s_cbranch_vccnz .LBB279_29
; %bb.19:
	v_div_scale_f32 v1, s[0:1], v0, v0, 1.0
	v_rcp_f32_e32 v2, v1
	v_div_scale_f32 v3, vcc, 1.0, v0, 1.0
	s_cmp_gt_u32 s36, 3
	v_fma_f32 v4, -v1, v2, 1.0
	v_fmac_f32_e32 v2, v4, v2
	v_mul_f32_e32 v4, v3, v2
	v_fma_f32 v5, -v1, v4, v3
	v_fmac_f32_e32 v4, v5, v2
	v_fma_f32 v1, -v1, v4, v3
	v_div_fmas_f32 v1, v1, v2, v4
	v_mul_lo_u32 v2, v22, s39
	v_div_fixup_f32 v0, v1, v0, 1.0
	v_ashrrev_i32_e32 v3, 31, v2
	s_cbranch_scc0 .LBB279_23
; %bb.20:
	v_lshlrev_b64 v[4:5], 2, v[2:3]
	v_mov_b32_e32 v6, s35
	v_add_co_u32_e32 v4, vcc, s34, v4
	v_addc_co_u32_e32 v5, vcc, v5, v6, vcc
	s_and_b32 s4, s36, 0x7ffffffc
	v_add_co_u32_e32 v4, vcc, 8, v4
	v_mov_b32_e32 v1, v0
	v_addc_co_u32_e32 v5, vcc, 0, v5, vcc
	s_mov_b32 s0, s4
.LBB279_21:                             ; =>This Inner Loop Header: Depth=1
	global_load_dwordx4 v[6:9], v[4:5], off offset:-8
	s_add_i32 s0, s0, -4
	s_cmp_lg_u32 s0, 0
	s_waitcnt vmcnt(0)
	v_pk_mul_f32 v[6:7], v[0:1], v[6:7]
	v_pk_mul_f32 v[8:9], v[0:1], v[8:9]
	global_store_dwordx4 v[4:5], v[6:9], off offset:-8
	v_add_co_u32_e32 v4, vcc, 16, v4
	v_addc_co_u32_e32 v5, vcc, 0, v5, vcc
	s_cbranch_scc1 .LBB279_21
; %bb.22:
	s_cmp_lg_u32 s4, s36
	s_mov_b64 s[2:3], 0
	s_cselect_b64 s[0:1], -1, 0
	s_branch .LBB279_24
.LBB279_23:
	s_mov_b64 s[2:3], -1
	s_mov_b64 s[0:1], 0
                                        ; implicit-def: $sgpr4
.LBB279_24:
	s_and_b64 vcc, exec, s[2:3]
	s_cbranch_vccz .LBB279_26
; %bb.25:
	s_mov_b64 s[0:1], -1
	s_mov_b32 s4, 0
.LBB279_26:
	s_andn2_b64 vcc, exec, s[0:1]
	s_cbranch_vccnz .LBB279_29
; %bb.27:
	v_add_co_u32_e32 v2, vcc, s4, v2
	v_addc_co_u32_e32 v3, vcc, 0, v3, vcc
	v_lshlrev_b64 v[2:3], 2, v[2:3]
	v_mov_b32_e32 v1, s35
	v_add_co_u32_e32 v2, vcc, s34, v2
	s_sub_i32 s0, s36, s4
	v_addc_co_u32_e32 v3, vcc, v1, v3, vcc
.LBB279_28:                             ; =>This Inner Loop Header: Depth=1
	global_load_dword v1, v[2:3], off
	s_add_i32 s0, s0, -1
	s_cmp_lg_u32 s0, 0
	s_waitcnt vmcnt(0)
	v_mul_f32_e32 v1, v0, v1
	global_store_dword v[2:3], v1, off
	v_add_co_u32_e32 v2, vcc, 4, v2
	v_addc_co_u32_e32 v3, vcc, 0, v3, vcc
	s_cbranch_scc1 .LBB279_28
.LBB279_29:
	s_endpgm
	.section	.rodata,"a",@progbits
	.p2align	6, 0x0
	.amdhsa_kernel _ZN4vllm3moe17topkGatingSoftmaxItLi16ELi128ELi8ELi32ELb0ELi0ELNS0_23SharedExpertScoringFuncE0EEEvPKT_PKbPfiPiS9_iiiiii
		.amdhsa_group_segment_fixed_size 0
		.amdhsa_private_segment_fixed_size 0
		.amdhsa_kernarg_size 72
		.amdhsa_user_sgpr_count 6
		.amdhsa_user_sgpr_private_segment_buffer 1
		.amdhsa_user_sgpr_dispatch_ptr 0
		.amdhsa_user_sgpr_queue_ptr 0
		.amdhsa_user_sgpr_kernarg_segment_ptr 1
		.amdhsa_user_sgpr_dispatch_id 0
		.amdhsa_user_sgpr_flat_scratch_init 0
		.amdhsa_user_sgpr_kernarg_preload_length 0
		.amdhsa_user_sgpr_kernarg_preload_offset 0
		.amdhsa_user_sgpr_private_segment_size 0
		.amdhsa_uses_dynamic_stack 0
		.amdhsa_system_sgpr_private_segment_wavefront_offset 0
		.amdhsa_system_sgpr_workgroup_id_x 1
		.amdhsa_system_sgpr_workgroup_id_y 0
		.amdhsa_system_sgpr_workgroup_id_z 0
		.amdhsa_system_sgpr_workgroup_info 0
		.amdhsa_system_vgpr_workitem_id 1
		.amdhsa_next_free_vgpr 50
		.amdhsa_next_free_sgpr 54
		.amdhsa_accum_offset 52
		.amdhsa_reserve_vcc 1
		.amdhsa_reserve_flat_scratch 0
		.amdhsa_float_round_mode_32 0
		.amdhsa_float_round_mode_16_64 0
		.amdhsa_float_denorm_mode_32 3
		.amdhsa_float_denorm_mode_16_64 3
		.amdhsa_dx10_clamp 1
		.amdhsa_ieee_mode 1
		.amdhsa_fp16_overflow 0
		.amdhsa_tg_split 0
		.amdhsa_exception_fp_ieee_invalid_op 0
		.amdhsa_exception_fp_denorm_src 0
		.amdhsa_exception_fp_ieee_div_zero 0
		.amdhsa_exception_fp_ieee_overflow 0
		.amdhsa_exception_fp_ieee_underflow 0
		.amdhsa_exception_fp_ieee_inexact 0
		.amdhsa_exception_int_div_zero 0
	.end_amdhsa_kernel
	.section	.text._ZN4vllm3moe17topkGatingSoftmaxItLi16ELi128ELi8ELi32ELb0ELi0ELNS0_23SharedExpertScoringFuncE0EEEvPKT_PKbPfiPiS9_iiiiii,"axG",@progbits,_ZN4vllm3moe17topkGatingSoftmaxItLi16ELi128ELi8ELi32ELb0ELi0ELNS0_23SharedExpertScoringFuncE0EEEvPKT_PKbPfiPiS9_iiiiii,comdat
.Lfunc_end279:
	.size	_ZN4vllm3moe17topkGatingSoftmaxItLi16ELi128ELi8ELi32ELb0ELi0ELNS0_23SharedExpertScoringFuncE0EEEvPKT_PKbPfiPiS9_iiiiii, .Lfunc_end279-_ZN4vllm3moe17topkGatingSoftmaxItLi16ELi128ELi8ELi32ELb0ELi0ELNS0_23SharedExpertScoringFuncE0EEEvPKT_PKbPfiPiS9_iiiiii
                                        ; -- End function
	.section	.AMDGPU.csdata,"",@progbits
; Kernel info:
; codeLenInByte = 4432
; NumSgprs: 58
; NumVgprs: 50
; NumAgprs: 0
; TotalNumVgprs: 50
; ScratchSize: 0
; MemoryBound: 0
; FloatMode: 240
; IeeeMode: 1
; LDSByteSize: 0 bytes/workgroup (compile time only)
; SGPRBlocks: 7
; VGPRBlocks: 6
; NumSGPRsForWavesPerEU: 58
; NumVGPRsForWavesPerEU: 50
; AccumOffset: 52
; Occupancy: 8
; WaveLimiterHint : 0
; COMPUTE_PGM_RSRC2:SCRATCH_EN: 0
; COMPUTE_PGM_RSRC2:USER_SGPR: 6
; COMPUTE_PGM_RSRC2:TRAP_HANDLER: 0
; COMPUTE_PGM_RSRC2:TGID_X_EN: 1
; COMPUTE_PGM_RSRC2:TGID_Y_EN: 0
; COMPUTE_PGM_RSRC2:TGID_Z_EN: 0
; COMPUTE_PGM_RSRC2:TIDIG_COMP_CNT: 1
; COMPUTE_PGM_RSRC3_GFX90A:ACCUM_OFFSET: 12
; COMPUTE_PGM_RSRC3_GFX90A:TG_SPLIT: 0
	.section	.text._ZN4vllm3moe17topkGatingSoftmaxItLi16ELi128ELi8ELi32ELb1ELi1ELNS0_23SharedExpertScoringFuncE1EEEvPKT_PKbPfiPiS9_iiiiii,"axG",@progbits,_ZN4vllm3moe17topkGatingSoftmaxItLi16ELi128ELi8ELi32ELb1ELi1ELNS0_23SharedExpertScoringFuncE1EEEvPKT_PKbPfiPiS9_iiiiii,comdat
	.protected	_ZN4vllm3moe17topkGatingSoftmaxItLi16ELi128ELi8ELi32ELb1ELi1ELNS0_23SharedExpertScoringFuncE1EEEvPKT_PKbPfiPiS9_iiiiii ; -- Begin function _ZN4vllm3moe17topkGatingSoftmaxItLi16ELi128ELi8ELi32ELb1ELi1ELNS0_23SharedExpertScoringFuncE1EEEvPKT_PKbPfiPiS9_iiiiii
	.globl	_ZN4vllm3moe17topkGatingSoftmaxItLi16ELi128ELi8ELi32ELb1ELi1ELNS0_23SharedExpertScoringFuncE1EEEvPKT_PKbPfiPiS9_iiiiii
	.p2align	8
	.type	_ZN4vllm3moe17topkGatingSoftmaxItLi16ELi128ELi8ELi32ELb1ELi1ELNS0_23SharedExpertScoringFuncE1EEEvPKT_PKbPfiPiS9_iiiiii,@function
_ZN4vllm3moe17topkGatingSoftmaxItLi16ELi128ELi8ELi32ELb1ELi1ELNS0_23SharedExpertScoringFuncE1EEEvPKT_PKbPfiPiS9_iiiiii: ; @_ZN4vllm3moe17topkGatingSoftmaxItLi16ELi128ELi8ELi32ELb1ELi1ELNS0_23SharedExpertScoringFuncE1EEEvPKT_PKbPfiPiS9_iiiiii
; %bb.0:
	s_load_dword s33, s[4:5], 0x18
	v_bfe_u32 v1, v0, 10, 10
	v_and_b32_e32 v2, 0x3ff, v0
	s_lshl_b32 s50, s6, 6
	v_lshlrev_b32_e32 v41, 3, v1
	v_lshrrev_b32_e32 v42, 3, v2
	v_add3_u32 v22, s50, v41, v42
	s_waitcnt lgkmcnt(0)
	v_cmp_gt_i32_e32 vcc, s33, v22
	s_and_saveexec_b64 s[0:1], vcc
	s_cbranch_execz .LBB280_29
; %bb.1:
	s_load_dwordx4 s[0:3], s[4:5], 0x0
	s_load_dwordx2 s[34:35], s[4:5], 0x10
	s_waitcnt lgkmcnt(0)
	s_cmp_eq_u64 s[2:3], 0
	s_cbranch_scc1 .LBB280_3
; %bb.2:
	v_ashrrev_i32_e32 v1, 31, v22
	v_mov_b32_e32 v3, s3
	v_add_co_u32_e32 v0, vcc, s2, v22
	v_addc_co_u32_e32 v1, vcc, v3, v1, vcc
	global_load_ubyte v0, v[0:1], off
	s_waitcnt vmcnt(0)
	v_and_b32_e32 v0, 1, v0
	v_cmp_eq_u32_e32 vcc, 1, v0
	s_xor_b64 s[2:3], vcc, -1
	s_orn2_b64 s[44:45], s[2:3], exec
	s_branch .LBB280_4
.LBB280_3:
	s_mov_b64 s[44:45], -1
.LBB280_4:
	s_load_dwordx2 s[8:9], s[4:5], 0x40
	s_load_dwordx4 s[36:39], s[4:5], 0x30
	v_mov_b32_e32 v3, s1
	v_and_b32_e32 v23, 7, v2
	v_lshlrev_b32_e32 v2, 5, v23
	s_waitcnt lgkmcnt(0)
	v_mul_lo_u32 v0, v22, s9
	v_ashrrev_i32_e32 v1, 31, v0
	v_lshlrev_b64 v[0:1], 1, v[0:1]
	v_add_co_u32_e32 v0, vcc, s0, v0
	v_addc_co_u32_e32 v1, vcc, v3, v1, vcc
	v_add_co_u32_e32 v2, vcc, v0, v2
	v_addc_co_u32_e32 v3, vcc, 0, v1, vcc
	global_load_dwordx4 v[12:15], v[2:3], off offset:16
	global_load_dwordx4 v[4:7], v[2:3], off
	v_lshlrev_b32_e32 v25, 4, v23
	v_mov_b32_e32 v24, 0
	v_cmp_eq_u32_e64 s[0:1], 0, v23
	s_and_saveexec_b64 s[2:3], s[0:1]
	s_cbranch_execz .LBB280_6
; %bb.5:
	global_load_ushort v0, v[0:1], off offset:256
	s_mov_b32 s6, 0xbfb8aa3b
	s_mov_b32 s7, 0x42ce8ed0
	;; [unrolled: 1-line block ×3, first 2 shown]
	v_mov_b32_e32 v3, 0x7f800000
	v_mov_b32_e32 v10, s35
	s_waitcnt vmcnt(0)
	v_cvt_f32_u32_e32 v2, v0
	v_mul_lo_u32 v0, v22, s39
	v_add_u32_e32 v0, s36, v0
	v_mul_f32_e32 v1, 0xbfb8aa3b, v2
	v_rndne_f32_e32 v8, v1
	v_fma_f32 v9, v2, s6, -v1
	v_sub_f32_e32 v1, v1, v8
	v_fmac_f32_e32 v9, 0xb2a5705f, v2
	v_add_f32_e32 v1, v1, v9
	v_cvt_i32_f32_e32 v8, v8
	v_exp_f32_e32 v9, v1
	v_cmp_nlt_f32_e32 vcc, s7, v2
	v_ashrrev_i32_e32 v1, 31, v0
	v_lshlrev_b64 v[0:1], 2, v[0:1]
	v_ldexp_f32 v8, v9, v8
	v_cndmask_b32_e32 v8, 0, v8, vcc
	v_cmp_ngt_f32_e32 vcc, s9, v2
	v_cndmask_b32_e32 v2, v3, v8, vcc
	v_add_f32_e32 v2, 1.0, v2
	v_div_scale_f32 v3, s[6:7], v2, v2, 1.0
	v_rcp_f32_e32 v8, v3
	v_div_scale_f32 v9, vcc, 1.0, v2, 1.0
	v_fma_f32 v11, -v3, v8, 1.0
	v_fmac_f32_e32 v8, v11, v8
	v_mul_f32_e32 v11, v9, v8
	v_fma_f32 v16, -v3, v11, v9
	v_fmac_f32_e32 v11, v16, v8
	v_fma_f32 v3, -v3, v11, v9
	v_div_fmas_f32 v3, v3, v8, v11
	v_add_co_u32_e32 v0, vcc, s34, v0
	v_div_fixup_f32 v2, v3, v2, 1.0
	v_addc_co_u32_e32 v1, vcc, v10, v1, vcc
	global_store_dword v[0:1], v2, off
.LBB280_6:
	s_or_b64 exec, exec, s[2:3]
	s_waitcnt vmcnt(0)
	v_cvt_f32_u32_sdwa v1, v4 dst_sel:DWORD dst_unused:UNUSED_PAD src0_sel:WORD_1
	v_cvt_f32_u32_sdwa v0, v4 dst_sel:DWORD dst_unused:UNUSED_PAD src0_sel:WORD_0
	v_cvt_f32_u32_sdwa v2, v5 dst_sel:DWORD dst_unused:UNUSED_PAD src0_sel:WORD_0
	v_or_b32_e32 v26, 1, v25
	v_or_b32_e32 v27, 2, v25
	v_cmp_lt_f32_e32 vcc, v0, v1
	v_cndmask_b32_e32 v4, v0, v1, vcc
	v_cndmask_b32_e32 v3, v25, v26, vcc
	v_cmp_lt_f32_e32 vcc, v4, v2
	v_cndmask_b32_e32 v8, v3, v27, vcc
	v_cvt_f32_u32_sdwa v3, v5 dst_sel:DWORD dst_unused:UNUSED_PAD src0_sel:WORD_1
	v_cndmask_b32_e32 v4, v4, v2, vcc
	v_or_b32_e32 v28, 3, v25
	v_or_b32_e32 v29, 4, v25
	v_cmp_lt_f32_e32 vcc, v4, v3
	v_cndmask_b32_e32 v5, v8, v28, vcc
	v_cndmask_b32_e32 v8, v4, v3, vcc
	v_cvt_f32_u32_sdwa v4, v6 dst_sel:DWORD dst_unused:UNUSED_PAD src0_sel:WORD_0
	v_or_b32_e32 v30, 5, v25
	v_or_b32_e32 v31, 6, v25
	;; [unrolled: 1-line block ×3, first 2 shown]
	v_cmp_lt_f32_e32 vcc, v8, v4
	v_cndmask_b32_e32 v9, v5, v29, vcc
	v_cvt_f32_u32_sdwa v5, v6 dst_sel:DWORD dst_unused:UNUSED_PAD src0_sel:WORD_1
	v_cvt_f32_u32_sdwa v6, v7 dst_sel:DWORD dst_unused:UNUSED_PAD src0_sel:WORD_0
	v_cndmask_b32_e32 v8, v8, v4, vcc
	v_cvt_f32_u32_sdwa v7, v7 dst_sel:DWORD dst_unused:UNUSED_PAD src0_sel:WORD_1
	v_cmp_lt_f32_e32 vcc, v8, v5
	v_cndmask_b32_e32 v8, v8, v5, vcc
	v_cndmask_b32_e32 v9, v9, v30, vcc
	v_cmp_lt_f32_e32 vcc, v8, v6
	v_cndmask_b32_e32 v8, v8, v6, vcc
	v_cndmask_b32_e32 v9, v9, v31, vcc
	v_cmp_lt_f32_e32 vcc, v8, v7
	v_cndmask_b32_e32 v10, v8, v7, vcc
	v_cvt_f32_u32_sdwa v8, v12 dst_sel:DWORD dst_unused:UNUSED_PAD src0_sel:WORD_0
	v_cndmask_b32_e32 v9, v9, v32, vcc
	v_or_b32_e32 v33, 8, v25
	v_or_b32_e32 v34, 9, v25
	v_cmp_lt_f32_e32 vcc, v10, v8
	v_cndmask_b32_e32 v11, v9, v33, vcc
	v_cvt_f32_u32_sdwa v9, v12 dst_sel:DWORD dst_unused:UNUSED_PAD src0_sel:WORD_1
	v_cndmask_b32_e32 v10, v10, v8, vcc
	v_or_b32_e32 v35, 10, v25
	v_or_b32_e32 v36, 11, v25
	v_cmp_lt_f32_e32 vcc, v10, v9
	v_cndmask_b32_e32 v12, v10, v9, vcc
	v_cvt_f32_u32_sdwa v10, v13 dst_sel:DWORD dst_unused:UNUSED_PAD src0_sel:WORD_0
	v_cndmask_b32_e32 v11, v11, v34, vcc
	v_or_b32_e32 v37, 12, v25
	v_or_b32_e32 v38, 13, v25
	v_cmp_lt_f32_e32 vcc, v12, v10
	v_cndmask_b32_e32 v16, v11, v35, vcc
	v_cvt_f32_u32_sdwa v11, v13 dst_sel:DWORD dst_unused:UNUSED_PAD src0_sel:WORD_1
	v_cndmask_b32_e32 v12, v12, v10, vcc
	v_or_b32_e32 v39, 14, v25
	v_or_b32_e32 v40, 15, v25
	v_cmp_lt_f32_e32 vcc, v12, v11
	v_cndmask_b32_e32 v13, v16, v36, vcc
	v_cndmask_b32_e32 v16, v12, v11, vcc
	v_cvt_f32_u32_sdwa v12, v14 dst_sel:DWORD dst_unused:UNUSED_PAD src0_sel:WORD_0
	v_cmp_lt_f32_e32 vcc, v16, v12
	v_cndmask_b32_e32 v17, v13, v37, vcc
	v_cvt_f32_u32_sdwa v13, v14 dst_sel:DWORD dst_unused:UNUSED_PAD src0_sel:WORD_1
	v_cvt_f32_u32_sdwa v14, v15 dst_sel:DWORD dst_unused:UNUSED_PAD src0_sel:WORD_0
	v_cndmask_b32_e32 v16, v16, v12, vcc
	v_cvt_f32_u32_sdwa v15, v15 dst_sel:DWORD dst_unused:UNUSED_PAD src0_sel:WORD_1
	v_cmp_lt_f32_e32 vcc, v16, v13
	v_cndmask_b32_e32 v16, v16, v13, vcc
	v_cndmask_b32_e32 v17, v17, v38, vcc
	v_cmp_lt_f32_e32 vcc, v16, v14
	v_cndmask_b32_e32 v16, v16, v14, vcc
	v_cndmask_b32_e32 v17, v17, v39, vcc
	;; [unrolled: 3-line block ×3, first 2 shown]
	s_nop 0
	v_mov_b32_dpp v19, v17 quad_perm:[1,0,3,2] row_mask:0xf bank_mask:0xf
	v_mov_b32_dpp v18, v16 quad_perm:[1,0,3,2] row_mask:0xf bank_mask:0xf
	v_cmp_eq_f32_e64 s[2:3], v16, v18
	v_cmp_lt_i32_e64 s[6:7], v19, v17
	v_cmp_lt_f32_e32 vcc, v16, v18
	s_and_b64 s[2:3], s[2:3], s[6:7]
	s_or_b64 vcc, vcc, s[2:3]
	v_cndmask_b32_e32 v16, v16, v18, vcc
	v_cndmask_b32_e32 v17, v17, v19, vcc
	s_nop 0
	v_mov_b32_dpp v18, v16 quad_perm:[2,3,0,1] row_mask:0xf bank_mask:0xf
	v_mov_b32_dpp v19, v17 quad_perm:[2,3,0,1] row_mask:0xf bank_mask:0xf
	v_cmp_eq_f32_e64 s[2:3], v16, v18
	v_cmp_lt_i32_e64 s[6:7], v19, v17
	v_cmp_lt_f32_e32 vcc, v16, v18
	s_and_b64 s[2:3], s[2:3], s[6:7]
	s_or_b64 vcc, vcc, s[2:3]
	s_cmp_gt_i32 s36, 0
	v_cndmask_b32_e32 v16, v16, v18, vcc
	v_cndmask_b32_e32 v17, v17, v19, vcc
	s_cselect_b64 s[46:47], -1, 0
	s_and_b64 vcc, exec, s[46:47]
	v_mov_b32_dpp v18, v17 row_half_mirror row_mask:0xf bank_mask:0xf
	v_mov_b32_dpp v19, v16 row_half_mirror row_mask:0xf bank_mask:0xf
	s_cbranch_vccz .LBB280_18
; %bb.7:
	s_load_dwordx4 s[40:43], s[4:5], 0x20
	v_cmp_eq_f32_e64 s[2:3], v16, v19
	v_cmp_lt_i32_e64 s[6:7], v18, v17
	v_cmp_lt_f32_e32 vcc, v16, v19
	s_and_b64 s[2:3], s[2:3], s[6:7]
	s_or_b64 vcc, vcc, s[2:3]
	v_cndmask_b32_e32 v44, v17, v18, vcc
	v_cndmask_b32_e32 v43, v16, v19, vcc
	v_mul_lo_u32 v20, v22, s39
	v_mul_lo_u32 v18, v22, s8
	;; [unrolled: 1-line block ×3, first 2 shown]
	v_mov_b32_e32 v24, 0
	s_and_saveexec_b64 s[4:5], s[0:1]
	s_cbranch_execz .LBB280_9
; %bb.8:
	v_sub_f32_e32 v17, v43, v43
	v_mul_f32_e32 v19, 0x3fb8aa3b, v17
	s_mov_b32 s2, 0x3fb8aa3b
	v_rndne_f32_e32 v21, v19
	v_sub_f32_e32 v24, v19, v21
	v_fma_f32 v19, v17, s2, -v19
	v_fmac_f32_e32 v19, 0x32a5705f, v17
	v_add_f32_e32 v19, v24, v19
	v_exp_f32_e32 v19, v19
	v_cvt_i32_f32_e32 v21, v21
	v_cmp_le_i32_e32 vcc, s37, v44
	v_cmp_gt_i32_e64 s[2:3], s38, v44
	s_mov_b32 s6, 0xc2ce8ed0
	s_and_b64 s[2:3], vcc, s[2:3]
	v_ldexp_f32 v19, v19, v21
	v_cmp_ngt_f32_e32 vcc, s6, v17
	s_mov_b32 s6, 0x42b17218
	v_cndmask_b32_e32 v19, 0, v19, vcc
	v_mov_b32_e32 v21, 0x7f800000
	v_cmp_nlt_f32_e32 vcc, s6, v17
	v_cndmask_b32_e32 v24, v21, v19, vcc
	v_ashrrev_i32_e32 v21, 31, v20
	v_lshlrev_b64 v[46:47], 2, v[20:21]
	v_mov_b32_e32 v17, s35
	v_add_co_u32_e32 v46, vcc, s34, v46
	v_addc_co_u32_e32 v47, vcc, v17, v47, vcc
	v_subrev_u32_e32 v17, s37, v44
	v_mov_b32_e32 v19, 0x80
	s_and_b64 vcc, s[44:45], s[2:3]
	v_cndmask_b32_e32 v17, v19, v17, vcc
	v_ashrrev_i32_e32 v19, 31, v18
	global_store_dword v[46:47], v24, off
	v_lshlrev_b64 v[46:47], 2, v[18:19]
	s_waitcnt lgkmcnt(0)
	v_mov_b32_e32 v19, s41
	v_add_co_u32_e32 v46, vcc, s40, v46
	v_addc_co_u32_e32 v47, vcc, v19, v47, vcc
	global_store_dword v[46:47], v17, off
	v_ashrrev_i32_e32 v17, 31, v16
	v_lshlrev_b64 v[46:47], 2, v[16:17]
	v_mov_b32_e32 v17, s43
	v_add_co_u32_e32 v46, vcc, s42, v46
	v_addc_co_u32_e32 v47, vcc, v17, v47, vcc
	global_store_dword v[46:47], v22, off
.LBB280_9:
	s_or_b64 exec, exec, s[4:5]
	v_ashrrev_i32_e32 v19, 31, v44
	v_lshrrev_b32_e32 v17, 28, v19
	v_add_u32_e32 v17, v44, v17
	v_ashrrev_i32_e32 v17, 4, v17
	v_lshrrev_b32_e32 v21, 29, v17
	v_add_u32_e32 v21, v17, v21
	v_and_b32_e32 v21, -8, v21
	v_sub_u32_e32 v21, v17, v21
	v_cmp_eq_u32_e32 vcc, v23, v21
	s_and_saveexec_b64 s[48:49], vcc
	s_cbranch_execz .LBB280_11
; %bb.10:
	v_lshrrev_b32_e32 v19, 25, v19
	v_add_u32_e32 v19, v44, v19
	v_lshlrev_b32_e32 v17, 4, v17
	v_sub_u32_e32 v17, v44, v17
	v_ashrrev_i32_e32 v19, 7, v19
	v_lshl_add_u32 v17, v19, 4, v17
	v_mov_b32_e32 v19, 0xff800000
	v_cmp_ne_u32_e32 vcc, 14, v17
	v_cmp_ne_u32_e64 s[2:3], 13, v17
	v_cmp_ne_u32_e64 s[4:5], 12, v17
	;; [unrolled: 1-line block ×15, first 2 shown]
	v_cndmask_b32_e64 v15, v19, v15, s[30:31]
	v_cndmask_b32_e32 v14, v19, v14, vcc
	v_cndmask_b32_e64 v13, v19, v13, s[2:3]
	v_cndmask_b32_e64 v12, v19, v12, s[4:5]
	;; [unrolled: 1-line block ×14, first 2 shown]
.LBB280_11:
	s_or_b64 exec, exec, s[48:49]
	s_cmp_eq_u32 s36, 1
	s_cbranch_scc1 .LBB280_18
; %bb.12:
	s_add_i32 s50, s50, s33
	s_add_i32 s51, s36, -1
	v_add3_u32 v41, s50, v42, v41
	v_add_u32_e32 v16, 1, v16
	v_add_u32_e32 v18, 1, v18
	v_add_u32_e32 v20, 1, v20
	s_mov_b32 s50, 0x3fb8aa3b
	s_mov_b32 s52, 0xc2ce8ed0
	;; [unrolled: 1-line block ×3, first 2 shown]
	v_mov_b32_e32 v42, 0x7f800000
	v_mov_b32_e32 v44, 0x80
	;; [unrolled: 1-line block ×3, first 2 shown]
	s_branch .LBB280_14
.LBB280_13:                             ;   in Loop: Header=BB280_14 Depth=1
	s_or_b64 exec, exec, s[48:49]
	s_add_i32 s51, s51, -1
	v_add_u32_e32 v41, s33, v41
	v_add_u32_e32 v16, 1, v16
	;; [unrolled: 1-line block ×3, first 2 shown]
	s_cmp_eq_u32 s51, 0
	v_add_u32_e32 v20, 1, v20
	s_cbranch_scc1 .LBB280_18
.LBB280_14:                             ; =>This Inner Loop Header: Depth=1
	v_cmp_gt_f32_e32 vcc, v1, v0
	v_cndmask_b32_e32 v19, v0, v1, vcc
	v_cndmask_b32_e32 v17, v25, v26, vcc
	v_cmp_gt_f32_e32 vcc, v2, v19
	v_cndmask_b32_e32 v19, v19, v2, vcc
	v_cndmask_b32_e32 v17, v17, v27, vcc
	;; [unrolled: 3-line block ×15, first 2 shown]
	s_nop 0
	v_mov_b32_dpp v46, v17 quad_perm:[1,0,3,2] row_mask:0xf bank_mask:0xf
	v_mov_b32_dpp v21, v19 quad_perm:[1,0,3,2] row_mask:0xf bank_mask:0xf
	v_cmp_eq_f32_e64 s[2:3], v19, v21
	v_cmp_lt_i32_e64 s[4:5], v46, v17
	v_cmp_lt_f32_e32 vcc, v19, v21
	s_and_b64 s[2:3], s[2:3], s[4:5]
	s_or_b64 vcc, vcc, s[2:3]
	v_cndmask_b32_e32 v19, v19, v21, vcc
	v_cndmask_b32_e32 v21, v17, v46, vcc
	s_nop 0
	v_mov_b32_dpp v17, v19 quad_perm:[2,3,0,1] row_mask:0xf bank_mask:0xf
	v_mov_b32_dpp v46, v21 quad_perm:[2,3,0,1] row_mask:0xf bank_mask:0xf
	v_cmp_eq_f32_e64 s[2:3], v19, v17
	v_cmp_lt_i32_e64 s[4:5], v46, v21
	v_cmp_lt_f32_e32 vcc, v19, v17
	s_and_b64 s[2:3], s[2:3], s[4:5]
	s_or_b64 vcc, vcc, s[2:3]
	v_cndmask_b32_e32 v17, v19, v17, vcc
	v_cndmask_b32_e32 v21, v21, v46, vcc
	s_nop 0
	v_mov_b32_dpp v19, v17 row_half_mirror row_mask:0xf bank_mask:0xf
	v_mov_b32_dpp v46, v21 row_half_mirror row_mask:0xf bank_mask:0xf
	v_cmp_eq_f32_e64 s[2:3], v17, v19
	v_cmp_lt_i32_e64 s[4:5], v46, v21
	v_cmp_lt_f32_e32 vcc, v17, v19
	s_and_b64 s[2:3], s[2:3], s[4:5]
	s_or_b64 vcc, vcc, s[2:3]
	v_cndmask_b32_e32 v46, v21, v46, vcc
	s_and_saveexec_b64 s[4:5], s[0:1]
	s_cbranch_execz .LBB280_16
; %bb.15:                               ;   in Loop: Header=BB280_14 Depth=1
	v_cndmask_b32_e32 v17, v17, v19, vcc
	v_sub_f32_e32 v17, v17, v43
	v_mul_f32_e32 v19, 0x3fb8aa3b, v17
	v_fma_f32 v21, v17, s50, -v19
	v_rndne_f32_e32 v47, v19
	v_fmac_f32_e32 v21, 0x32a5705f, v17
	v_sub_f32_e32 v19, v19, v47
	v_add_f32_e32 v19, v19, v21
	v_exp_f32_e32 v19, v19
	v_cvt_i32_f32_e32 v21, v47
	v_cmp_le_i32_e32 vcc, s37, v46
	v_cmp_gt_i32_e64 s[2:3], s38, v46
	s_and_b64 s[2:3], vcc, s[2:3]
	v_ldexp_f32 v19, v19, v21
	v_cmp_ngt_f32_e32 vcc, s52, v17
	v_ashrrev_i32_e32 v21, 31, v20
	v_cndmask_b32_e32 v19, 0, v19, vcc
	v_cmp_nlt_f32_e32 vcc, s53, v17
	v_lshlrev_b64 v[48:49], 2, v[20:21]
	v_cndmask_b32_e32 v47, v42, v19, vcc
	v_mov_b32_e32 v17, s35
	v_add_co_u32_e32 v48, vcc, s34, v48
	v_addc_co_u32_e32 v49, vcc, v17, v49, vcc
	v_ashrrev_i32_e32 v19, 31, v18
	global_store_dword v[48:49], v47, off
	v_subrev_u32_e32 v17, s37, v46
	s_and_b64 vcc, s[44:45], s[2:3]
	v_lshlrev_b64 v[48:49], 2, v[18:19]
	v_cndmask_b32_e32 v17, v44, v17, vcc
	s_waitcnt lgkmcnt(0)
	v_mov_b32_e32 v19, s41
	v_add_co_u32_e32 v48, vcc, s40, v48
	v_addc_co_u32_e32 v49, vcc, v19, v49, vcc
	global_store_dword v[48:49], v17, off
	v_ashrrev_i32_e32 v17, 31, v16
	v_lshlrev_b64 v[48:49], 2, v[16:17]
	v_mov_b32_e32 v17, s43
	v_add_co_u32_e32 v48, vcc, s42, v48
	v_addc_co_u32_e32 v49, vcc, v17, v49, vcc
	v_add_f32_e32 v24, v24, v47
	global_store_dword v[48:49], v41, off
.LBB280_16:                             ;   in Loop: Header=BB280_14 Depth=1
	s_or_b64 exec, exec, s[4:5]
	v_ashrrev_i32_e32 v19, 31, v46
	v_lshrrev_b32_e32 v17, 28, v19
	v_add_u32_e32 v17, v46, v17
	v_ashrrev_i32_e32 v17, 4, v17
	v_lshrrev_b32_e32 v21, 29, v17
	v_add_u32_e32 v21, v17, v21
	v_and_b32_e32 v21, -8, v21
	v_sub_u32_e32 v21, v17, v21
	v_cmp_eq_u32_e32 vcc, v23, v21
	s_and_saveexec_b64 s[48:49], vcc
	s_cbranch_execz .LBB280_13
; %bb.17:                               ;   in Loop: Header=BB280_14 Depth=1
	v_lshrrev_b32_e32 v19, 25, v19
	v_add_u32_e32 v19, v46, v19
	v_lshlrev_b32_e32 v17, 4, v17
	v_sub_u32_e32 v17, v46, v17
	v_ashrrev_i32_e32 v19, 7, v19
	v_lshl_add_u32 v17, v19, 4, v17
	v_cmp_ne_u32_e32 vcc, 14, v17
	v_cmp_ne_u32_e64 s[2:3], 13, v17
	v_cmp_ne_u32_e64 s[4:5], 12, v17
	;; [unrolled: 1-line block ×15, first 2 shown]
	v_cndmask_b32_e64 v15, v45, v15, s[30:31]
	v_cndmask_b32_e32 v14, v45, v14, vcc
	v_cndmask_b32_e64 v13, v45, v13, s[2:3]
	v_cndmask_b32_e64 v12, v45, v12, s[4:5]
	;; [unrolled: 1-line block ×14, first 2 shown]
	s_branch .LBB280_13
.LBB280_18:
	v_cmp_neq_f32_e32 vcc, 0, v24
	s_and_b64 s[0:1], s[0:1], vcc
	s_and_b64 exec, exec, s[0:1]
	s_cbranch_execz .LBB280_29
; %bb.19:
	s_andn2_b64 vcc, exec, s[46:47]
	s_cbranch_vccnz .LBB280_29
; %bb.20:
	v_div_scale_f32 v0, s[0:1], v24, v24, 1.0
	v_rcp_f32_e32 v1, v0
	v_div_scale_f32 v2, vcc, 1.0, v24, 1.0
	s_cmp_gt_u32 s36, 3
	v_fma_f32 v3, -v0, v1, 1.0
	v_fmac_f32_e32 v1, v3, v1
	v_mul_f32_e32 v3, v2, v1
	v_fma_f32 v4, -v0, v3, v2
	v_fmac_f32_e32 v3, v4, v1
	v_fma_f32 v0, -v0, v3, v2
	v_div_fmas_f32 v0, v0, v1, v3
	v_mul_lo_u32 v2, v22, s39
	v_div_fixup_f32 v0, v0, v24, 1.0
	v_ashrrev_i32_e32 v3, 31, v2
	s_cbranch_scc0 .LBB280_24
; %bb.21:
	v_lshlrev_b64 v[4:5], 2, v[2:3]
	v_mov_b32_e32 v6, s35
	v_add_co_u32_e32 v4, vcc, s34, v4
	v_addc_co_u32_e32 v5, vcc, v5, v6, vcc
	s_and_b32 s4, s36, 0x7ffffffc
	v_add_co_u32_e32 v4, vcc, 8, v4
	v_mov_b32_e32 v1, v0
	v_addc_co_u32_e32 v5, vcc, 0, v5, vcc
	s_mov_b32 s0, s4
.LBB280_22:                             ; =>This Inner Loop Header: Depth=1
	global_load_dwordx4 v[6:9], v[4:5], off offset:-8
	s_add_i32 s0, s0, -4
	s_cmp_lg_u32 s0, 0
	s_waitcnt vmcnt(0)
	v_pk_mul_f32 v[6:7], v[0:1], v[6:7]
	v_pk_mul_f32 v[8:9], v[0:1], v[8:9]
	global_store_dwordx4 v[4:5], v[6:9], off offset:-8
	v_add_co_u32_e32 v4, vcc, 16, v4
	v_addc_co_u32_e32 v5, vcc, 0, v5, vcc
	s_cbranch_scc1 .LBB280_22
; %bb.23:
	s_cmp_lg_u32 s4, s36
	s_cselect_b64 s[0:1], -1, 0
	s_branch .LBB280_26
.LBB280_24:
	s_mov_b64 s[0:1], 0
                                        ; implicit-def: $sgpr4
	s_cbranch_execz .LBB280_26
; %bb.25:
	s_mov_b64 s[0:1], -1
	s_mov_b32 s4, 0
.LBB280_26:
	s_andn2_b64 vcc, exec, s[0:1]
	s_cbranch_vccnz .LBB280_29
; %bb.27:
	v_add_co_u32_e32 v2, vcc, s4, v2
	v_addc_co_u32_e32 v3, vcc, 0, v3, vcc
	v_lshlrev_b64 v[2:3], 2, v[2:3]
	v_mov_b32_e32 v1, s35
	v_add_co_u32_e32 v2, vcc, s34, v2
	s_sub_i32 s0, s36, s4
	v_addc_co_u32_e32 v3, vcc, v1, v3, vcc
.LBB280_28:                             ; =>This Inner Loop Header: Depth=1
	global_load_dword v1, v[2:3], off
	s_add_i32 s0, s0, -1
	s_cmp_lg_u32 s0, 0
	s_waitcnt vmcnt(0)
	v_mul_f32_e32 v1, v0, v1
	global_store_dword v[2:3], v1, off
	v_add_co_u32_e32 v2, vcc, 4, v2
	v_addc_co_u32_e32 v3, vcc, 0, v3, vcc
	s_cbranch_scc1 .LBB280_28
.LBB280_29:
	s_endpgm
	.section	.rodata,"a",@progbits
	.p2align	6, 0x0
	.amdhsa_kernel _ZN4vllm3moe17topkGatingSoftmaxItLi16ELi128ELi8ELi32ELb1ELi1ELNS0_23SharedExpertScoringFuncE1EEEvPKT_PKbPfiPiS9_iiiiii
		.amdhsa_group_segment_fixed_size 0
		.amdhsa_private_segment_fixed_size 0
		.amdhsa_kernarg_size 72
		.amdhsa_user_sgpr_count 6
		.amdhsa_user_sgpr_private_segment_buffer 1
		.amdhsa_user_sgpr_dispatch_ptr 0
		.amdhsa_user_sgpr_queue_ptr 0
		.amdhsa_user_sgpr_kernarg_segment_ptr 1
		.amdhsa_user_sgpr_dispatch_id 0
		.amdhsa_user_sgpr_flat_scratch_init 0
		.amdhsa_user_sgpr_kernarg_preload_length 0
		.amdhsa_user_sgpr_kernarg_preload_offset 0
		.amdhsa_user_sgpr_private_segment_size 0
		.amdhsa_uses_dynamic_stack 0
		.amdhsa_system_sgpr_private_segment_wavefront_offset 0
		.amdhsa_system_sgpr_workgroup_id_x 1
		.amdhsa_system_sgpr_workgroup_id_y 0
		.amdhsa_system_sgpr_workgroup_id_z 0
		.amdhsa_system_sgpr_workgroup_info 0
		.amdhsa_system_vgpr_workitem_id 1
		.amdhsa_next_free_vgpr 50
		.amdhsa_next_free_sgpr 54
		.amdhsa_accum_offset 52
		.amdhsa_reserve_vcc 1
		.amdhsa_reserve_flat_scratch 0
		.amdhsa_float_round_mode_32 0
		.amdhsa_float_round_mode_16_64 0
		.amdhsa_float_denorm_mode_32 3
		.amdhsa_float_denorm_mode_16_64 3
		.amdhsa_dx10_clamp 1
		.amdhsa_ieee_mode 1
		.amdhsa_fp16_overflow 0
		.amdhsa_tg_split 0
		.amdhsa_exception_fp_ieee_invalid_op 0
		.amdhsa_exception_fp_denorm_src 0
		.amdhsa_exception_fp_ieee_div_zero 0
		.amdhsa_exception_fp_ieee_overflow 0
		.amdhsa_exception_fp_ieee_underflow 0
		.amdhsa_exception_fp_ieee_inexact 0
		.amdhsa_exception_int_div_zero 0
	.end_amdhsa_kernel
	.section	.text._ZN4vllm3moe17topkGatingSoftmaxItLi16ELi128ELi8ELi32ELb1ELi1ELNS0_23SharedExpertScoringFuncE1EEEvPKT_PKbPfiPiS9_iiiiii,"axG",@progbits,_ZN4vllm3moe17topkGatingSoftmaxItLi16ELi128ELi8ELi32ELb1ELi1ELNS0_23SharedExpertScoringFuncE1EEEvPKT_PKbPfiPiS9_iiiiii,comdat
.Lfunc_end280:
	.size	_ZN4vllm3moe17topkGatingSoftmaxItLi16ELi128ELi8ELi32ELb1ELi1ELNS0_23SharedExpertScoringFuncE1EEEvPKT_PKbPfiPiS9_iiiiii, .Lfunc_end280-_ZN4vllm3moe17topkGatingSoftmaxItLi16ELi128ELi8ELi32ELb1ELi1ELNS0_23SharedExpertScoringFuncE1EEEvPKT_PKbPfiPiS9_iiiiii
                                        ; -- End function
	.section	.AMDGPU.csdata,"",@progbits
; Kernel info:
; codeLenInByte = 3000
; NumSgprs: 58
; NumVgprs: 50
; NumAgprs: 0
; TotalNumVgprs: 50
; ScratchSize: 0
; MemoryBound: 0
; FloatMode: 240
; IeeeMode: 1
; LDSByteSize: 0 bytes/workgroup (compile time only)
; SGPRBlocks: 7
; VGPRBlocks: 6
; NumSGPRsForWavesPerEU: 58
; NumVGPRsForWavesPerEU: 50
; AccumOffset: 52
; Occupancy: 8
; WaveLimiterHint : 0
; COMPUTE_PGM_RSRC2:SCRATCH_EN: 0
; COMPUTE_PGM_RSRC2:USER_SGPR: 6
; COMPUTE_PGM_RSRC2:TRAP_HANDLER: 0
; COMPUTE_PGM_RSRC2:TGID_X_EN: 1
; COMPUTE_PGM_RSRC2:TGID_Y_EN: 0
; COMPUTE_PGM_RSRC2:TGID_Z_EN: 0
; COMPUTE_PGM_RSRC2:TIDIG_COMP_CNT: 1
; COMPUTE_PGM_RSRC3_GFX90A:ACCUM_OFFSET: 12
; COMPUTE_PGM_RSRC3_GFX90A:TG_SPLIT: 0
	.section	.text._ZN4vllm3moe17topkGatingSoftmaxItLi16ELi128ELi8ELi32ELb0ELi1ELNS0_23SharedExpertScoringFuncE1EEEvPKT_PKbPfiPiS9_iiiiii,"axG",@progbits,_ZN4vllm3moe17topkGatingSoftmaxItLi16ELi128ELi8ELi32ELb0ELi1ELNS0_23SharedExpertScoringFuncE1EEEvPKT_PKbPfiPiS9_iiiiii,comdat
	.protected	_ZN4vllm3moe17topkGatingSoftmaxItLi16ELi128ELi8ELi32ELb0ELi1ELNS0_23SharedExpertScoringFuncE1EEEvPKT_PKbPfiPiS9_iiiiii ; -- Begin function _ZN4vllm3moe17topkGatingSoftmaxItLi16ELi128ELi8ELi32ELb0ELi1ELNS0_23SharedExpertScoringFuncE1EEEvPKT_PKbPfiPiS9_iiiiii
	.globl	_ZN4vllm3moe17topkGatingSoftmaxItLi16ELi128ELi8ELi32ELb0ELi1ELNS0_23SharedExpertScoringFuncE1EEEvPKT_PKbPfiPiS9_iiiiii
	.p2align	8
	.type	_ZN4vllm3moe17topkGatingSoftmaxItLi16ELi128ELi8ELi32ELb0ELi1ELNS0_23SharedExpertScoringFuncE1EEEvPKT_PKbPfiPiS9_iiiiii,@function
_ZN4vllm3moe17topkGatingSoftmaxItLi16ELi128ELi8ELi32ELb0ELi1ELNS0_23SharedExpertScoringFuncE1EEEvPKT_PKbPfiPiS9_iiiiii: ; @_ZN4vllm3moe17topkGatingSoftmaxItLi16ELi128ELi8ELi32ELb0ELi1ELNS0_23SharedExpertScoringFuncE1EEEvPKT_PKbPfiPiS9_iiiiii
; %bb.0:
	s_load_dword s33, s[4:5], 0x18
	v_bfe_u32 v1, v0, 10, 10
	v_and_b32_e32 v2, 0x3ff, v0
	s_lshl_b32 s50, s6, 6
	v_lshlrev_b32_e32 v42, 3, v1
	v_lshrrev_b32_e32 v43, 3, v2
	v_add3_u32 v22, s50, v42, v43
	s_waitcnt lgkmcnt(0)
	v_cmp_gt_i32_e32 vcc, s33, v22
	s_and_saveexec_b64 s[0:1], vcc
	s_cbranch_execz .LBB281_31
; %bb.1:
	s_load_dwordx4 s[0:3], s[4:5], 0x0
	s_load_dwordx2 s[34:35], s[4:5], 0x10
	s_waitcnt lgkmcnt(0)
	s_cmp_eq_u64 s[2:3], 0
	s_cbranch_scc1 .LBB281_3
; %bb.2:
	v_ashrrev_i32_e32 v1, 31, v22
	v_mov_b32_e32 v3, s3
	v_add_co_u32_e32 v0, vcc, s2, v22
	v_addc_co_u32_e32 v1, vcc, v3, v1, vcc
	global_load_ubyte v0, v[0:1], off
	s_waitcnt vmcnt(0)
	v_and_b32_e32 v0, 1, v0
	v_cmp_eq_u32_e32 vcc, 1, v0
	s_xor_b64 s[2:3], vcc, -1
	s_orn2_b64 s[46:47], s[2:3], exec
	s_branch .LBB281_4
.LBB281_3:
	s_mov_b64 s[46:47], -1
.LBB281_4:
	s_load_dwordx2 s[8:9], s[4:5], 0x40
	s_load_dwordx4 s[36:39], s[4:5], 0x30
	v_mov_b32_e32 v3, s1
	v_and_b32_e32 v25, 7, v2
	v_lshlrev_b32_e32 v2, 5, v25
	s_waitcnt lgkmcnt(0)
	v_mul_lo_u32 v0, v22, s9
	v_ashrrev_i32_e32 v1, 31, v0
	v_lshlrev_b64 v[0:1], 1, v[0:1]
	v_add_co_u32_e32 v0, vcc, s0, v0
	v_addc_co_u32_e32 v1, vcc, v3, v1, vcc
	v_add_co_u32_e32 v2, vcc, v0, v2
	v_addc_co_u32_e32 v3, vcc, 0, v1, vcc
	global_load_dwordx4 v[12:15], v[2:3], off offset:16
	global_load_dwordx4 v[4:7], v[2:3], off
	v_lshlrev_b32_e32 v26, 4, v25
	v_mov_b32_e32 v23, 0
	v_cmp_eq_u32_e64 s[0:1], 0, v25
	s_and_saveexec_b64 s[2:3], s[0:1]
	s_cbranch_execz .LBB281_6
; %bb.5:
	global_load_ushort v0, v[0:1], off offset:256
	s_mov_b32 s6, 0xbfb8aa3b
	s_mov_b32 s7, 0x42ce8ed0
	;; [unrolled: 1-line block ×3, first 2 shown]
	v_mov_b32_e32 v3, 0x7f800000
	v_mov_b32_e32 v10, s35
	s_waitcnt vmcnt(0)
	v_cvt_f32_u32_e32 v2, v0
	v_mul_lo_u32 v0, v22, s39
	v_add_u32_e32 v0, s36, v0
	v_mul_f32_e32 v1, 0xbfb8aa3b, v2
	v_rndne_f32_e32 v8, v1
	v_fma_f32 v9, v2, s6, -v1
	v_sub_f32_e32 v1, v1, v8
	v_fmac_f32_e32 v9, 0xb2a5705f, v2
	v_add_f32_e32 v1, v1, v9
	v_cvt_i32_f32_e32 v8, v8
	v_exp_f32_e32 v9, v1
	v_cmp_nlt_f32_e32 vcc, s7, v2
	v_ashrrev_i32_e32 v1, 31, v0
	v_lshlrev_b64 v[0:1], 2, v[0:1]
	v_ldexp_f32 v8, v9, v8
	v_cndmask_b32_e32 v8, 0, v8, vcc
	v_cmp_ngt_f32_e32 vcc, s9, v2
	v_cndmask_b32_e32 v2, v3, v8, vcc
	v_add_f32_e32 v2, 1.0, v2
	v_div_scale_f32 v3, s[6:7], v2, v2, 1.0
	v_rcp_f32_e32 v8, v3
	v_div_scale_f32 v9, vcc, 1.0, v2, 1.0
	v_fma_f32 v11, -v3, v8, 1.0
	v_fmac_f32_e32 v8, v11, v8
	v_mul_f32_e32 v11, v9, v8
	v_fma_f32 v16, -v3, v11, v9
	v_fmac_f32_e32 v11, v16, v8
	v_fma_f32 v3, -v3, v11, v9
	v_div_fmas_f32 v3, v3, v8, v11
	v_add_co_u32_e32 v0, vcc, s34, v0
	v_div_fixup_f32 v2, v3, v2, 1.0
	v_addc_co_u32_e32 v1, vcc, v10, v1, vcc
	global_store_dword v[0:1], v2, off
.LBB281_6:
	s_or_b64 exec, exec, s[2:3]
	s_waitcnt vmcnt(0)
	v_cvt_f32_u32_sdwa v1, v4 dst_sel:DWORD dst_unused:UNUSED_PAD src0_sel:WORD_1
	v_cvt_f32_u32_sdwa v0, v4 dst_sel:DWORD dst_unused:UNUSED_PAD src0_sel:WORD_0
	v_cvt_f32_u32_sdwa v2, v5 dst_sel:DWORD dst_unused:UNUSED_PAD src0_sel:WORD_0
	v_or_b32_e32 v27, 1, v26
	v_or_b32_e32 v28, 2, v26
	v_cmp_lt_f32_e32 vcc, v0, v1
	v_cndmask_b32_e32 v4, v0, v1, vcc
	v_cndmask_b32_e32 v3, v26, v27, vcc
	v_cmp_lt_f32_e32 vcc, v4, v2
	v_cndmask_b32_e32 v8, v3, v28, vcc
	v_cvt_f32_u32_sdwa v3, v5 dst_sel:DWORD dst_unused:UNUSED_PAD src0_sel:WORD_1
	v_cndmask_b32_e32 v4, v4, v2, vcc
	v_or_b32_e32 v29, 3, v26
	v_or_b32_e32 v30, 4, v26
	v_cmp_lt_f32_e32 vcc, v4, v3
	v_cndmask_b32_e32 v5, v8, v29, vcc
	v_cndmask_b32_e32 v8, v4, v3, vcc
	v_cvt_f32_u32_sdwa v4, v6 dst_sel:DWORD dst_unused:UNUSED_PAD src0_sel:WORD_0
	v_or_b32_e32 v31, 5, v26
	v_or_b32_e32 v32, 6, v26
	;; [unrolled: 1-line block ×3, first 2 shown]
	v_cmp_lt_f32_e32 vcc, v8, v4
	v_cndmask_b32_e32 v9, v5, v30, vcc
	v_cvt_f32_u32_sdwa v5, v6 dst_sel:DWORD dst_unused:UNUSED_PAD src0_sel:WORD_1
	v_cvt_f32_u32_sdwa v6, v7 dst_sel:DWORD dst_unused:UNUSED_PAD src0_sel:WORD_0
	v_cndmask_b32_e32 v8, v8, v4, vcc
	v_cvt_f32_u32_sdwa v7, v7 dst_sel:DWORD dst_unused:UNUSED_PAD src0_sel:WORD_1
	v_cmp_lt_f32_e32 vcc, v8, v5
	v_cndmask_b32_e32 v8, v8, v5, vcc
	v_cndmask_b32_e32 v9, v9, v31, vcc
	v_cmp_lt_f32_e32 vcc, v8, v6
	v_cndmask_b32_e32 v8, v8, v6, vcc
	v_cndmask_b32_e32 v9, v9, v32, vcc
	v_cmp_lt_f32_e32 vcc, v8, v7
	v_cndmask_b32_e32 v10, v8, v7, vcc
	v_cvt_f32_u32_sdwa v8, v12 dst_sel:DWORD dst_unused:UNUSED_PAD src0_sel:WORD_0
	v_cndmask_b32_e32 v9, v9, v33, vcc
	v_or_b32_e32 v34, 8, v26
	v_or_b32_e32 v35, 9, v26
	v_cmp_lt_f32_e32 vcc, v10, v8
	v_cndmask_b32_e32 v11, v9, v34, vcc
	v_cvt_f32_u32_sdwa v9, v12 dst_sel:DWORD dst_unused:UNUSED_PAD src0_sel:WORD_1
	v_cndmask_b32_e32 v10, v10, v8, vcc
	v_or_b32_e32 v36, 10, v26
	v_or_b32_e32 v37, 11, v26
	v_cmp_lt_f32_e32 vcc, v10, v9
	v_cndmask_b32_e32 v12, v10, v9, vcc
	v_cvt_f32_u32_sdwa v10, v13 dst_sel:DWORD dst_unused:UNUSED_PAD src0_sel:WORD_0
	v_cndmask_b32_e32 v11, v11, v35, vcc
	v_or_b32_e32 v38, 12, v26
	v_or_b32_e32 v39, 13, v26
	v_cmp_lt_f32_e32 vcc, v12, v10
	v_cndmask_b32_e32 v16, v11, v36, vcc
	v_cvt_f32_u32_sdwa v11, v13 dst_sel:DWORD dst_unused:UNUSED_PAD src0_sel:WORD_1
	v_cndmask_b32_e32 v12, v12, v10, vcc
	v_or_b32_e32 v40, 14, v26
	v_or_b32_e32 v41, 15, v26
	v_cmp_lt_f32_e32 vcc, v12, v11
	v_cndmask_b32_e32 v13, v16, v37, vcc
	v_cndmask_b32_e32 v16, v12, v11, vcc
	v_cvt_f32_u32_sdwa v12, v14 dst_sel:DWORD dst_unused:UNUSED_PAD src0_sel:WORD_0
	v_cmp_lt_f32_e32 vcc, v16, v12
	v_cndmask_b32_e32 v17, v13, v38, vcc
	v_cvt_f32_u32_sdwa v13, v14 dst_sel:DWORD dst_unused:UNUSED_PAD src0_sel:WORD_1
	v_cvt_f32_u32_sdwa v14, v15 dst_sel:DWORD dst_unused:UNUSED_PAD src0_sel:WORD_0
	v_cndmask_b32_e32 v16, v16, v12, vcc
	v_cvt_f32_u32_sdwa v15, v15 dst_sel:DWORD dst_unused:UNUSED_PAD src0_sel:WORD_1
	v_cmp_lt_f32_e32 vcc, v16, v13
	v_cndmask_b32_e32 v16, v16, v13, vcc
	v_cndmask_b32_e32 v17, v17, v39, vcc
	v_cmp_lt_f32_e32 vcc, v16, v14
	v_cndmask_b32_e32 v16, v16, v14, vcc
	v_cndmask_b32_e32 v17, v17, v40, vcc
	;; [unrolled: 3-line block ×3, first 2 shown]
	s_nop 0
	v_mov_b32_dpp v19, v17 quad_perm:[1,0,3,2] row_mask:0xf bank_mask:0xf
	v_mov_b32_dpp v18, v16 quad_perm:[1,0,3,2] row_mask:0xf bank_mask:0xf
	v_cmp_eq_f32_e64 s[2:3], v16, v18
	v_cmp_lt_i32_e64 s[6:7], v19, v17
	v_cmp_lt_f32_e32 vcc, v16, v18
	s_and_b64 s[2:3], s[2:3], s[6:7]
	s_or_b64 vcc, vcc, s[2:3]
	v_cndmask_b32_e32 v16, v16, v18, vcc
	v_cndmask_b32_e32 v17, v17, v19, vcc
	s_nop 0
	v_mov_b32_dpp v18, v16 quad_perm:[2,3,0,1] row_mask:0xf bank_mask:0xf
	v_mov_b32_dpp v19, v17 quad_perm:[2,3,0,1] row_mask:0xf bank_mask:0xf
	v_cmp_eq_f32_e64 s[2:3], v16, v18
	v_cmp_lt_i32_e64 s[6:7], v19, v17
	v_cmp_lt_f32_e32 vcc, v16, v18
	s_and_b64 s[2:3], s[2:3], s[6:7]
	s_or_b64 vcc, vcc, s[2:3]
	v_cndmask_b32_e32 v18, v16, v18, vcc
	v_cndmask_b32_e32 v16, v17, v19, vcc
	s_nop 0
	v_mov_b32_dpp v19, v18 row_half_mirror row_mask:0xf bank_mask:0xf
	v_mov_b32_dpp v17, v16 row_half_mirror row_mask:0xf bank_mask:0xf
	v_cmp_eq_f32_e64 s[2:3], v18, v19
	v_cmp_lt_i32_e64 s[6:7], v17, v16
	v_cmp_lt_f32_e32 vcc, v18, v19
	s_and_b64 s[2:3], s[2:3], s[6:7]
	s_or_b64 s[2:3], vcc, s[2:3]
	s_cmp_gt_i32 s36, 0
	s_cselect_b64 s[44:45], -1, 0
	v_cndmask_b32_e64 v24, v18, v19, s[2:3]
	s_and_b64 vcc, exec, s[44:45]
	s_cbranch_vccz .LBB281_18
; %bb.7:
	s_load_dwordx4 s[40:43], s[4:5], 0x20
	v_cndmask_b32_e64 v44, v16, v17, s[2:3]
	v_mul_lo_u32 v20, v22, s39
	v_mul_lo_u32 v18, v22, s8
	;; [unrolled: 1-line block ×3, first 2 shown]
	v_mov_b32_e32 v23, 0
	s_and_saveexec_b64 s[4:5], s[0:1]
	s_cbranch_execz .LBB281_9
; %bb.8:
	v_sub_f32_e32 v17, v24, v24
	v_mul_f32_e32 v19, 0x3fb8aa3b, v17
	s_mov_b32 s2, 0x3fb8aa3b
	v_rndne_f32_e32 v21, v19
	v_sub_f32_e32 v23, v19, v21
	v_fma_f32 v19, v17, s2, -v19
	v_fmac_f32_e32 v19, 0x32a5705f, v17
	v_add_f32_e32 v19, v23, v19
	v_exp_f32_e32 v19, v19
	v_cvt_i32_f32_e32 v21, v21
	v_cmp_le_i32_e32 vcc, s37, v44
	v_cmp_gt_i32_e64 s[2:3], s38, v44
	s_mov_b32 s6, 0xc2ce8ed0
	s_and_b64 s[2:3], vcc, s[2:3]
	v_ldexp_f32 v19, v19, v21
	v_cmp_ngt_f32_e32 vcc, s6, v17
	s_mov_b32 s6, 0x42b17218
	v_cndmask_b32_e32 v19, 0, v19, vcc
	v_mov_b32_e32 v21, 0x7f800000
	v_cmp_nlt_f32_e32 vcc, s6, v17
	v_cndmask_b32_e32 v23, v21, v19, vcc
	v_ashrrev_i32_e32 v21, 31, v20
	v_lshlrev_b64 v[46:47], 2, v[20:21]
	v_mov_b32_e32 v17, s35
	v_add_co_u32_e32 v46, vcc, s34, v46
	v_addc_co_u32_e32 v47, vcc, v17, v47, vcc
	v_subrev_u32_e32 v17, s37, v44
	v_mov_b32_e32 v19, 0x80
	s_and_b64 vcc, s[46:47], s[2:3]
	v_cndmask_b32_e32 v17, v19, v17, vcc
	v_ashrrev_i32_e32 v19, 31, v18
	global_store_dword v[46:47], v23, off
	v_lshlrev_b64 v[46:47], 2, v[18:19]
	s_waitcnt lgkmcnt(0)
	v_mov_b32_e32 v19, s41
	v_add_co_u32_e32 v46, vcc, s40, v46
	v_addc_co_u32_e32 v47, vcc, v19, v47, vcc
	global_store_dword v[46:47], v17, off
	v_ashrrev_i32_e32 v17, 31, v16
	v_lshlrev_b64 v[46:47], 2, v[16:17]
	v_mov_b32_e32 v17, s43
	v_add_co_u32_e32 v46, vcc, s42, v46
	v_addc_co_u32_e32 v47, vcc, v17, v47, vcc
	global_store_dword v[46:47], v22, off
.LBB281_9:
	s_or_b64 exec, exec, s[4:5]
	v_ashrrev_i32_e32 v19, 31, v44
	v_lshrrev_b32_e32 v17, 28, v19
	v_add_u32_e32 v17, v44, v17
	v_ashrrev_i32_e32 v17, 4, v17
	v_lshrrev_b32_e32 v21, 29, v17
	v_add_u32_e32 v21, v17, v21
	v_and_b32_e32 v21, -8, v21
	v_sub_u32_e32 v21, v17, v21
	v_cmp_eq_u32_e32 vcc, v25, v21
	s_and_saveexec_b64 s[48:49], vcc
	s_cbranch_execz .LBB281_11
; %bb.10:
	v_lshrrev_b32_e32 v19, 25, v19
	v_add_u32_e32 v19, v44, v19
	v_lshlrev_b32_e32 v17, 4, v17
	v_sub_u32_e32 v17, v44, v17
	v_ashrrev_i32_e32 v19, 7, v19
	v_lshl_add_u32 v17, v19, 4, v17
	v_mov_b32_e32 v19, 0xff800000
	v_cmp_ne_u32_e32 vcc, 14, v17
	v_cmp_ne_u32_e64 s[2:3], 13, v17
	v_cmp_ne_u32_e64 s[4:5], 12, v17
	;; [unrolled: 1-line block ×15, first 2 shown]
	v_cndmask_b32_e64 v15, v19, v15, s[30:31]
	v_cndmask_b32_e32 v14, v19, v14, vcc
	v_cndmask_b32_e64 v13, v19, v13, s[2:3]
	v_cndmask_b32_e64 v12, v19, v12, s[4:5]
	;; [unrolled: 1-line block ×14, first 2 shown]
.LBB281_11:
	s_or_b64 exec, exec, s[48:49]
	s_cmp_eq_u32 s36, 1
	s_cbranch_scc1 .LBB281_18
; %bb.12:
	s_add_i32 s50, s50, s33
	s_add_i32 s51, s36, -1
	v_add3_u32 v42, s50, v43, v42
	v_add_u32_e32 v16, 1, v16
	v_add_u32_e32 v18, 1, v18
	v_add_u32_e32 v20, 1, v20
	s_mov_b32 s50, 0x3fb8aa3b
	s_mov_b32 s52, 0xc2ce8ed0
	;; [unrolled: 1-line block ×3, first 2 shown]
	v_mov_b32_e32 v43, 0x7f800000
	v_mov_b32_e32 v44, 0x80
	;; [unrolled: 1-line block ×3, first 2 shown]
	s_branch .LBB281_14
.LBB281_13:                             ;   in Loop: Header=BB281_14 Depth=1
	s_or_b64 exec, exec, s[48:49]
	s_add_i32 s51, s51, -1
	v_add_u32_e32 v42, s33, v42
	v_add_u32_e32 v16, 1, v16
	;; [unrolled: 1-line block ×3, first 2 shown]
	s_cmp_eq_u32 s51, 0
	v_add_u32_e32 v20, 1, v20
	s_cbranch_scc1 .LBB281_18
.LBB281_14:                             ; =>This Inner Loop Header: Depth=1
	v_cmp_gt_f32_e32 vcc, v1, v0
	v_cndmask_b32_e32 v19, v0, v1, vcc
	v_cndmask_b32_e32 v17, v26, v27, vcc
	v_cmp_gt_f32_e32 vcc, v2, v19
	v_cndmask_b32_e32 v19, v19, v2, vcc
	v_cndmask_b32_e32 v17, v17, v28, vcc
	v_cmp_gt_f32_e32 vcc, v3, v19
	v_cndmask_b32_e32 v19, v19, v3, vcc
	v_cndmask_b32_e32 v17, v17, v29, vcc
	v_cmp_gt_f32_e32 vcc, v4, v19
	v_cndmask_b32_e32 v19, v19, v4, vcc
	v_cndmask_b32_e32 v17, v17, v30, vcc
	v_cmp_gt_f32_e32 vcc, v5, v19
	v_cndmask_b32_e32 v19, v19, v5, vcc
	v_cndmask_b32_e32 v17, v17, v31, vcc
	v_cmp_gt_f32_e32 vcc, v6, v19
	v_cndmask_b32_e32 v19, v19, v6, vcc
	v_cndmask_b32_e32 v17, v17, v32, vcc
	v_cmp_gt_f32_e32 vcc, v7, v19
	v_cndmask_b32_e32 v19, v19, v7, vcc
	v_cndmask_b32_e32 v17, v17, v33, vcc
	v_cmp_gt_f32_e32 vcc, v8, v19
	v_cndmask_b32_e32 v19, v19, v8, vcc
	v_cndmask_b32_e32 v17, v17, v34, vcc
	v_cmp_gt_f32_e32 vcc, v9, v19
	v_cndmask_b32_e32 v19, v19, v9, vcc
	v_cndmask_b32_e32 v17, v17, v35, vcc
	v_cmp_gt_f32_e32 vcc, v10, v19
	v_cndmask_b32_e32 v19, v19, v10, vcc
	v_cndmask_b32_e32 v17, v17, v36, vcc
	v_cmp_gt_f32_e32 vcc, v11, v19
	v_cndmask_b32_e32 v19, v19, v11, vcc
	v_cndmask_b32_e32 v17, v17, v37, vcc
	v_cmp_gt_f32_e32 vcc, v12, v19
	v_cndmask_b32_e32 v19, v19, v12, vcc
	v_cndmask_b32_e32 v17, v17, v38, vcc
	v_cmp_gt_f32_e32 vcc, v13, v19
	v_cndmask_b32_e32 v19, v19, v13, vcc
	v_cndmask_b32_e32 v17, v17, v39, vcc
	v_cmp_gt_f32_e32 vcc, v14, v19
	v_cndmask_b32_e32 v19, v19, v14, vcc
	v_cndmask_b32_e32 v17, v17, v40, vcc
	v_cmp_gt_f32_e32 vcc, v15, v19
	v_cndmask_b32_e32 v17, v17, v41, vcc
	v_cndmask_b32_e32 v19, v19, v15, vcc
	s_nop 0
	v_mov_b32_dpp v46, v17 quad_perm:[1,0,3,2] row_mask:0xf bank_mask:0xf
	v_mov_b32_dpp v21, v19 quad_perm:[1,0,3,2] row_mask:0xf bank_mask:0xf
	v_cmp_eq_f32_e64 s[2:3], v19, v21
	v_cmp_lt_i32_e64 s[4:5], v46, v17
	v_cmp_lt_f32_e32 vcc, v19, v21
	s_and_b64 s[2:3], s[2:3], s[4:5]
	s_or_b64 vcc, vcc, s[2:3]
	v_cndmask_b32_e32 v19, v19, v21, vcc
	v_cndmask_b32_e32 v21, v17, v46, vcc
	s_nop 0
	v_mov_b32_dpp v17, v19 quad_perm:[2,3,0,1] row_mask:0xf bank_mask:0xf
	v_mov_b32_dpp v46, v21 quad_perm:[2,3,0,1] row_mask:0xf bank_mask:0xf
	v_cmp_eq_f32_e64 s[2:3], v19, v17
	v_cmp_lt_i32_e64 s[4:5], v46, v21
	v_cmp_lt_f32_e32 vcc, v19, v17
	s_and_b64 s[2:3], s[2:3], s[4:5]
	s_or_b64 vcc, vcc, s[2:3]
	v_cndmask_b32_e32 v17, v19, v17, vcc
	v_cndmask_b32_e32 v21, v21, v46, vcc
	s_nop 0
	v_mov_b32_dpp v19, v17 row_half_mirror row_mask:0xf bank_mask:0xf
	v_mov_b32_dpp v46, v21 row_half_mirror row_mask:0xf bank_mask:0xf
	v_cmp_eq_f32_e64 s[2:3], v17, v19
	v_cmp_lt_i32_e64 s[4:5], v46, v21
	v_cmp_lt_f32_e32 vcc, v17, v19
	s_and_b64 s[2:3], s[2:3], s[4:5]
	s_or_b64 vcc, vcc, s[2:3]
	v_cndmask_b32_e32 v46, v21, v46, vcc
	s_and_saveexec_b64 s[4:5], s[0:1]
	s_cbranch_execz .LBB281_16
; %bb.15:                               ;   in Loop: Header=BB281_14 Depth=1
	v_cndmask_b32_e32 v17, v17, v19, vcc
	v_sub_f32_e32 v17, v17, v24
	v_mul_f32_e32 v19, 0x3fb8aa3b, v17
	v_fma_f32 v21, v17, s50, -v19
	v_rndne_f32_e32 v47, v19
	v_fmac_f32_e32 v21, 0x32a5705f, v17
	v_sub_f32_e32 v19, v19, v47
	v_add_f32_e32 v19, v19, v21
	v_exp_f32_e32 v19, v19
	v_cvt_i32_f32_e32 v21, v47
	v_cmp_le_i32_e32 vcc, s37, v46
	v_cmp_gt_i32_e64 s[2:3], s38, v46
	s_and_b64 s[2:3], vcc, s[2:3]
	v_ldexp_f32 v19, v19, v21
	v_cmp_ngt_f32_e32 vcc, s52, v17
	v_ashrrev_i32_e32 v21, 31, v20
	v_cndmask_b32_e32 v19, 0, v19, vcc
	v_cmp_nlt_f32_e32 vcc, s53, v17
	v_lshlrev_b64 v[48:49], 2, v[20:21]
	v_cndmask_b32_e32 v47, v43, v19, vcc
	v_mov_b32_e32 v17, s35
	v_add_co_u32_e32 v48, vcc, s34, v48
	v_addc_co_u32_e32 v49, vcc, v17, v49, vcc
	v_ashrrev_i32_e32 v19, 31, v18
	global_store_dword v[48:49], v47, off
	v_subrev_u32_e32 v17, s37, v46
	s_and_b64 vcc, s[46:47], s[2:3]
	v_lshlrev_b64 v[48:49], 2, v[18:19]
	v_cndmask_b32_e32 v17, v44, v17, vcc
	s_waitcnt lgkmcnt(0)
	v_mov_b32_e32 v19, s41
	v_add_co_u32_e32 v48, vcc, s40, v48
	v_addc_co_u32_e32 v49, vcc, v19, v49, vcc
	global_store_dword v[48:49], v17, off
	v_ashrrev_i32_e32 v17, 31, v16
	v_lshlrev_b64 v[48:49], 2, v[16:17]
	v_mov_b32_e32 v17, s43
	v_add_co_u32_e32 v48, vcc, s42, v48
	v_addc_co_u32_e32 v49, vcc, v17, v49, vcc
	v_add_f32_e32 v23, v23, v47
	global_store_dword v[48:49], v42, off
.LBB281_16:                             ;   in Loop: Header=BB281_14 Depth=1
	s_or_b64 exec, exec, s[4:5]
	v_ashrrev_i32_e32 v19, 31, v46
	v_lshrrev_b32_e32 v17, 28, v19
	v_add_u32_e32 v17, v46, v17
	v_ashrrev_i32_e32 v17, 4, v17
	v_lshrrev_b32_e32 v21, 29, v17
	v_add_u32_e32 v21, v17, v21
	v_and_b32_e32 v21, -8, v21
	v_sub_u32_e32 v21, v17, v21
	v_cmp_eq_u32_e32 vcc, v25, v21
	s_and_saveexec_b64 s[48:49], vcc
	s_cbranch_execz .LBB281_13
; %bb.17:                               ;   in Loop: Header=BB281_14 Depth=1
	v_lshrrev_b32_e32 v19, 25, v19
	v_add_u32_e32 v19, v46, v19
	v_lshlrev_b32_e32 v17, 4, v17
	v_sub_u32_e32 v17, v46, v17
	v_ashrrev_i32_e32 v19, 7, v19
	v_lshl_add_u32 v17, v19, 4, v17
	v_cmp_ne_u32_e32 vcc, 14, v17
	v_cmp_ne_u32_e64 s[2:3], 13, v17
	v_cmp_ne_u32_e64 s[4:5], 12, v17
	;; [unrolled: 1-line block ×15, first 2 shown]
	v_cndmask_b32_e64 v15, v45, v15, s[30:31]
	v_cndmask_b32_e32 v14, v45, v14, vcc
	v_cndmask_b32_e64 v13, v45, v13, s[2:3]
	v_cndmask_b32_e64 v12, v45, v12, s[4:5]
	;; [unrolled: 1-line block ×14, first 2 shown]
	s_branch .LBB281_13
.LBB281_18:
	v_sub_f32_e32 v0, v0, v24
	s_mov_b32 s4, 0x3fb8aa3b
	v_mul_f32_e32 v16, 0x3fb8aa3b, v0
	v_fma_f32 v17, v0, s4, -v16
	v_rndne_f32_e32 v18, v16
	v_fmac_f32_e32 v17, 0x32a5705f, v0
	v_sub_f32_e32 v16, v16, v18
	v_add_f32_e32 v16, v16, v17
	v_exp_f32_e32 v16, v16
	v_cvt_i32_f32_e32 v17, v18
	v_sub_f32_e32 v1, v1, v24
	s_mov_b32 s6, 0xc2ce8ed0
	s_mov_b32 s5, 0x42b17218
	v_ldexp_f32 v16, v16, v17
	v_mul_f32_e32 v17, 0x3fb8aa3b, v1
	v_fma_f32 v18, v1, s4, -v17
	v_rndne_f32_e32 v19, v17
	v_fmac_f32_e32 v18, 0x32a5705f, v1
	v_sub_f32_e32 v17, v17, v19
	v_add_f32_e32 v17, v17, v18
	v_exp_f32_e32 v17, v17
	v_cvt_i32_f32_e32 v18, v19
	v_cmp_ngt_f32_e32 vcc, s6, v1
	v_cmp_ngt_f32_e64 s[2:3], s6, v0
	v_sub_f32_e32 v2, v2, v24
	v_ldexp_f32 v17, v17, v18
	v_cndmask_b32_e32 v17, 0, v17, vcc
	v_mov_b32_e32 v18, 0x7f800000
	v_cmp_nlt_f32_e32 vcc, s5, v1
	v_cndmask_b32_e64 v1, 0, v16, s[2:3]
	v_cmp_nlt_f32_e64 s[2:3], s5, v0
	v_cndmask_b32_e64 v0, v18, v1, s[2:3]
	v_cndmask_b32_e32 v1, v18, v17, vcc
	v_add_f32_e32 v0, v0, v1
	v_mul_f32_e32 v1, 0x3fb8aa3b, v2
	v_fma_f32 v16, v2, s4, -v1
	v_rndne_f32_e32 v17, v1
	v_fmac_f32_e32 v16, 0x32a5705f, v2
	v_sub_f32_e32 v1, v1, v17
	v_add_f32_e32 v1, v1, v16
	v_exp_f32_e32 v1, v1
	v_cvt_i32_f32_e32 v16, v17
	v_cmp_ngt_f32_e32 vcc, s6, v2
	v_sub_f32_e32 v3, v3, v24
	v_sub_f32_e32 v4, v4, v24
	v_ldexp_f32 v1, v1, v16
	v_cndmask_b32_e32 v1, 0, v1, vcc
	v_cmp_nlt_f32_e32 vcc, s5, v2
	v_cndmask_b32_e32 v1, v18, v1, vcc
	v_add_f32_e32 v0, v0, v1
	v_mul_f32_e32 v1, 0x3fb8aa3b, v3
	v_fma_f32 v2, v3, s4, -v1
	v_rndne_f32_e32 v16, v1
	v_fmac_f32_e32 v2, 0x32a5705f, v3
	v_sub_f32_e32 v1, v1, v16
	v_add_f32_e32 v1, v1, v2
	v_exp_f32_e32 v1, v1
	v_cvt_i32_f32_e32 v2, v16
	v_cmp_ngt_f32_e32 vcc, s6, v3
	v_sub_f32_e32 v5, v5, v24
	v_sub_f32_e32 v6, v6, v24
	v_ldexp_f32 v1, v1, v2
	v_cndmask_b32_e32 v1, 0, v1, vcc
	v_cmp_nlt_f32_e32 vcc, s5, v3
	;; [unrolled: 16-line block ×4, first 2 shown]
	v_cndmask_b32_e32 v1, v18, v1, vcc
	v_add_f32_e32 v0, v0, v1
	v_mul_f32_e32 v1, 0x3fb8aa3b, v6
	v_fma_f32 v2, v6, s4, -v1
	v_rndne_f32_e32 v3, v1
	v_fmac_f32_e32 v2, 0x32a5705f, v6
	v_sub_f32_e32 v1, v1, v3
	v_add_f32_e32 v1, v1, v2
	v_exp_f32_e32 v1, v1
	v_cvt_i32_f32_e32 v2, v3
	v_cmp_ngt_f32_e32 vcc, s6, v6
	v_sub_f32_e32 v11, v11, v24
	v_sub_f32_e32 v12, v12, v24
	v_ldexp_f32 v1, v1, v2
	v_mul_f32_e32 v2, 0x3fb8aa3b, v7
	v_fma_f32 v3, v7, s4, -v2
	v_rndne_f32_e32 v4, v2
	v_fmac_f32_e32 v3, 0x32a5705f, v7
	v_sub_f32_e32 v2, v2, v4
	v_add_f32_e32 v2, v2, v3
	v_exp_f32_e32 v2, v2
	v_cvt_i32_f32_e32 v3, v4
	v_cndmask_b32_e32 v1, 0, v1, vcc
	v_cmp_nlt_f32_e32 vcc, s5, v6
	v_cndmask_b32_e32 v1, v18, v1, vcc
	v_add_f32_e32 v0, v0, v1
	v_ldexp_f32 v1, v2, v3
	v_mul_f32_e32 v2, 0x3fb8aa3b, v8
	v_fma_f32 v3, v8, s4, -v2
	v_rndne_f32_e32 v4, v2
	v_fmac_f32_e32 v3, 0x32a5705f, v8
	v_sub_f32_e32 v2, v2, v4
	v_add_f32_e32 v2, v2, v3
	v_exp_f32_e32 v2, v2
	v_cvt_i32_f32_e32 v3, v4
	v_cmp_ngt_f32_e32 vcc, s6, v7
	v_cndmask_b32_e32 v1, 0, v1, vcc
	v_cmp_nlt_f32_e32 vcc, s5, v7
	v_cndmask_b32_e32 v1, v18, v1, vcc
	v_add_f32_e32 v0, v0, v1
	v_ldexp_f32 v1, v2, v3
	v_mul_f32_e32 v2, 0x3fb8aa3b, v9
	v_fma_f32 v3, v9, s4, -v2
	v_rndne_f32_e32 v4, v2
	v_fmac_f32_e32 v3, 0x32a5705f, v9
	v_sub_f32_e32 v2, v2, v4
	v_add_f32_e32 v2, v2, v3
	v_exp_f32_e32 v2, v2
	v_cvt_i32_f32_e32 v3, v4
	v_cmp_ngt_f32_e32 vcc, s6, v8
	;; [unrolled: 14-line block ×5, first 2 shown]
	v_cndmask_b32_e32 v1, 0, v1, vcc
	v_cmp_nlt_f32_e32 vcc, s5, v11
	v_cndmask_b32_e32 v1, v18, v1, vcc
	v_add_f32_e32 v0, v0, v1
	v_ldexp_f32 v1, v2, v3
	v_sub_f32_e32 v2, v13, v24
	v_mul_f32_e32 v3, 0x3fb8aa3b, v2
	v_fma_f32 v4, v2, s4, -v3
	v_rndne_f32_e32 v5, v3
	v_fmac_f32_e32 v4, 0x32a5705f, v2
	v_sub_f32_e32 v3, v3, v5
	v_add_f32_e32 v3, v3, v4
	v_exp_f32_e32 v3, v3
	v_cvt_i32_f32_e32 v4, v5
	v_cmp_ngt_f32_e32 vcc, s6, v12
	v_cndmask_b32_e32 v1, 0, v1, vcc
	v_cmp_nlt_f32_e32 vcc, s5, v12
	v_cndmask_b32_e32 v1, v18, v1, vcc
	v_add_f32_e32 v0, v0, v1
	v_ldexp_f32 v1, v3, v4
	v_sub_f32_e32 v3, v14, v24
	v_mul_f32_e32 v4, 0x3fb8aa3b, v3
	v_fma_f32 v5, v3, s4, -v4
	v_rndne_f32_e32 v6, v4
	v_fmac_f32_e32 v5, 0x32a5705f, v3
	v_sub_f32_e32 v4, v4, v6
	v_add_f32_e32 v4, v4, v5
	v_exp_f32_e32 v4, v4
	v_cvt_i32_f32_e32 v5, v6
	v_cmp_ngt_f32_e32 vcc, s6, v2
	v_cndmask_b32_e32 v1, 0, v1, vcc
	v_cmp_nlt_f32_e32 vcc, s5, v2
	v_cndmask_b32_e32 v1, v18, v1, vcc
	v_sub_f32_e32 v2, v15, v24
	v_add_f32_e32 v0, v0, v1
	v_ldexp_f32 v1, v4, v5
	v_mul_f32_e32 v4, 0x3fb8aa3b, v2
	v_fma_f32 v5, v2, s4, -v4
	v_rndne_f32_e32 v6, v4
	v_fmac_f32_e32 v5, 0x32a5705f, v2
	v_sub_f32_e32 v4, v4, v6
	v_add_f32_e32 v4, v4, v5
	v_exp_f32_e32 v4, v4
	v_cvt_i32_f32_e32 v5, v6
	v_cmp_ngt_f32_e32 vcc, s6, v3
	v_cndmask_b32_e32 v1, 0, v1, vcc
	v_cmp_nlt_f32_e32 vcc, s5, v3
	v_cndmask_b32_e32 v1, v18, v1, vcc
	v_add_f32_e32 v0, v0, v1
	v_ldexp_f32 v1, v4, v5
	v_cmp_ngt_f32_e32 vcc, s6, v2
	v_cndmask_b32_e32 v1, 0, v1, vcc
	v_cmp_nlt_f32_e32 vcc, s5, v2
	v_cndmask_b32_e32 v1, v18, v1, vcc
	v_add_f32_e32 v0, v0, v1
	s_nop 1
	v_mov_b32_dpp v1, v0 quad_perm:[1,0,3,2] row_mask:0xf bank_mask:0xf
	v_add_f32_e32 v0, v0, v1
	s_nop 1
	v_mov_b32_dpp v1, v0 quad_perm:[2,3,0,1] row_mask:0xf bank_mask:0xf
	v_add_f32_e32 v0, v0, v1
	s_nop 1
	v_mov_b32_dpp v1, v0 row_half_mirror row_mask:0xf bank_mask:0xf
	s_and_b64 exec, exec, s[0:1]
	s_cbranch_execz .LBB281_31
; %bb.19:
	v_add_f32_e32 v0, v0, v1
	v_add_f32_e32 v0, v23, v0
	v_cmp_neq_f32_e32 vcc, 0, v0
	s_and_b64 exec, exec, vcc
	s_cbranch_execz .LBB281_31
; %bb.20:
	s_andn2_b64 vcc, exec, s[44:45]
	s_cbranch_vccnz .LBB281_31
; %bb.21:
	v_div_scale_f32 v1, s[0:1], v0, v0, 1.0
	v_rcp_f32_e32 v2, v1
	v_div_scale_f32 v3, vcc, 1.0, v0, 1.0
	s_cmp_gt_u32 s36, 3
	v_fma_f32 v4, -v1, v2, 1.0
	v_fmac_f32_e32 v2, v4, v2
	v_mul_f32_e32 v4, v3, v2
	v_fma_f32 v5, -v1, v4, v3
	v_fmac_f32_e32 v4, v5, v2
	v_fma_f32 v1, -v1, v4, v3
	v_div_fmas_f32 v1, v1, v2, v4
	v_mul_lo_u32 v2, v22, s39
	v_div_fixup_f32 v0, v1, v0, 1.0
	v_ashrrev_i32_e32 v3, 31, v2
	s_cbranch_scc0 .LBB281_25
; %bb.22:
	v_lshlrev_b64 v[4:5], 2, v[2:3]
	v_mov_b32_e32 v6, s35
	v_add_co_u32_e32 v4, vcc, s34, v4
	v_addc_co_u32_e32 v5, vcc, v5, v6, vcc
	s_and_b32 s4, s36, 0x7ffffffc
	v_add_co_u32_e32 v4, vcc, 8, v4
	v_mov_b32_e32 v1, v0
	v_addc_co_u32_e32 v5, vcc, 0, v5, vcc
	s_mov_b32 s0, s4
.LBB281_23:                             ; =>This Inner Loop Header: Depth=1
	global_load_dwordx4 v[6:9], v[4:5], off offset:-8
	s_add_i32 s0, s0, -4
	s_cmp_lg_u32 s0, 0
	s_waitcnt vmcnt(0)
	v_pk_mul_f32 v[6:7], v[0:1], v[6:7]
	v_pk_mul_f32 v[8:9], v[0:1], v[8:9]
	global_store_dwordx4 v[4:5], v[6:9], off offset:-8
	v_add_co_u32_e32 v4, vcc, 16, v4
	v_addc_co_u32_e32 v5, vcc, 0, v5, vcc
	s_cbranch_scc1 .LBB281_23
; %bb.24:
	s_cmp_lg_u32 s4, s36
	s_mov_b64 s[2:3], 0
	s_cselect_b64 s[0:1], -1, 0
	s_branch .LBB281_26
.LBB281_25:
	s_mov_b64 s[2:3], -1
	s_mov_b64 s[0:1], 0
                                        ; implicit-def: $sgpr4
.LBB281_26:
	s_and_b64 vcc, exec, s[2:3]
	s_cbranch_vccz .LBB281_28
; %bb.27:
	s_mov_b64 s[0:1], -1
	s_mov_b32 s4, 0
.LBB281_28:
	s_andn2_b64 vcc, exec, s[0:1]
	s_cbranch_vccnz .LBB281_31
; %bb.29:
	v_add_co_u32_e32 v2, vcc, s4, v2
	v_addc_co_u32_e32 v3, vcc, 0, v3, vcc
	v_lshlrev_b64 v[2:3], 2, v[2:3]
	v_mov_b32_e32 v1, s35
	v_add_co_u32_e32 v2, vcc, s34, v2
	s_sub_i32 s0, s36, s4
	v_addc_co_u32_e32 v3, vcc, v1, v3, vcc
.LBB281_30:                             ; =>This Inner Loop Header: Depth=1
	global_load_dword v1, v[2:3], off
	s_add_i32 s0, s0, -1
	s_cmp_lg_u32 s0, 0
	s_waitcnt vmcnt(0)
	v_mul_f32_e32 v1, v0, v1
	global_store_dword v[2:3], v1, off
	v_add_co_u32_e32 v2, vcc, 4, v2
	v_addc_co_u32_e32 v3, vcc, 0, v3, vcc
	s_cbranch_scc1 .LBB281_30
.LBB281_31:
	s_endpgm
	.section	.rodata,"a",@progbits
	.p2align	6, 0x0
	.amdhsa_kernel _ZN4vllm3moe17topkGatingSoftmaxItLi16ELi128ELi8ELi32ELb0ELi1ELNS0_23SharedExpertScoringFuncE1EEEvPKT_PKbPfiPiS9_iiiiii
		.amdhsa_group_segment_fixed_size 0
		.amdhsa_private_segment_fixed_size 0
		.amdhsa_kernarg_size 72
		.amdhsa_user_sgpr_count 6
		.amdhsa_user_sgpr_private_segment_buffer 1
		.amdhsa_user_sgpr_dispatch_ptr 0
		.amdhsa_user_sgpr_queue_ptr 0
		.amdhsa_user_sgpr_kernarg_segment_ptr 1
		.amdhsa_user_sgpr_dispatch_id 0
		.amdhsa_user_sgpr_flat_scratch_init 0
		.amdhsa_user_sgpr_kernarg_preload_length 0
		.amdhsa_user_sgpr_kernarg_preload_offset 0
		.amdhsa_user_sgpr_private_segment_size 0
		.amdhsa_uses_dynamic_stack 0
		.amdhsa_system_sgpr_private_segment_wavefront_offset 0
		.amdhsa_system_sgpr_workgroup_id_x 1
		.amdhsa_system_sgpr_workgroup_id_y 0
		.amdhsa_system_sgpr_workgroup_id_z 0
		.amdhsa_system_sgpr_workgroup_info 0
		.amdhsa_system_vgpr_workitem_id 1
		.amdhsa_next_free_vgpr 50
		.amdhsa_next_free_sgpr 54
		.amdhsa_accum_offset 52
		.amdhsa_reserve_vcc 1
		.amdhsa_reserve_flat_scratch 0
		.amdhsa_float_round_mode_32 0
		.amdhsa_float_round_mode_16_64 0
		.amdhsa_float_denorm_mode_32 3
		.amdhsa_float_denorm_mode_16_64 3
		.amdhsa_dx10_clamp 1
		.amdhsa_ieee_mode 1
		.amdhsa_fp16_overflow 0
		.amdhsa_tg_split 0
		.amdhsa_exception_fp_ieee_invalid_op 0
		.amdhsa_exception_fp_denorm_src 0
		.amdhsa_exception_fp_ieee_div_zero 0
		.amdhsa_exception_fp_ieee_overflow 0
		.amdhsa_exception_fp_ieee_underflow 0
		.amdhsa_exception_fp_ieee_inexact 0
		.amdhsa_exception_int_div_zero 0
	.end_amdhsa_kernel
	.section	.text._ZN4vllm3moe17topkGatingSoftmaxItLi16ELi128ELi8ELi32ELb0ELi1ELNS0_23SharedExpertScoringFuncE1EEEvPKT_PKbPfiPiS9_iiiiii,"axG",@progbits,_ZN4vllm3moe17topkGatingSoftmaxItLi16ELi128ELi8ELi32ELb0ELi1ELNS0_23SharedExpertScoringFuncE1EEEvPKT_PKbPfiPiS9_iiiiii,comdat
.Lfunc_end281:
	.size	_ZN4vllm3moe17topkGatingSoftmaxItLi16ELi128ELi8ELi32ELb0ELi1ELNS0_23SharedExpertScoringFuncE1EEEvPKT_PKbPfiPiS9_iiiiii, .Lfunc_end281-_ZN4vllm3moe17topkGatingSoftmaxItLi16ELi128ELi8ELi32ELb0ELi1ELNS0_23SharedExpertScoringFuncE1EEEvPKT_PKbPfiPiS9_iiiiii
                                        ; -- End function
	.section	.AMDGPU.csdata,"",@progbits
; Kernel info:
; codeLenInByte = 4340
; NumSgprs: 58
; NumVgprs: 50
; NumAgprs: 0
; TotalNumVgprs: 50
; ScratchSize: 0
; MemoryBound: 0
; FloatMode: 240
; IeeeMode: 1
; LDSByteSize: 0 bytes/workgroup (compile time only)
; SGPRBlocks: 7
; VGPRBlocks: 6
; NumSGPRsForWavesPerEU: 58
; NumVGPRsForWavesPerEU: 50
; AccumOffset: 52
; Occupancy: 8
; WaveLimiterHint : 0
; COMPUTE_PGM_RSRC2:SCRATCH_EN: 0
; COMPUTE_PGM_RSRC2:USER_SGPR: 6
; COMPUTE_PGM_RSRC2:TRAP_HANDLER: 0
; COMPUTE_PGM_RSRC2:TGID_X_EN: 1
; COMPUTE_PGM_RSRC2:TGID_Y_EN: 0
; COMPUTE_PGM_RSRC2:TGID_Z_EN: 0
; COMPUTE_PGM_RSRC2:TIDIG_COMP_CNT: 1
; COMPUTE_PGM_RSRC3_GFX90A:ACCUM_OFFSET: 12
; COMPUTE_PGM_RSRC3_GFX90A:TG_SPLIT: 0
	.section	.text._ZN4vllm3moe17topkGatingSoftmaxItLi16ELi128ELi8ELi32ELb1ELi2ELNS0_23SharedExpertScoringFuncE1EEEvPKT_PKbPfiPiS9_iiiiii,"axG",@progbits,_ZN4vllm3moe17topkGatingSoftmaxItLi16ELi128ELi8ELi32ELb1ELi2ELNS0_23SharedExpertScoringFuncE1EEEvPKT_PKbPfiPiS9_iiiiii,comdat
	.protected	_ZN4vllm3moe17topkGatingSoftmaxItLi16ELi128ELi8ELi32ELb1ELi2ELNS0_23SharedExpertScoringFuncE1EEEvPKT_PKbPfiPiS9_iiiiii ; -- Begin function _ZN4vllm3moe17topkGatingSoftmaxItLi16ELi128ELi8ELi32ELb1ELi2ELNS0_23SharedExpertScoringFuncE1EEEvPKT_PKbPfiPiS9_iiiiii
	.globl	_ZN4vllm3moe17topkGatingSoftmaxItLi16ELi128ELi8ELi32ELb1ELi2ELNS0_23SharedExpertScoringFuncE1EEEvPKT_PKbPfiPiS9_iiiiii
	.p2align	8
	.type	_ZN4vllm3moe17topkGatingSoftmaxItLi16ELi128ELi8ELi32ELb1ELi2ELNS0_23SharedExpertScoringFuncE1EEEvPKT_PKbPfiPiS9_iiiiii,@function
_ZN4vllm3moe17topkGatingSoftmaxItLi16ELi128ELi8ELi32ELb1ELi2ELNS0_23SharedExpertScoringFuncE1EEEvPKT_PKbPfiPiS9_iiiiii: ; @_ZN4vllm3moe17topkGatingSoftmaxItLi16ELi128ELi8ELi32ELb1ELi2ELNS0_23SharedExpertScoringFuncE1EEEvPKT_PKbPfiPiS9_iiiiii
; %bb.0:
	s_load_dword s33, s[4:5], 0x18
	v_bfe_u32 v1, v0, 10, 10
	v_and_b32_e32 v0, 0x3ff, v0
	s_lshl_b32 s50, s6, 6
	v_lshlrev_b32_e32 v41, 3, v1
	v_lshrrev_b32_e32 v42, 3, v0
	v_add3_u32 v22, s50, v41, v42
	s_waitcnt lgkmcnt(0)
	v_cmp_gt_i32_e32 vcc, s33, v22
	s_and_saveexec_b64 s[0:1], vcc
	s_cbranch_execz .LBB282_29
; %bb.1:
	s_load_dwordx4 s[0:3], s[4:5], 0x0
	s_load_dwordx2 s[34:35], s[4:5], 0x10
	s_waitcnt lgkmcnt(0)
	s_cmp_eq_u64 s[2:3], 0
	s_cbranch_scc1 .LBB282_3
; %bb.2:
	v_ashrrev_i32_e32 v1, 31, v22
	v_mov_b32_e32 v3, s3
	v_add_co_u32_e32 v2, vcc, s2, v22
	v_addc_co_u32_e32 v3, vcc, v3, v1, vcc
	global_load_ubyte v1, v[2:3], off
	s_waitcnt vmcnt(0)
	v_and_b32_e32 v1, 1, v1
	v_cmp_eq_u32_e32 vcc, 1, v1
	s_xor_b64 s[2:3], vcc, -1
	s_orn2_b64 s[44:45], s[2:3], exec
	s_branch .LBB282_4
.LBB282_3:
	s_mov_b64 s[44:45], -1
.LBB282_4:
	s_load_dwordx2 s[8:9], s[4:5], 0x40
	s_load_dwordx4 s[36:39], s[4:5], 0x30
	v_mov_b32_e32 v4, s1
	v_and_b32_e32 v23, 7, v0
	v_lshlrev_b32_e32 v0, 5, v23
	s_waitcnt lgkmcnt(0)
	v_mul_lo_u32 v2, v22, s9
	v_ashrrev_i32_e32 v3, 31, v2
	v_lshlrev_b64 v[2:3], 1, v[2:3]
	v_add_co_u32_e32 v1, vcc, s0, v2
	v_addc_co_u32_e32 v2, vcc, v4, v3, vcc
	v_add_co_u32_e32 v8, vcc, v1, v0
	v_addc_co_u32_e32 v9, vcc, 0, v2, vcc
	global_load_dwordx4 v[12:15], v[8:9], off offset:16
	global_load_dwordx4 v[4:7], v[8:9], off
	v_lshlrev_b32_e32 v25, 4, v23
	v_mov_b32_e32 v24, 0
	v_cmp_gt_u32_e32 vcc, 2, v23
	s_and_saveexec_b64 s[0:1], vcc
	s_cbranch_execz .LBB282_6
; %bb.5:
	v_lshlrev_b32_e32 v0, 1, v23
	v_add_co_u32_e32 v0, vcc, v1, v0
	v_addc_co_u32_e32 v1, vcc, 0, v2, vcc
	global_load_ushort v0, v[0:1], off offset:256
	s_mov_b32 s2, 0xbfb8aa3b
	s_mov_b32 s3, 0x42ce8ed0
	;; [unrolled: 1-line block ×3, first 2 shown]
	v_mov_b32_e32 v3, 0x7f800000
	v_mul_lo_u32 v1, v22, s39
	v_mov_b32_e32 v10, s35
	s_waitcnt vmcnt(0)
	v_cvt_f32_u32_e32 v2, v0
	v_mul_f32_e32 v0, 0xbfb8aa3b, v2
	v_fma_f32 v8, v2, s2, -v0
	v_rndne_f32_e32 v9, v0
	v_fmac_f32_e32 v8, 0xb2a5705f, v2
	v_sub_f32_e32 v0, v0, v9
	v_add_f32_e32 v0, v0, v8
	v_cvt_i32_f32_e32 v9, v9
	v_exp_f32_e32 v8, v0
	v_cmp_nlt_f32_e32 vcc, s3, v2
	v_add3_u32 v0, v1, s36, v23
	v_ashrrev_i32_e32 v1, 31, v0
	v_ldexp_f32 v8, v8, v9
	v_cndmask_b32_e32 v8, 0, v8, vcc
	v_cmp_ngt_f32_e32 vcc, s6, v2
	v_cndmask_b32_e32 v2, v3, v8, vcc
	v_add_f32_e32 v2, 1.0, v2
	v_div_scale_f32 v3, s[2:3], v2, v2, 1.0
	v_rcp_f32_e32 v8, v3
	v_div_scale_f32 v9, vcc, 1.0, v2, 1.0
	v_lshlrev_b64 v[0:1], 2, v[0:1]
	v_fma_f32 v11, -v3, v8, 1.0
	v_fmac_f32_e32 v8, v11, v8
	v_mul_f32_e32 v11, v9, v8
	v_fma_f32 v16, -v3, v11, v9
	v_fmac_f32_e32 v11, v16, v8
	v_fma_f32 v3, -v3, v11, v9
	v_div_fmas_f32 v3, v3, v8, v11
	v_add_co_u32_e32 v0, vcc, s34, v0
	v_div_fixup_f32 v2, v3, v2, 1.0
	v_addc_co_u32_e32 v1, vcc, v10, v1, vcc
	global_store_dword v[0:1], v2, off
.LBB282_6:
	s_or_b64 exec, exec, s[0:1]
	s_waitcnt vmcnt(0)
	v_cvt_f32_u32_sdwa v1, v4 dst_sel:DWORD dst_unused:UNUSED_PAD src0_sel:WORD_1
	v_cvt_f32_u32_sdwa v0, v4 dst_sel:DWORD dst_unused:UNUSED_PAD src0_sel:WORD_0
	v_cvt_f32_u32_sdwa v2, v5 dst_sel:DWORD dst_unused:UNUSED_PAD src0_sel:WORD_0
	v_or_b32_e32 v26, 1, v25
	v_or_b32_e32 v27, 2, v25
	v_cmp_lt_f32_e32 vcc, v0, v1
	v_cndmask_b32_e32 v4, v0, v1, vcc
	v_cndmask_b32_e32 v3, v25, v26, vcc
	v_cmp_lt_f32_e32 vcc, v4, v2
	v_cndmask_b32_e32 v8, v3, v27, vcc
	v_cvt_f32_u32_sdwa v3, v5 dst_sel:DWORD dst_unused:UNUSED_PAD src0_sel:WORD_1
	v_cndmask_b32_e32 v4, v4, v2, vcc
	v_or_b32_e32 v28, 3, v25
	v_or_b32_e32 v29, 4, v25
	v_cmp_lt_f32_e32 vcc, v4, v3
	v_cndmask_b32_e32 v5, v8, v28, vcc
	v_cndmask_b32_e32 v8, v4, v3, vcc
	v_cvt_f32_u32_sdwa v4, v6 dst_sel:DWORD dst_unused:UNUSED_PAD src0_sel:WORD_0
	v_or_b32_e32 v30, 5, v25
	v_or_b32_e32 v31, 6, v25
	v_or_b32_e32 v32, 7, v25
	v_cmp_lt_f32_e32 vcc, v8, v4
	v_cndmask_b32_e32 v9, v5, v29, vcc
	v_cvt_f32_u32_sdwa v5, v6 dst_sel:DWORD dst_unused:UNUSED_PAD src0_sel:WORD_1
	v_cvt_f32_u32_sdwa v6, v7 dst_sel:DWORD dst_unused:UNUSED_PAD src0_sel:WORD_0
	v_cndmask_b32_e32 v8, v8, v4, vcc
	v_cvt_f32_u32_sdwa v7, v7 dst_sel:DWORD dst_unused:UNUSED_PAD src0_sel:WORD_1
	v_cmp_lt_f32_e32 vcc, v8, v5
	v_cndmask_b32_e32 v8, v8, v5, vcc
	v_cndmask_b32_e32 v9, v9, v30, vcc
	v_cmp_lt_f32_e32 vcc, v8, v6
	v_cndmask_b32_e32 v8, v8, v6, vcc
	v_cndmask_b32_e32 v9, v9, v31, vcc
	v_cmp_lt_f32_e32 vcc, v8, v7
	v_cndmask_b32_e32 v10, v8, v7, vcc
	v_cvt_f32_u32_sdwa v8, v12 dst_sel:DWORD dst_unused:UNUSED_PAD src0_sel:WORD_0
	v_cndmask_b32_e32 v9, v9, v32, vcc
	v_or_b32_e32 v33, 8, v25
	v_or_b32_e32 v34, 9, v25
	v_cmp_lt_f32_e32 vcc, v10, v8
	v_cndmask_b32_e32 v11, v9, v33, vcc
	v_cvt_f32_u32_sdwa v9, v12 dst_sel:DWORD dst_unused:UNUSED_PAD src0_sel:WORD_1
	v_cndmask_b32_e32 v10, v10, v8, vcc
	v_or_b32_e32 v35, 10, v25
	v_or_b32_e32 v36, 11, v25
	v_cmp_lt_f32_e32 vcc, v10, v9
	v_cndmask_b32_e32 v12, v10, v9, vcc
	v_cvt_f32_u32_sdwa v10, v13 dst_sel:DWORD dst_unused:UNUSED_PAD src0_sel:WORD_0
	v_cndmask_b32_e32 v11, v11, v34, vcc
	v_or_b32_e32 v37, 12, v25
	v_or_b32_e32 v38, 13, v25
	v_cmp_lt_f32_e32 vcc, v12, v10
	v_cndmask_b32_e32 v16, v11, v35, vcc
	v_cvt_f32_u32_sdwa v11, v13 dst_sel:DWORD dst_unused:UNUSED_PAD src0_sel:WORD_1
	v_cndmask_b32_e32 v12, v12, v10, vcc
	v_or_b32_e32 v39, 14, v25
	v_or_b32_e32 v40, 15, v25
	v_cmp_lt_f32_e32 vcc, v12, v11
	v_cndmask_b32_e32 v13, v16, v36, vcc
	v_cndmask_b32_e32 v16, v12, v11, vcc
	v_cvt_f32_u32_sdwa v12, v14 dst_sel:DWORD dst_unused:UNUSED_PAD src0_sel:WORD_0
	v_cmp_lt_f32_e32 vcc, v16, v12
	v_cndmask_b32_e32 v17, v13, v37, vcc
	v_cvt_f32_u32_sdwa v13, v14 dst_sel:DWORD dst_unused:UNUSED_PAD src0_sel:WORD_1
	v_cvt_f32_u32_sdwa v14, v15 dst_sel:DWORD dst_unused:UNUSED_PAD src0_sel:WORD_0
	v_cndmask_b32_e32 v16, v16, v12, vcc
	v_cvt_f32_u32_sdwa v15, v15 dst_sel:DWORD dst_unused:UNUSED_PAD src0_sel:WORD_1
	v_cmp_lt_f32_e32 vcc, v16, v13
	v_cndmask_b32_e32 v16, v16, v13, vcc
	v_cndmask_b32_e32 v17, v17, v38, vcc
	v_cmp_lt_f32_e32 vcc, v16, v14
	v_cndmask_b32_e32 v16, v16, v14, vcc
	v_cndmask_b32_e32 v17, v17, v39, vcc
	;; [unrolled: 3-line block ×3, first 2 shown]
	s_nop 0
	v_mov_b32_dpp v19, v17 quad_perm:[1,0,3,2] row_mask:0xf bank_mask:0xf
	v_mov_b32_dpp v18, v16 quad_perm:[1,0,3,2] row_mask:0xf bank_mask:0xf
	v_cmp_eq_f32_e64 s[0:1], v16, v18
	v_cmp_lt_i32_e64 s[2:3], v19, v17
	v_cmp_lt_f32_e32 vcc, v16, v18
	s_and_b64 s[0:1], s[0:1], s[2:3]
	s_or_b64 vcc, vcc, s[0:1]
	v_cndmask_b32_e32 v16, v16, v18, vcc
	v_cndmask_b32_e32 v17, v17, v19, vcc
	s_nop 0
	v_mov_b32_dpp v18, v16 quad_perm:[2,3,0,1] row_mask:0xf bank_mask:0xf
	v_mov_b32_dpp v19, v17 quad_perm:[2,3,0,1] row_mask:0xf bank_mask:0xf
	v_cmp_eq_f32_e64 s[0:1], v16, v18
	v_cmp_lt_i32_e64 s[2:3], v19, v17
	v_cmp_lt_f32_e32 vcc, v16, v18
	s_and_b64 s[0:1], s[0:1], s[2:3]
	s_or_b64 vcc, vcc, s[0:1]
	v_cndmask_b32_e32 v16, v16, v18, vcc
	v_cndmask_b32_e32 v17, v17, v19, vcc
	s_cmp_gt_i32 s36, 0
	s_cselect_b64 s[46:47], -1, 0
	s_cmp_lt_i32 s36, 1
	v_cmp_eq_u32_e32 vcc, 0, v23
	v_mov_b32_dpp v18, v17 row_half_mirror row_mask:0xf bank_mask:0xf
	v_mov_b32_dpp v19, v16 row_half_mirror row_mask:0xf bank_mask:0xf
	s_cbranch_scc1 .LBB282_18
; %bb.7:
	s_load_dwordx4 s[40:43], s[4:5], 0x20
	v_cmp_eq_f32_e64 s[2:3], v16, v19
	v_cmp_lt_i32_e64 s[6:7], v18, v17
	v_cmp_lt_f32_e64 s[0:1], v16, v19
	s_and_b64 s[2:3], s[2:3], s[6:7]
	s_or_b64 s[0:1], s[0:1], s[2:3]
	v_cndmask_b32_e64 v44, v17, v18, s[0:1]
	v_cndmask_b32_e64 v43, v16, v19, s[0:1]
	v_mul_lo_u32 v20, v22, s39
	v_mul_lo_u32 v18, v22, s8
	;; [unrolled: 1-line block ×3, first 2 shown]
	v_mov_b32_e32 v24, 0
	s_and_saveexec_b64 s[4:5], vcc
	s_cbranch_execz .LBB282_9
; %bb.8:
	v_sub_f32_e32 v17, v43, v43
	v_mul_f32_e32 v19, 0x3fb8aa3b, v17
	s_mov_b32 s0, 0x3fb8aa3b
	v_rndne_f32_e32 v21, v19
	v_sub_f32_e32 v24, v19, v21
	v_fma_f32 v19, v17, s0, -v19
	v_fmac_f32_e32 v19, 0x32a5705f, v17
	v_add_f32_e32 v19, v24, v19
	v_exp_f32_e32 v19, v19
	v_cvt_i32_f32_e32 v21, v21
	v_cmp_le_i32_e64 s[0:1], s37, v44
	v_cmp_gt_i32_e64 s[2:3], s38, v44
	s_and_b64 s[2:3], s[0:1], s[2:3]
	s_mov_b32 s0, 0xc2ce8ed0
	v_ldexp_f32 v19, v19, v21
	v_cmp_ngt_f32_e64 s[0:1], s0, v17
	v_cndmask_b32_e64 v19, 0, v19, s[0:1]
	s_mov_b32 s0, 0x42b17218
	v_mov_b32_e32 v21, 0x7f800000
	v_cmp_nlt_f32_e64 s[0:1], s0, v17
	v_cndmask_b32_e64 v24, v21, v19, s[0:1]
	v_ashrrev_i32_e32 v21, 31, v20
	v_lshlrev_b64 v[46:47], 2, v[20:21]
	v_mov_b32_e32 v17, s35
	v_add_co_u32_e64 v46, s[0:1], s34, v46
	v_addc_co_u32_e64 v47, s[0:1], v17, v47, s[0:1]
	v_subrev_u32_e32 v17, s37, v44
	v_mov_b32_e32 v19, 0x80
	s_and_b64 s[0:1], s[44:45], s[2:3]
	v_cndmask_b32_e64 v17, v19, v17, s[0:1]
	v_ashrrev_i32_e32 v19, 31, v18
	global_store_dword v[46:47], v24, off
	v_lshlrev_b64 v[46:47], 2, v[18:19]
	s_waitcnt lgkmcnt(0)
	v_mov_b32_e32 v19, s41
	v_add_co_u32_e64 v46, s[0:1], s40, v46
	v_addc_co_u32_e64 v47, s[0:1], v19, v47, s[0:1]
	global_store_dword v[46:47], v17, off
	v_ashrrev_i32_e32 v17, 31, v16
	v_lshlrev_b64 v[46:47], 2, v[16:17]
	v_mov_b32_e32 v17, s43
	v_add_co_u32_e64 v46, s[0:1], s42, v46
	v_addc_co_u32_e64 v47, s[0:1], v17, v47, s[0:1]
	global_store_dword v[46:47], v22, off
.LBB282_9:
	s_or_b64 exec, exec, s[4:5]
	v_ashrrev_i32_e32 v19, 31, v44
	v_lshrrev_b32_e32 v17, 28, v19
	v_add_u32_e32 v17, v44, v17
	v_ashrrev_i32_e32 v17, 4, v17
	v_lshrrev_b32_e32 v21, 29, v17
	v_add_u32_e32 v21, v17, v21
	v_and_b32_e32 v21, -8, v21
	v_sub_u32_e32 v21, v17, v21
	v_cmp_eq_u32_e64 s[0:1], v23, v21
	s_and_saveexec_b64 s[48:49], s[0:1]
	s_cbranch_execz .LBB282_11
; %bb.10:
	v_lshrrev_b32_e32 v19, 25, v19
	v_add_u32_e32 v19, v44, v19
	v_lshlrev_b32_e32 v17, 4, v17
	v_sub_u32_e32 v17, v44, v17
	v_ashrrev_i32_e32 v19, 7, v19
	v_lshl_add_u32 v17, v19, 4, v17
	v_mov_b32_e32 v19, 0xff800000
	v_cmp_ne_u32_e64 s[0:1], 14, v17
	v_cmp_ne_u32_e64 s[2:3], 13, v17
	;; [unrolled: 1-line block ×16, first 2 shown]
	v_cndmask_b32_e64 v15, v19, v15, s[30:31]
	v_cndmask_b32_e64 v14, v19, v14, s[0:1]
	;; [unrolled: 1-line block ×16, first 2 shown]
.LBB282_11:
	s_or_b64 exec, exec, s[48:49]
	s_cmp_eq_u32 s36, 1
	s_cbranch_scc1 .LBB282_18
; %bb.12:
	s_add_i32 s50, s50, s33
	s_add_i32 s51, s36, -1
	v_add3_u32 v41, s50, v42, v41
	v_add_u32_e32 v16, 1, v16
	v_add_u32_e32 v18, 1, v18
	;; [unrolled: 1-line block ×3, first 2 shown]
	s_mov_b32 s50, 0x3fb8aa3b
	s_mov_b32 s52, 0xc2ce8ed0
	;; [unrolled: 1-line block ×3, first 2 shown]
	v_mov_b32_e32 v42, 0x7f800000
	v_mov_b32_e32 v44, 0x80
	;; [unrolled: 1-line block ×3, first 2 shown]
	s_branch .LBB282_14
.LBB282_13:                             ;   in Loop: Header=BB282_14 Depth=1
	s_or_b64 exec, exec, s[48:49]
	s_add_i32 s51, s51, -1
	v_add_u32_e32 v41, s33, v41
	v_add_u32_e32 v16, 1, v16
	;; [unrolled: 1-line block ×3, first 2 shown]
	s_cmp_eq_u32 s51, 0
	v_add_u32_e32 v20, 1, v20
	s_cbranch_scc1 .LBB282_18
.LBB282_14:                             ; =>This Inner Loop Header: Depth=1
	v_cmp_gt_f32_e64 s[0:1], v1, v0
	v_cndmask_b32_e64 v19, v0, v1, s[0:1]
	v_cndmask_b32_e64 v17, v25, v26, s[0:1]
	v_cmp_gt_f32_e64 s[0:1], v2, v19
	v_cndmask_b32_e64 v19, v19, v2, s[0:1]
	v_cndmask_b32_e64 v17, v17, v27, s[0:1]
	;; [unrolled: 3-line block ×15, first 2 shown]
	s_nop 0
	v_mov_b32_dpp v46, v17 quad_perm:[1,0,3,2] row_mask:0xf bank_mask:0xf
	v_mov_b32_dpp v21, v19 quad_perm:[1,0,3,2] row_mask:0xf bank_mask:0xf
	v_cmp_eq_f32_e64 s[2:3], v19, v21
	v_cmp_lt_i32_e64 s[4:5], v46, v17
	v_cmp_lt_f32_e64 s[0:1], v19, v21
	s_and_b64 s[2:3], s[2:3], s[4:5]
	s_or_b64 s[0:1], s[0:1], s[2:3]
	v_cndmask_b32_e64 v19, v19, v21, s[0:1]
	v_cndmask_b32_e64 v21, v17, v46, s[0:1]
	s_nop 0
	v_mov_b32_dpp v17, v19 quad_perm:[2,3,0,1] row_mask:0xf bank_mask:0xf
	v_mov_b32_dpp v46, v21 quad_perm:[2,3,0,1] row_mask:0xf bank_mask:0xf
	v_cmp_eq_f32_e64 s[2:3], v19, v17
	v_cmp_lt_i32_e64 s[4:5], v46, v21
	v_cmp_lt_f32_e64 s[0:1], v19, v17
	s_and_b64 s[2:3], s[2:3], s[4:5]
	s_or_b64 s[0:1], s[0:1], s[2:3]
	v_cndmask_b32_e64 v17, v19, v17, s[0:1]
	v_cndmask_b32_e64 v21, v21, v46, s[0:1]
	s_nop 0
	v_mov_b32_dpp v19, v17 row_half_mirror row_mask:0xf bank_mask:0xf
	v_mov_b32_dpp v46, v21 row_half_mirror row_mask:0xf bank_mask:0xf
	v_cmp_eq_f32_e64 s[2:3], v17, v19
	v_cmp_lt_i32_e64 s[4:5], v46, v21
	v_cmp_lt_f32_e64 s[0:1], v17, v19
	s_and_b64 s[2:3], s[2:3], s[4:5]
	s_or_b64 s[0:1], s[0:1], s[2:3]
	v_cndmask_b32_e64 v46, v21, v46, s[0:1]
	s_and_saveexec_b64 s[4:5], vcc
	s_cbranch_execz .LBB282_16
; %bb.15:                               ;   in Loop: Header=BB282_14 Depth=1
	v_cndmask_b32_e64 v17, v17, v19, s[0:1]
	v_sub_f32_e32 v17, v17, v43
	v_mul_f32_e32 v19, 0x3fb8aa3b, v17
	v_fma_f32 v21, v17, s50, -v19
	v_rndne_f32_e32 v47, v19
	v_fmac_f32_e32 v21, 0x32a5705f, v17
	v_sub_f32_e32 v19, v19, v47
	v_add_f32_e32 v19, v19, v21
	v_exp_f32_e32 v19, v19
	v_cvt_i32_f32_e32 v21, v47
	v_cmp_le_i32_e64 s[0:1], s37, v46
	v_cmp_gt_i32_e64 s[2:3], s38, v46
	s_and_b64 s[2:3], s[0:1], s[2:3]
	v_ldexp_f32 v19, v19, v21
	v_cmp_ngt_f32_e64 s[0:1], s52, v17
	v_ashrrev_i32_e32 v21, 31, v20
	v_cndmask_b32_e64 v19, 0, v19, s[0:1]
	v_cmp_nlt_f32_e64 s[0:1], s53, v17
	v_lshlrev_b64 v[48:49], 2, v[20:21]
	v_cndmask_b32_e64 v47, v42, v19, s[0:1]
	v_mov_b32_e32 v17, s35
	v_add_co_u32_e64 v48, s[0:1], s34, v48
	v_addc_co_u32_e64 v49, s[0:1], v17, v49, s[0:1]
	v_ashrrev_i32_e32 v19, 31, v18
	global_store_dword v[48:49], v47, off
	v_subrev_u32_e32 v17, s37, v46
	s_and_b64 s[0:1], s[44:45], s[2:3]
	v_lshlrev_b64 v[48:49], 2, v[18:19]
	v_cndmask_b32_e64 v17, v44, v17, s[0:1]
	s_waitcnt lgkmcnt(0)
	v_mov_b32_e32 v19, s41
	v_add_co_u32_e64 v48, s[0:1], s40, v48
	v_addc_co_u32_e64 v49, s[0:1], v19, v49, s[0:1]
	global_store_dword v[48:49], v17, off
	v_ashrrev_i32_e32 v17, 31, v16
	v_lshlrev_b64 v[48:49], 2, v[16:17]
	v_mov_b32_e32 v17, s43
	v_add_co_u32_e64 v48, s[0:1], s42, v48
	v_addc_co_u32_e64 v49, s[0:1], v17, v49, s[0:1]
	v_add_f32_e32 v24, v24, v47
	global_store_dword v[48:49], v41, off
.LBB282_16:                             ;   in Loop: Header=BB282_14 Depth=1
	s_or_b64 exec, exec, s[4:5]
	v_ashrrev_i32_e32 v19, 31, v46
	v_lshrrev_b32_e32 v17, 28, v19
	v_add_u32_e32 v17, v46, v17
	v_ashrrev_i32_e32 v17, 4, v17
	v_lshrrev_b32_e32 v21, 29, v17
	v_add_u32_e32 v21, v17, v21
	v_and_b32_e32 v21, -8, v21
	v_sub_u32_e32 v21, v17, v21
	v_cmp_eq_u32_e64 s[0:1], v23, v21
	s_and_saveexec_b64 s[48:49], s[0:1]
	s_cbranch_execz .LBB282_13
; %bb.17:                               ;   in Loop: Header=BB282_14 Depth=1
	v_lshrrev_b32_e32 v19, 25, v19
	v_add_u32_e32 v19, v46, v19
	v_lshlrev_b32_e32 v17, 4, v17
	v_sub_u32_e32 v17, v46, v17
	v_ashrrev_i32_e32 v19, 7, v19
	v_lshl_add_u32 v17, v19, 4, v17
	v_cmp_ne_u32_e64 s[0:1], 14, v17
	v_cmp_ne_u32_e64 s[2:3], 13, v17
	v_cmp_ne_u32_e64 s[4:5], 12, v17
	v_cmp_ne_u32_e64 s[6:7], 11, v17
	v_cmp_ne_u32_e64 s[8:9], 10, v17
	v_cmp_ne_u32_e64 s[10:11], 9, v17
	v_cmp_ne_u32_e64 s[12:13], 8, v17
	v_cmp_ne_u32_e64 s[14:15], 7, v17
	v_cmp_ne_u32_e64 s[16:17], 6, v17
	v_cmp_ne_u32_e64 s[18:19], 5, v17
	v_cmp_ne_u32_e64 s[20:21], 4, v17
	v_cmp_ne_u32_e64 s[22:23], 3, v17
	v_cmp_ne_u32_e64 s[24:25], 2, v17
	v_cmp_ne_u32_e64 s[26:27], 1, v17
	v_cmp_ne_u32_e64 s[28:29], 0, v17
	v_cmp_ne_u32_e64 s[30:31], 15, v17
	v_cndmask_b32_e64 v15, v45, v15, s[30:31]
	v_cndmask_b32_e64 v14, v45, v14, s[0:1]
	;; [unrolled: 1-line block ×16, first 2 shown]
	s_branch .LBB282_13
.LBB282_18:
	v_cmp_eq_u32_e32 vcc, 0, v23
	v_cmp_neq_f32_e64 s[0:1], 0, v24
	s_and_b64 s[0:1], vcc, s[0:1]
	s_and_b64 exec, exec, s[0:1]
	s_cbranch_execz .LBB282_29
; %bb.19:
	s_andn2_b64 vcc, exec, s[46:47]
	s_cbranch_vccnz .LBB282_29
; %bb.20:
	v_div_scale_f32 v0, s[0:1], v24, v24, 1.0
	v_rcp_f32_e32 v1, v0
	v_div_scale_f32 v2, vcc, 1.0, v24, 1.0
	s_cmp_gt_u32 s36, 3
	v_fma_f32 v3, -v0, v1, 1.0
	v_fmac_f32_e32 v1, v3, v1
	v_mul_f32_e32 v3, v2, v1
	v_fma_f32 v4, -v0, v3, v2
	v_fmac_f32_e32 v3, v4, v1
	v_fma_f32 v0, -v0, v3, v2
	v_div_fmas_f32 v0, v0, v1, v3
	v_mul_lo_u32 v2, v22, s39
	v_div_fixup_f32 v0, v0, v24, 1.0
	v_ashrrev_i32_e32 v3, 31, v2
	s_cbranch_scc0 .LBB282_24
; %bb.21:
	v_lshlrev_b64 v[4:5], 2, v[2:3]
	v_mov_b32_e32 v6, s35
	v_add_co_u32_e32 v4, vcc, s34, v4
	v_addc_co_u32_e32 v5, vcc, v5, v6, vcc
	s_and_b32 s4, s36, 0x7ffffffc
	v_add_co_u32_e32 v4, vcc, 8, v4
	v_mov_b32_e32 v1, v0
	v_addc_co_u32_e32 v5, vcc, 0, v5, vcc
	s_mov_b32 s0, s4
.LBB282_22:                             ; =>This Inner Loop Header: Depth=1
	global_load_dwordx4 v[6:9], v[4:5], off offset:-8
	s_add_i32 s0, s0, -4
	s_cmp_lg_u32 s0, 0
	s_waitcnt vmcnt(0)
	v_pk_mul_f32 v[6:7], v[0:1], v[6:7]
	v_pk_mul_f32 v[8:9], v[0:1], v[8:9]
	global_store_dwordx4 v[4:5], v[6:9], off offset:-8
	v_add_co_u32_e32 v4, vcc, 16, v4
	v_addc_co_u32_e32 v5, vcc, 0, v5, vcc
	s_cbranch_scc1 .LBB282_22
; %bb.23:
	s_cmp_lg_u32 s4, s36
	s_cselect_b64 s[0:1], -1, 0
	s_branch .LBB282_26
.LBB282_24:
	s_mov_b64 s[0:1], 0
                                        ; implicit-def: $sgpr4
	s_cbranch_execz .LBB282_26
; %bb.25:
	s_mov_b64 s[0:1], -1
	s_mov_b32 s4, 0
.LBB282_26:
	s_andn2_b64 vcc, exec, s[0:1]
	s_cbranch_vccnz .LBB282_29
; %bb.27:
	v_add_co_u32_e32 v2, vcc, s4, v2
	v_addc_co_u32_e32 v3, vcc, 0, v3, vcc
	v_lshlrev_b64 v[2:3], 2, v[2:3]
	v_mov_b32_e32 v1, s35
	v_add_co_u32_e32 v2, vcc, s34, v2
	s_sub_i32 s0, s36, s4
	v_addc_co_u32_e32 v3, vcc, v1, v3, vcc
.LBB282_28:                             ; =>This Inner Loop Header: Depth=1
	global_load_dword v1, v[2:3], off
	s_add_i32 s0, s0, -1
	s_cmp_lg_u32 s0, 0
	s_waitcnt vmcnt(0)
	v_mul_f32_e32 v1, v0, v1
	global_store_dword v[2:3], v1, off
	v_add_co_u32_e32 v2, vcc, 4, v2
	v_addc_co_u32_e32 v3, vcc, 0, v3, vcc
	s_cbranch_scc1 .LBB282_28
.LBB282_29:
	s_endpgm
	.section	.rodata,"a",@progbits
	.p2align	6, 0x0
	.amdhsa_kernel _ZN4vllm3moe17topkGatingSoftmaxItLi16ELi128ELi8ELi32ELb1ELi2ELNS0_23SharedExpertScoringFuncE1EEEvPKT_PKbPfiPiS9_iiiiii
		.amdhsa_group_segment_fixed_size 0
		.amdhsa_private_segment_fixed_size 0
		.amdhsa_kernarg_size 72
		.amdhsa_user_sgpr_count 6
		.amdhsa_user_sgpr_private_segment_buffer 1
		.amdhsa_user_sgpr_dispatch_ptr 0
		.amdhsa_user_sgpr_queue_ptr 0
		.amdhsa_user_sgpr_kernarg_segment_ptr 1
		.amdhsa_user_sgpr_dispatch_id 0
		.amdhsa_user_sgpr_flat_scratch_init 0
		.amdhsa_user_sgpr_kernarg_preload_length 0
		.amdhsa_user_sgpr_kernarg_preload_offset 0
		.amdhsa_user_sgpr_private_segment_size 0
		.amdhsa_uses_dynamic_stack 0
		.amdhsa_system_sgpr_private_segment_wavefront_offset 0
		.amdhsa_system_sgpr_workgroup_id_x 1
		.amdhsa_system_sgpr_workgroup_id_y 0
		.amdhsa_system_sgpr_workgroup_id_z 0
		.amdhsa_system_sgpr_workgroup_info 0
		.amdhsa_system_vgpr_workitem_id 1
		.amdhsa_next_free_vgpr 50
		.amdhsa_next_free_sgpr 54
		.amdhsa_accum_offset 52
		.amdhsa_reserve_vcc 1
		.amdhsa_reserve_flat_scratch 0
		.amdhsa_float_round_mode_32 0
		.amdhsa_float_round_mode_16_64 0
		.amdhsa_float_denorm_mode_32 3
		.amdhsa_float_denorm_mode_16_64 3
		.amdhsa_dx10_clamp 1
		.amdhsa_ieee_mode 1
		.amdhsa_fp16_overflow 0
		.amdhsa_tg_split 0
		.amdhsa_exception_fp_ieee_invalid_op 0
		.amdhsa_exception_fp_denorm_src 0
		.amdhsa_exception_fp_ieee_div_zero 0
		.amdhsa_exception_fp_ieee_overflow 0
		.amdhsa_exception_fp_ieee_underflow 0
		.amdhsa_exception_fp_ieee_inexact 0
		.amdhsa_exception_int_div_zero 0
	.end_amdhsa_kernel
	.section	.text._ZN4vllm3moe17topkGatingSoftmaxItLi16ELi128ELi8ELi32ELb1ELi2ELNS0_23SharedExpertScoringFuncE1EEEvPKT_PKbPfiPiS9_iiiiii,"axG",@progbits,_ZN4vllm3moe17topkGatingSoftmaxItLi16ELi128ELi8ELi32ELb1ELi2ELNS0_23SharedExpertScoringFuncE1EEEvPKT_PKbPfiPiS9_iiiiii,comdat
.Lfunc_end282:
	.size	_ZN4vllm3moe17topkGatingSoftmaxItLi16ELi128ELi8ELi32ELb1ELi2ELNS0_23SharedExpertScoringFuncE1EEEvPKT_PKbPfiPiS9_iiiiii, .Lfunc_end282-_ZN4vllm3moe17topkGatingSoftmaxItLi16ELi128ELi8ELi32ELb1ELi2ELNS0_23SharedExpertScoringFuncE1EEEvPKT_PKbPfiPiS9_iiiiii
                                        ; -- End function
	.section	.AMDGPU.csdata,"",@progbits
; Kernel info:
; codeLenInByte = 3372
; NumSgprs: 58
; NumVgprs: 50
; NumAgprs: 0
; TotalNumVgprs: 50
; ScratchSize: 0
; MemoryBound: 0
; FloatMode: 240
; IeeeMode: 1
; LDSByteSize: 0 bytes/workgroup (compile time only)
; SGPRBlocks: 7
; VGPRBlocks: 6
; NumSGPRsForWavesPerEU: 58
; NumVGPRsForWavesPerEU: 50
; AccumOffset: 52
; Occupancy: 8
; WaveLimiterHint : 0
; COMPUTE_PGM_RSRC2:SCRATCH_EN: 0
; COMPUTE_PGM_RSRC2:USER_SGPR: 6
; COMPUTE_PGM_RSRC2:TRAP_HANDLER: 0
; COMPUTE_PGM_RSRC2:TGID_X_EN: 1
; COMPUTE_PGM_RSRC2:TGID_Y_EN: 0
; COMPUTE_PGM_RSRC2:TGID_Z_EN: 0
; COMPUTE_PGM_RSRC2:TIDIG_COMP_CNT: 1
; COMPUTE_PGM_RSRC3_GFX90A:ACCUM_OFFSET: 12
; COMPUTE_PGM_RSRC3_GFX90A:TG_SPLIT: 0
	.section	.text._ZN4vllm3moe17topkGatingSoftmaxItLi16ELi128ELi8ELi32ELb0ELi2ELNS0_23SharedExpertScoringFuncE1EEEvPKT_PKbPfiPiS9_iiiiii,"axG",@progbits,_ZN4vllm3moe17topkGatingSoftmaxItLi16ELi128ELi8ELi32ELb0ELi2ELNS0_23SharedExpertScoringFuncE1EEEvPKT_PKbPfiPiS9_iiiiii,comdat
	.protected	_ZN4vllm3moe17topkGatingSoftmaxItLi16ELi128ELi8ELi32ELb0ELi2ELNS0_23SharedExpertScoringFuncE1EEEvPKT_PKbPfiPiS9_iiiiii ; -- Begin function _ZN4vllm3moe17topkGatingSoftmaxItLi16ELi128ELi8ELi32ELb0ELi2ELNS0_23SharedExpertScoringFuncE1EEEvPKT_PKbPfiPiS9_iiiiii
	.globl	_ZN4vllm3moe17topkGatingSoftmaxItLi16ELi128ELi8ELi32ELb0ELi2ELNS0_23SharedExpertScoringFuncE1EEEvPKT_PKbPfiPiS9_iiiiii
	.p2align	8
	.type	_ZN4vllm3moe17topkGatingSoftmaxItLi16ELi128ELi8ELi32ELb0ELi2ELNS0_23SharedExpertScoringFuncE1EEEvPKT_PKbPfiPiS9_iiiiii,@function
_ZN4vllm3moe17topkGatingSoftmaxItLi16ELi128ELi8ELi32ELb0ELi2ELNS0_23SharedExpertScoringFuncE1EEEvPKT_PKbPfiPiS9_iiiiii: ; @_ZN4vllm3moe17topkGatingSoftmaxItLi16ELi128ELi8ELi32ELb0ELi2ELNS0_23SharedExpertScoringFuncE1EEEvPKT_PKbPfiPiS9_iiiiii
; %bb.0:
	s_load_dword s33, s[4:5], 0x18
	v_bfe_u32 v1, v0, 10, 10
	v_and_b32_e32 v0, 0x3ff, v0
	s_lshl_b32 s50, s6, 6
	v_lshlrev_b32_e32 v41, 3, v1
	v_lshrrev_b32_e32 v43, 3, v0
	v_add3_u32 v22, s50, v41, v43
	s_waitcnt lgkmcnt(0)
	v_cmp_gt_i32_e32 vcc, s33, v22
	s_and_saveexec_b64 s[0:1], vcc
	s_cbranch_execz .LBB283_31
; %bb.1:
	s_load_dwordx4 s[0:3], s[4:5], 0x0
	s_load_dwordx2 s[34:35], s[4:5], 0x10
	s_waitcnt lgkmcnt(0)
	s_cmp_eq_u64 s[2:3], 0
	s_cbranch_scc1 .LBB283_3
; %bb.2:
	v_ashrrev_i32_e32 v1, 31, v22
	v_mov_b32_e32 v3, s3
	v_add_co_u32_e32 v2, vcc, s2, v22
	v_addc_co_u32_e32 v3, vcc, v3, v1, vcc
	global_load_ubyte v1, v[2:3], off
	s_waitcnt vmcnt(0)
	v_and_b32_e32 v1, 1, v1
	v_cmp_eq_u32_e32 vcc, 1, v1
	s_xor_b64 s[2:3], vcc, -1
	s_orn2_b64 s[46:47], s[2:3], exec
	s_branch .LBB283_4
.LBB283_3:
	s_mov_b64 s[46:47], -1
.LBB283_4:
	s_load_dwordx2 s[6:7], s[4:5], 0x40
	s_load_dwordx4 s[36:39], s[4:5], 0x30
	v_mov_b32_e32 v4, s1
	v_and_b32_e32 v23, 7, v0
	v_lshlrev_b32_e32 v0, 5, v23
	s_waitcnt lgkmcnt(0)
	v_mul_lo_u32 v2, v22, s7
	v_ashrrev_i32_e32 v3, 31, v2
	v_lshlrev_b64 v[2:3], 1, v[2:3]
	v_add_co_u32_e32 v1, vcc, s0, v2
	v_addc_co_u32_e32 v2, vcc, v4, v3, vcc
	v_add_co_u32_e32 v8, vcc, v1, v0
	v_addc_co_u32_e32 v9, vcc, 0, v2, vcc
	global_load_dwordx4 v[12:15], v[8:9], off offset:16
	global_load_dwordx4 v[4:7], v[8:9], off
	v_lshlrev_b32_e32 v26, 4, v23
	v_mov_b32_e32 v24, 0
	v_cmp_gt_u32_e32 vcc, 2, v23
	s_and_saveexec_b64 s[0:1], vcc
	s_cbranch_execz .LBB283_6
; %bb.5:
	v_lshlrev_b32_e32 v0, 1, v23
	v_add_co_u32_e32 v0, vcc, v1, v0
	v_addc_co_u32_e32 v1, vcc, 0, v2, vcc
	global_load_ushort v0, v[0:1], off offset:256
	s_mov_b32 s2, 0xbfb8aa3b
	s_mov_b32 s3, 0x42ce8ed0
	s_mov_b32 s7, 0xc2b17218
	v_mov_b32_e32 v3, 0x7f800000
	v_mul_lo_u32 v1, v22, s39
	v_mov_b32_e32 v10, s35
	s_waitcnt vmcnt(0)
	v_cvt_f32_u32_e32 v2, v0
	v_mul_f32_e32 v0, 0xbfb8aa3b, v2
	v_fma_f32 v8, v2, s2, -v0
	v_rndne_f32_e32 v9, v0
	v_fmac_f32_e32 v8, 0xb2a5705f, v2
	v_sub_f32_e32 v0, v0, v9
	v_add_f32_e32 v0, v0, v8
	v_cvt_i32_f32_e32 v9, v9
	v_exp_f32_e32 v8, v0
	v_cmp_nlt_f32_e32 vcc, s3, v2
	v_add3_u32 v0, v1, s36, v23
	v_ashrrev_i32_e32 v1, 31, v0
	v_ldexp_f32 v8, v8, v9
	v_cndmask_b32_e32 v8, 0, v8, vcc
	v_cmp_ngt_f32_e32 vcc, s7, v2
	v_cndmask_b32_e32 v2, v3, v8, vcc
	v_add_f32_e32 v2, 1.0, v2
	v_div_scale_f32 v3, s[2:3], v2, v2, 1.0
	v_rcp_f32_e32 v8, v3
	v_div_scale_f32 v9, vcc, 1.0, v2, 1.0
	v_lshlrev_b64 v[0:1], 2, v[0:1]
	v_fma_f32 v11, -v3, v8, 1.0
	v_fmac_f32_e32 v8, v11, v8
	v_mul_f32_e32 v11, v9, v8
	v_fma_f32 v16, -v3, v11, v9
	v_fmac_f32_e32 v11, v16, v8
	v_fma_f32 v3, -v3, v11, v9
	v_div_fmas_f32 v3, v3, v8, v11
	v_add_co_u32_e32 v0, vcc, s34, v0
	v_div_fixup_f32 v2, v3, v2, 1.0
	v_addc_co_u32_e32 v1, vcc, v10, v1, vcc
	global_store_dword v[0:1], v2, off
.LBB283_6:
	s_or_b64 exec, exec, s[0:1]
	s_waitcnt vmcnt(0)
	v_cvt_f32_u32_sdwa v1, v4 dst_sel:DWORD dst_unused:UNUSED_PAD src0_sel:WORD_1
	v_cvt_f32_u32_sdwa v0, v4 dst_sel:DWORD dst_unused:UNUSED_PAD src0_sel:WORD_0
	v_cvt_f32_u32_sdwa v2, v5 dst_sel:DWORD dst_unused:UNUSED_PAD src0_sel:WORD_0
	v_or_b32_e32 v27, 1, v26
	v_or_b32_e32 v28, 2, v26
	v_cmp_lt_f32_e32 vcc, v0, v1
	v_cndmask_b32_e32 v4, v0, v1, vcc
	v_cndmask_b32_e32 v3, v26, v27, vcc
	v_cmp_lt_f32_e32 vcc, v4, v2
	v_cndmask_b32_e32 v8, v3, v28, vcc
	v_cvt_f32_u32_sdwa v3, v5 dst_sel:DWORD dst_unused:UNUSED_PAD src0_sel:WORD_1
	v_cndmask_b32_e32 v4, v4, v2, vcc
	v_or_b32_e32 v29, 3, v26
	v_or_b32_e32 v30, 4, v26
	v_cmp_lt_f32_e32 vcc, v4, v3
	v_cndmask_b32_e32 v5, v8, v29, vcc
	v_cndmask_b32_e32 v8, v4, v3, vcc
	v_cvt_f32_u32_sdwa v4, v6 dst_sel:DWORD dst_unused:UNUSED_PAD src0_sel:WORD_0
	v_or_b32_e32 v31, 5, v26
	v_or_b32_e32 v32, 6, v26
	;; [unrolled: 1-line block ×3, first 2 shown]
	v_cmp_lt_f32_e32 vcc, v8, v4
	v_cndmask_b32_e32 v9, v5, v30, vcc
	v_cvt_f32_u32_sdwa v5, v6 dst_sel:DWORD dst_unused:UNUSED_PAD src0_sel:WORD_1
	v_cvt_f32_u32_sdwa v6, v7 dst_sel:DWORD dst_unused:UNUSED_PAD src0_sel:WORD_0
	v_cndmask_b32_e32 v8, v8, v4, vcc
	v_cvt_f32_u32_sdwa v7, v7 dst_sel:DWORD dst_unused:UNUSED_PAD src0_sel:WORD_1
	v_cmp_lt_f32_e32 vcc, v8, v5
	v_cndmask_b32_e32 v8, v8, v5, vcc
	v_cndmask_b32_e32 v9, v9, v31, vcc
	v_cmp_lt_f32_e32 vcc, v8, v6
	v_cndmask_b32_e32 v8, v8, v6, vcc
	v_cndmask_b32_e32 v9, v9, v32, vcc
	v_cmp_lt_f32_e32 vcc, v8, v7
	v_cndmask_b32_e32 v10, v8, v7, vcc
	v_cvt_f32_u32_sdwa v8, v12 dst_sel:DWORD dst_unused:UNUSED_PAD src0_sel:WORD_0
	v_cndmask_b32_e32 v9, v9, v33, vcc
	v_or_b32_e32 v34, 8, v26
	v_or_b32_e32 v35, 9, v26
	v_cmp_lt_f32_e32 vcc, v10, v8
	v_cndmask_b32_e32 v11, v9, v34, vcc
	v_cvt_f32_u32_sdwa v9, v12 dst_sel:DWORD dst_unused:UNUSED_PAD src0_sel:WORD_1
	v_cndmask_b32_e32 v10, v10, v8, vcc
	v_or_b32_e32 v36, 10, v26
	v_or_b32_e32 v37, 11, v26
	v_cmp_lt_f32_e32 vcc, v10, v9
	v_cndmask_b32_e32 v12, v10, v9, vcc
	v_cvt_f32_u32_sdwa v10, v13 dst_sel:DWORD dst_unused:UNUSED_PAD src0_sel:WORD_0
	v_cndmask_b32_e32 v11, v11, v35, vcc
	v_or_b32_e32 v38, 12, v26
	v_or_b32_e32 v39, 13, v26
	v_cmp_lt_f32_e32 vcc, v12, v10
	v_cndmask_b32_e32 v16, v11, v36, vcc
	v_cvt_f32_u32_sdwa v11, v13 dst_sel:DWORD dst_unused:UNUSED_PAD src0_sel:WORD_1
	v_cndmask_b32_e32 v12, v12, v10, vcc
	v_or_b32_e32 v40, 14, v26
	v_or_b32_e32 v42, 15, v26
	v_cmp_lt_f32_e32 vcc, v12, v11
	v_cndmask_b32_e32 v13, v16, v37, vcc
	v_cndmask_b32_e32 v16, v12, v11, vcc
	v_cvt_f32_u32_sdwa v12, v14 dst_sel:DWORD dst_unused:UNUSED_PAD src0_sel:WORD_0
	v_cmp_lt_f32_e32 vcc, v16, v12
	v_cndmask_b32_e32 v17, v13, v38, vcc
	v_cvt_f32_u32_sdwa v13, v14 dst_sel:DWORD dst_unused:UNUSED_PAD src0_sel:WORD_1
	v_cvt_f32_u32_sdwa v14, v15 dst_sel:DWORD dst_unused:UNUSED_PAD src0_sel:WORD_0
	v_cndmask_b32_e32 v16, v16, v12, vcc
	v_cvt_f32_u32_sdwa v15, v15 dst_sel:DWORD dst_unused:UNUSED_PAD src0_sel:WORD_1
	v_cmp_lt_f32_e32 vcc, v16, v13
	v_cndmask_b32_e32 v16, v16, v13, vcc
	v_cndmask_b32_e32 v17, v17, v39, vcc
	v_cmp_lt_f32_e32 vcc, v16, v14
	v_cndmask_b32_e32 v16, v16, v14, vcc
	v_cndmask_b32_e32 v17, v17, v40, vcc
	v_cmp_lt_f32_e32 vcc, v16, v15
	v_cndmask_b32_e32 v17, v17, v42, vcc
	v_cndmask_b32_e32 v16, v16, v15, vcc
	s_nop 0
	v_mov_b32_dpp v19, v17 quad_perm:[1,0,3,2] row_mask:0xf bank_mask:0xf
	v_mov_b32_dpp v18, v16 quad_perm:[1,0,3,2] row_mask:0xf bank_mask:0xf
	v_cmp_eq_f32_e64 s[0:1], v16, v18
	v_cmp_lt_i32_e64 s[2:3], v19, v17
	v_cmp_lt_f32_e32 vcc, v16, v18
	s_and_b64 s[0:1], s[0:1], s[2:3]
	s_or_b64 vcc, vcc, s[0:1]
	v_cndmask_b32_e32 v16, v16, v18, vcc
	v_cndmask_b32_e32 v17, v17, v19, vcc
	s_nop 0
	v_mov_b32_dpp v18, v16 quad_perm:[2,3,0,1] row_mask:0xf bank_mask:0xf
	v_mov_b32_dpp v19, v17 quad_perm:[2,3,0,1] row_mask:0xf bank_mask:0xf
	v_cmp_eq_f32_e64 s[0:1], v16, v18
	v_cmp_lt_i32_e64 s[2:3], v19, v17
	v_cmp_lt_f32_e32 vcc, v16, v18
	s_and_b64 s[0:1], s[0:1], s[2:3]
	s_or_b64 vcc, vcc, s[0:1]
	v_cndmask_b32_e32 v18, v16, v18, vcc
	v_cndmask_b32_e32 v16, v17, v19, vcc
	s_nop 0
	v_mov_b32_dpp v19, v18 row_half_mirror row_mask:0xf bank_mask:0xf
	v_mov_b32_dpp v17, v16 row_half_mirror row_mask:0xf bank_mask:0xf
	v_cmp_eq_f32_e64 s[0:1], v18, v19
	v_cmp_lt_i32_e64 s[2:3], v17, v16
	v_cmp_lt_f32_e32 vcc, v18, v19
	s_and_b64 s[0:1], s[0:1], s[2:3]
	s_or_b64 s[0:1], vcc, s[0:1]
	s_cmp_gt_i32 s36, 0
	v_cndmask_b32_e64 v25, v18, v19, s[0:1]
	s_cselect_b64 s[44:45], -1, 0
	s_cmp_lt_i32 s36, 1
	v_cmp_eq_u32_e32 vcc, 0, v23
	s_cbranch_scc1 .LBB283_18
; %bb.7:
	s_load_dwordx4 s[40:43], s[4:5], 0x20
	v_cndmask_b32_e64 v44, v16, v17, s[0:1]
	v_mul_lo_u32 v20, v22, s39
	v_mul_lo_u32 v18, v22, s6
	;; [unrolled: 1-line block ×3, first 2 shown]
	v_mov_b32_e32 v24, 0
	s_and_saveexec_b64 s[4:5], vcc
	s_cbranch_execz .LBB283_9
; %bb.8:
	v_sub_f32_e32 v17, v25, v25
	v_mul_f32_e32 v19, 0x3fb8aa3b, v17
	s_mov_b32 s0, 0x3fb8aa3b
	v_rndne_f32_e32 v21, v19
	v_sub_f32_e32 v24, v19, v21
	v_fma_f32 v19, v17, s0, -v19
	v_fmac_f32_e32 v19, 0x32a5705f, v17
	v_add_f32_e32 v19, v24, v19
	v_exp_f32_e32 v19, v19
	v_cvt_i32_f32_e32 v21, v21
	v_cmp_le_i32_e64 s[0:1], s37, v44
	v_cmp_gt_i32_e64 s[2:3], s38, v44
	s_and_b64 s[2:3], s[0:1], s[2:3]
	s_mov_b32 s0, 0xc2ce8ed0
	v_ldexp_f32 v19, v19, v21
	v_cmp_ngt_f32_e64 s[0:1], s0, v17
	v_cndmask_b32_e64 v19, 0, v19, s[0:1]
	s_mov_b32 s0, 0x42b17218
	v_mov_b32_e32 v21, 0x7f800000
	v_cmp_nlt_f32_e64 s[0:1], s0, v17
	v_cndmask_b32_e64 v24, v21, v19, s[0:1]
	v_ashrrev_i32_e32 v21, 31, v20
	v_lshlrev_b64 v[46:47], 2, v[20:21]
	v_mov_b32_e32 v17, s35
	v_add_co_u32_e64 v46, s[0:1], s34, v46
	v_addc_co_u32_e64 v47, s[0:1], v17, v47, s[0:1]
	v_subrev_u32_e32 v17, s37, v44
	v_mov_b32_e32 v19, 0x80
	s_and_b64 s[0:1], s[46:47], s[2:3]
	v_cndmask_b32_e64 v17, v19, v17, s[0:1]
	v_ashrrev_i32_e32 v19, 31, v18
	global_store_dword v[46:47], v24, off
	v_lshlrev_b64 v[46:47], 2, v[18:19]
	s_waitcnt lgkmcnt(0)
	v_mov_b32_e32 v19, s41
	v_add_co_u32_e64 v46, s[0:1], s40, v46
	v_addc_co_u32_e64 v47, s[0:1], v19, v47, s[0:1]
	global_store_dword v[46:47], v17, off
	v_ashrrev_i32_e32 v17, 31, v16
	v_lshlrev_b64 v[46:47], 2, v[16:17]
	v_mov_b32_e32 v17, s43
	v_add_co_u32_e64 v46, s[0:1], s42, v46
	v_addc_co_u32_e64 v47, s[0:1], v17, v47, s[0:1]
	global_store_dword v[46:47], v22, off
.LBB283_9:
	s_or_b64 exec, exec, s[4:5]
	v_ashrrev_i32_e32 v19, 31, v44
	v_lshrrev_b32_e32 v17, 28, v19
	v_add_u32_e32 v17, v44, v17
	v_ashrrev_i32_e32 v17, 4, v17
	v_lshrrev_b32_e32 v21, 29, v17
	v_add_u32_e32 v21, v17, v21
	v_and_b32_e32 v21, -8, v21
	v_sub_u32_e32 v21, v17, v21
	v_cmp_eq_u32_e64 s[0:1], v23, v21
	s_and_saveexec_b64 s[48:49], s[0:1]
	s_cbranch_execz .LBB283_11
; %bb.10:
	v_lshrrev_b32_e32 v19, 25, v19
	v_add_u32_e32 v19, v44, v19
	v_lshlrev_b32_e32 v17, 4, v17
	v_sub_u32_e32 v17, v44, v17
	v_ashrrev_i32_e32 v19, 7, v19
	v_lshl_add_u32 v17, v19, 4, v17
	v_mov_b32_e32 v19, 0xff800000
	v_cmp_ne_u32_e64 s[0:1], 14, v17
	v_cmp_ne_u32_e64 s[2:3], 13, v17
	v_cmp_ne_u32_e64 s[4:5], 12, v17
	v_cmp_ne_u32_e64 s[6:7], 11, v17
	v_cmp_ne_u32_e64 s[8:9], 10, v17
	v_cmp_ne_u32_e64 s[10:11], 9, v17
	v_cmp_ne_u32_e64 s[12:13], 8, v17
	v_cmp_ne_u32_e64 s[14:15], 7, v17
	v_cmp_ne_u32_e64 s[16:17], 6, v17
	v_cmp_ne_u32_e64 s[18:19], 5, v17
	v_cmp_ne_u32_e64 s[20:21], 4, v17
	v_cmp_ne_u32_e64 s[22:23], 3, v17
	v_cmp_ne_u32_e64 s[24:25], 2, v17
	v_cmp_ne_u32_e64 s[26:27], 1, v17
	v_cmp_ne_u32_e64 s[28:29], 0, v17
	v_cmp_ne_u32_e64 s[30:31], 15, v17
	v_cndmask_b32_e64 v15, v19, v15, s[30:31]
	v_cndmask_b32_e64 v14, v19, v14, s[0:1]
	;; [unrolled: 1-line block ×16, first 2 shown]
.LBB283_11:
	s_or_b64 exec, exec, s[48:49]
	s_cmp_eq_u32 s36, 1
	s_cbranch_scc1 .LBB283_18
; %bb.12:
	s_add_i32 s50, s50, s33
	s_add_i32 s51, s36, -1
	v_add3_u32 v41, s50, v43, v41
	v_add_u32_e32 v16, 1, v16
	v_add_u32_e32 v18, 1, v18
	;; [unrolled: 1-line block ×3, first 2 shown]
	s_mov_b32 s50, 0x3fb8aa3b
	s_mov_b32 s52, 0xc2ce8ed0
	;; [unrolled: 1-line block ×3, first 2 shown]
	v_mov_b32_e32 v43, 0x7f800000
	v_mov_b32_e32 v44, 0x80
	;; [unrolled: 1-line block ×3, first 2 shown]
	s_branch .LBB283_14
.LBB283_13:                             ;   in Loop: Header=BB283_14 Depth=1
	s_or_b64 exec, exec, s[48:49]
	s_add_i32 s51, s51, -1
	v_add_u32_e32 v41, s33, v41
	v_add_u32_e32 v16, 1, v16
	;; [unrolled: 1-line block ×3, first 2 shown]
	s_cmp_eq_u32 s51, 0
	v_add_u32_e32 v20, 1, v20
	s_cbranch_scc1 .LBB283_18
.LBB283_14:                             ; =>This Inner Loop Header: Depth=1
	v_cmp_gt_f32_e64 s[0:1], v1, v0
	v_cndmask_b32_e64 v19, v0, v1, s[0:1]
	v_cndmask_b32_e64 v17, v26, v27, s[0:1]
	v_cmp_gt_f32_e64 s[0:1], v2, v19
	v_cndmask_b32_e64 v19, v19, v2, s[0:1]
	v_cndmask_b32_e64 v17, v17, v28, s[0:1]
	;; [unrolled: 3-line block ×15, first 2 shown]
	s_nop 0
	v_mov_b32_dpp v46, v17 quad_perm:[1,0,3,2] row_mask:0xf bank_mask:0xf
	v_mov_b32_dpp v21, v19 quad_perm:[1,0,3,2] row_mask:0xf bank_mask:0xf
	v_cmp_eq_f32_e64 s[2:3], v19, v21
	v_cmp_lt_i32_e64 s[4:5], v46, v17
	v_cmp_lt_f32_e64 s[0:1], v19, v21
	s_and_b64 s[2:3], s[2:3], s[4:5]
	s_or_b64 s[0:1], s[0:1], s[2:3]
	v_cndmask_b32_e64 v19, v19, v21, s[0:1]
	v_cndmask_b32_e64 v21, v17, v46, s[0:1]
	s_nop 0
	v_mov_b32_dpp v17, v19 quad_perm:[2,3,0,1] row_mask:0xf bank_mask:0xf
	v_mov_b32_dpp v46, v21 quad_perm:[2,3,0,1] row_mask:0xf bank_mask:0xf
	v_cmp_eq_f32_e64 s[2:3], v19, v17
	v_cmp_lt_i32_e64 s[4:5], v46, v21
	v_cmp_lt_f32_e64 s[0:1], v19, v17
	s_and_b64 s[2:3], s[2:3], s[4:5]
	s_or_b64 s[0:1], s[0:1], s[2:3]
	v_cndmask_b32_e64 v17, v19, v17, s[0:1]
	v_cndmask_b32_e64 v21, v21, v46, s[0:1]
	s_nop 0
	v_mov_b32_dpp v19, v17 row_half_mirror row_mask:0xf bank_mask:0xf
	v_mov_b32_dpp v46, v21 row_half_mirror row_mask:0xf bank_mask:0xf
	v_cmp_eq_f32_e64 s[2:3], v17, v19
	v_cmp_lt_i32_e64 s[4:5], v46, v21
	v_cmp_lt_f32_e64 s[0:1], v17, v19
	s_and_b64 s[2:3], s[2:3], s[4:5]
	s_or_b64 s[0:1], s[0:1], s[2:3]
	v_cndmask_b32_e64 v46, v21, v46, s[0:1]
	s_and_saveexec_b64 s[4:5], vcc
	s_cbranch_execz .LBB283_16
; %bb.15:                               ;   in Loop: Header=BB283_14 Depth=1
	v_cndmask_b32_e64 v17, v17, v19, s[0:1]
	v_sub_f32_e32 v17, v17, v25
	v_mul_f32_e32 v19, 0x3fb8aa3b, v17
	v_fma_f32 v21, v17, s50, -v19
	v_rndne_f32_e32 v47, v19
	v_fmac_f32_e32 v21, 0x32a5705f, v17
	v_sub_f32_e32 v19, v19, v47
	v_add_f32_e32 v19, v19, v21
	v_exp_f32_e32 v19, v19
	v_cvt_i32_f32_e32 v21, v47
	v_cmp_le_i32_e64 s[0:1], s37, v46
	v_cmp_gt_i32_e64 s[2:3], s38, v46
	s_and_b64 s[2:3], s[0:1], s[2:3]
	v_ldexp_f32 v19, v19, v21
	v_cmp_ngt_f32_e64 s[0:1], s52, v17
	v_ashrrev_i32_e32 v21, 31, v20
	v_cndmask_b32_e64 v19, 0, v19, s[0:1]
	v_cmp_nlt_f32_e64 s[0:1], s53, v17
	v_lshlrev_b64 v[48:49], 2, v[20:21]
	v_cndmask_b32_e64 v47, v43, v19, s[0:1]
	v_mov_b32_e32 v17, s35
	v_add_co_u32_e64 v48, s[0:1], s34, v48
	v_addc_co_u32_e64 v49, s[0:1], v17, v49, s[0:1]
	v_ashrrev_i32_e32 v19, 31, v18
	global_store_dword v[48:49], v47, off
	v_subrev_u32_e32 v17, s37, v46
	s_and_b64 s[0:1], s[46:47], s[2:3]
	v_lshlrev_b64 v[48:49], 2, v[18:19]
	v_cndmask_b32_e64 v17, v44, v17, s[0:1]
	s_waitcnt lgkmcnt(0)
	v_mov_b32_e32 v19, s41
	v_add_co_u32_e64 v48, s[0:1], s40, v48
	v_addc_co_u32_e64 v49, s[0:1], v19, v49, s[0:1]
	global_store_dword v[48:49], v17, off
	v_ashrrev_i32_e32 v17, 31, v16
	v_lshlrev_b64 v[48:49], 2, v[16:17]
	v_mov_b32_e32 v17, s43
	v_add_co_u32_e64 v48, s[0:1], s42, v48
	v_addc_co_u32_e64 v49, s[0:1], v17, v49, s[0:1]
	v_add_f32_e32 v24, v24, v47
	global_store_dword v[48:49], v41, off
.LBB283_16:                             ;   in Loop: Header=BB283_14 Depth=1
	s_or_b64 exec, exec, s[4:5]
	v_ashrrev_i32_e32 v19, 31, v46
	v_lshrrev_b32_e32 v17, 28, v19
	v_add_u32_e32 v17, v46, v17
	v_ashrrev_i32_e32 v17, 4, v17
	v_lshrrev_b32_e32 v21, 29, v17
	v_add_u32_e32 v21, v17, v21
	v_and_b32_e32 v21, -8, v21
	v_sub_u32_e32 v21, v17, v21
	v_cmp_eq_u32_e64 s[0:1], v23, v21
	s_and_saveexec_b64 s[48:49], s[0:1]
	s_cbranch_execz .LBB283_13
; %bb.17:                               ;   in Loop: Header=BB283_14 Depth=1
	v_lshrrev_b32_e32 v19, 25, v19
	v_add_u32_e32 v19, v46, v19
	v_lshlrev_b32_e32 v17, 4, v17
	v_sub_u32_e32 v17, v46, v17
	v_ashrrev_i32_e32 v19, 7, v19
	v_lshl_add_u32 v17, v19, 4, v17
	v_cmp_ne_u32_e64 s[0:1], 14, v17
	v_cmp_ne_u32_e64 s[2:3], 13, v17
	;; [unrolled: 1-line block ×16, first 2 shown]
	v_cndmask_b32_e64 v15, v45, v15, s[30:31]
	v_cndmask_b32_e64 v14, v45, v14, s[0:1]
	;; [unrolled: 1-line block ×16, first 2 shown]
	s_branch .LBB283_13
.LBB283_18:
	v_sub_f32_e32 v0, v0, v25
	s_mov_b32 s2, 0x3fb8aa3b
	v_mul_f32_e32 v16, 0x3fb8aa3b, v0
	v_fma_f32 v17, v0, s2, -v16
	v_rndne_f32_e32 v18, v16
	v_fmac_f32_e32 v17, 0x32a5705f, v0
	v_sub_f32_e32 v16, v16, v18
	v_add_f32_e32 v16, v16, v17
	v_exp_f32_e32 v16, v16
	v_cvt_i32_f32_e32 v17, v18
	v_sub_f32_e32 v1, v1, v25
	s_mov_b32 s4, 0xc2ce8ed0
	s_mov_b32 s3, 0x42b17218
	v_ldexp_f32 v16, v16, v17
	v_mul_f32_e32 v17, 0x3fb8aa3b, v1
	v_fma_f32 v18, v1, s2, -v17
	v_rndne_f32_e32 v19, v17
	v_fmac_f32_e32 v18, 0x32a5705f, v1
	v_sub_f32_e32 v17, v17, v19
	v_add_f32_e32 v17, v17, v18
	v_exp_f32_e32 v17, v17
	v_cvt_i32_f32_e32 v18, v19
	v_cmp_ngt_f32_e32 vcc, s4, v1
	v_cmp_ngt_f32_e64 s[0:1], s4, v0
	v_sub_f32_e32 v2, v2, v25
	v_ldexp_f32 v17, v17, v18
	v_cndmask_b32_e32 v17, 0, v17, vcc
	v_mov_b32_e32 v18, 0x7f800000
	v_cmp_nlt_f32_e32 vcc, s3, v1
	v_cndmask_b32_e64 v1, 0, v16, s[0:1]
	v_cmp_nlt_f32_e64 s[0:1], s3, v0
	v_cndmask_b32_e64 v0, v18, v1, s[0:1]
	v_cndmask_b32_e32 v1, v18, v17, vcc
	v_add_f32_e32 v0, v0, v1
	v_mul_f32_e32 v1, 0x3fb8aa3b, v2
	v_fma_f32 v16, v2, s2, -v1
	v_rndne_f32_e32 v17, v1
	v_fmac_f32_e32 v16, 0x32a5705f, v2
	v_sub_f32_e32 v1, v1, v17
	v_add_f32_e32 v1, v1, v16
	v_exp_f32_e32 v1, v1
	v_cvt_i32_f32_e32 v16, v17
	v_cmp_ngt_f32_e32 vcc, s4, v2
	v_sub_f32_e32 v3, v3, v25
	v_sub_f32_e32 v4, v4, v25
	v_ldexp_f32 v1, v1, v16
	v_cndmask_b32_e32 v1, 0, v1, vcc
	v_cmp_nlt_f32_e32 vcc, s3, v2
	v_cndmask_b32_e32 v1, v18, v1, vcc
	v_add_f32_e32 v0, v0, v1
	v_mul_f32_e32 v1, 0x3fb8aa3b, v3
	v_fma_f32 v2, v3, s2, -v1
	v_rndne_f32_e32 v16, v1
	v_fmac_f32_e32 v2, 0x32a5705f, v3
	v_sub_f32_e32 v1, v1, v16
	v_add_f32_e32 v1, v1, v2
	v_exp_f32_e32 v1, v1
	v_cvt_i32_f32_e32 v2, v16
	v_cmp_ngt_f32_e32 vcc, s4, v3
	v_sub_f32_e32 v5, v5, v25
	v_sub_f32_e32 v6, v6, v25
	v_ldexp_f32 v1, v1, v2
	v_cndmask_b32_e32 v1, 0, v1, vcc
	v_cmp_nlt_f32_e32 vcc, s3, v3
	;; [unrolled: 16-line block ×5, first 2 shown]
	v_cndmask_b32_e32 v1, v18, v1, vcc
	v_add_f32_e32 v0, v0, v1
	v_mul_f32_e32 v1, 0x3fb8aa3b, v7
	v_fma_f32 v2, v7, s2, -v1
	v_rndne_f32_e32 v3, v1
	v_fmac_f32_e32 v2, 0x32a5705f, v7
	v_sub_f32_e32 v1, v1, v3
	v_add_f32_e32 v1, v1, v2
	v_exp_f32_e32 v1, v1
	v_cvt_i32_f32_e32 v2, v3
	v_cmp_ngt_f32_e32 vcc, s4, v7
	v_ldexp_f32 v1, v1, v2
	v_mul_f32_e32 v2, 0x3fb8aa3b, v8
	v_fma_f32 v3, v8, s2, -v2
	v_rndne_f32_e32 v4, v2
	v_fmac_f32_e32 v3, 0x32a5705f, v8
	v_sub_f32_e32 v2, v2, v4
	v_add_f32_e32 v2, v2, v3
	v_exp_f32_e32 v2, v2
	v_cvt_i32_f32_e32 v3, v4
	v_cndmask_b32_e32 v1, 0, v1, vcc
	v_cmp_nlt_f32_e32 vcc, s3, v7
	v_cndmask_b32_e32 v1, v18, v1, vcc
	v_add_f32_e32 v0, v0, v1
	v_ldexp_f32 v1, v2, v3
	v_mul_f32_e32 v2, 0x3fb8aa3b, v9
	v_fma_f32 v3, v9, s2, -v2
	v_rndne_f32_e32 v4, v2
	v_fmac_f32_e32 v3, 0x32a5705f, v9
	v_sub_f32_e32 v2, v2, v4
	v_add_f32_e32 v2, v2, v3
	v_exp_f32_e32 v2, v2
	v_cvt_i32_f32_e32 v3, v4
	v_cmp_ngt_f32_e32 vcc, s4, v8
	v_cndmask_b32_e32 v1, 0, v1, vcc
	v_cmp_nlt_f32_e32 vcc, s3, v8
	v_cndmask_b32_e32 v1, v18, v1, vcc
	v_add_f32_e32 v0, v0, v1
	v_ldexp_f32 v1, v2, v3
	v_mul_f32_e32 v2, 0x3fb8aa3b, v10
	v_fma_f32 v3, v10, s2, -v2
	v_rndne_f32_e32 v4, v2
	v_fmac_f32_e32 v3, 0x32a5705f, v10
	v_sub_f32_e32 v2, v2, v4
	v_add_f32_e32 v2, v2, v3
	v_exp_f32_e32 v2, v2
	v_cvt_i32_f32_e32 v3, v4
	v_cmp_ngt_f32_e32 vcc, s4, v9
	;; [unrolled: 14-line block ×4, first 2 shown]
	v_cndmask_b32_e32 v1, 0, v1, vcc
	v_cmp_nlt_f32_e32 vcc, s3, v11
	v_cndmask_b32_e32 v1, v18, v1, vcc
	v_add_f32_e32 v0, v0, v1
	v_ldexp_f32 v1, v2, v3
	v_sub_f32_e32 v2, v13, v25
	v_mul_f32_e32 v3, 0x3fb8aa3b, v2
	v_fma_f32 v4, v2, s2, -v3
	v_rndne_f32_e32 v5, v3
	v_fmac_f32_e32 v4, 0x32a5705f, v2
	v_sub_f32_e32 v3, v3, v5
	v_add_f32_e32 v3, v3, v4
	v_exp_f32_e32 v3, v3
	v_cvt_i32_f32_e32 v4, v5
	v_cmp_ngt_f32_e32 vcc, s4, v12
	v_cndmask_b32_e32 v1, 0, v1, vcc
	v_cmp_nlt_f32_e32 vcc, s3, v12
	v_cndmask_b32_e32 v1, v18, v1, vcc
	v_add_f32_e32 v0, v0, v1
	v_ldexp_f32 v1, v3, v4
	v_sub_f32_e32 v3, v14, v25
	v_mul_f32_e32 v4, 0x3fb8aa3b, v3
	v_fma_f32 v5, v3, s2, -v4
	v_rndne_f32_e32 v6, v4
	v_fmac_f32_e32 v5, 0x32a5705f, v3
	v_sub_f32_e32 v4, v4, v6
	v_add_f32_e32 v4, v4, v5
	v_exp_f32_e32 v4, v4
	v_cvt_i32_f32_e32 v5, v6
	v_cmp_ngt_f32_e32 vcc, s4, v2
	v_cndmask_b32_e32 v1, 0, v1, vcc
	v_cmp_nlt_f32_e32 vcc, s3, v2
	v_cndmask_b32_e32 v1, v18, v1, vcc
	v_sub_f32_e32 v2, v15, v25
	v_add_f32_e32 v0, v0, v1
	v_ldexp_f32 v1, v4, v5
	v_mul_f32_e32 v4, 0x3fb8aa3b, v2
	v_fma_f32 v5, v2, s2, -v4
	v_rndne_f32_e32 v6, v4
	v_fmac_f32_e32 v5, 0x32a5705f, v2
	v_sub_f32_e32 v4, v4, v6
	v_add_f32_e32 v4, v4, v5
	v_exp_f32_e32 v4, v4
	v_cvt_i32_f32_e32 v5, v6
	v_cmp_ngt_f32_e32 vcc, s4, v3
	v_cndmask_b32_e32 v1, 0, v1, vcc
	v_cmp_nlt_f32_e32 vcc, s3, v3
	v_cndmask_b32_e32 v1, v18, v1, vcc
	v_add_f32_e32 v0, v0, v1
	v_ldexp_f32 v1, v4, v5
	v_cmp_ngt_f32_e32 vcc, s4, v2
	v_cndmask_b32_e32 v1, 0, v1, vcc
	v_cmp_nlt_f32_e32 vcc, s3, v2
	v_cndmask_b32_e32 v1, v18, v1, vcc
	v_add_f32_e32 v0, v0, v1
	v_cmp_eq_u32_e32 vcc, 0, v23
	s_nop 0
	v_mov_b32_dpp v1, v0 quad_perm:[1,0,3,2] row_mask:0xf bank_mask:0xf
	v_add_f32_e32 v0, v0, v1
	s_nop 1
	v_mov_b32_dpp v1, v0 quad_perm:[2,3,0,1] row_mask:0xf bank_mask:0xf
	v_add_f32_e32 v0, v0, v1
	s_nop 1
	v_mov_b32_dpp v1, v0 row_half_mirror row_mask:0xf bank_mask:0xf
	s_and_b64 exec, exec, vcc
	s_cbranch_execz .LBB283_31
; %bb.19:
	v_add_f32_e32 v0, v0, v1
	v_add_f32_e32 v0, v24, v0
	v_cmp_neq_f32_e32 vcc, 0, v0
	s_and_b64 exec, exec, vcc
	s_cbranch_execz .LBB283_31
; %bb.20:
	s_andn2_b64 vcc, exec, s[44:45]
	s_cbranch_vccnz .LBB283_31
; %bb.21:
	v_div_scale_f32 v1, s[0:1], v0, v0, 1.0
	v_rcp_f32_e32 v2, v1
	v_div_scale_f32 v3, vcc, 1.0, v0, 1.0
	s_cmp_gt_u32 s36, 3
	v_fma_f32 v4, -v1, v2, 1.0
	v_fmac_f32_e32 v2, v4, v2
	v_mul_f32_e32 v4, v3, v2
	v_fma_f32 v5, -v1, v4, v3
	v_fmac_f32_e32 v4, v5, v2
	v_fma_f32 v1, -v1, v4, v3
	v_div_fmas_f32 v1, v1, v2, v4
	v_mul_lo_u32 v2, v22, s39
	v_div_fixup_f32 v0, v1, v0, 1.0
	v_ashrrev_i32_e32 v3, 31, v2
	s_cbranch_scc0 .LBB283_25
; %bb.22:
	v_lshlrev_b64 v[4:5], 2, v[2:3]
	v_mov_b32_e32 v6, s35
	v_add_co_u32_e32 v4, vcc, s34, v4
	v_addc_co_u32_e32 v5, vcc, v5, v6, vcc
	s_and_b32 s4, s36, 0x7ffffffc
	v_add_co_u32_e32 v4, vcc, 8, v4
	v_mov_b32_e32 v1, v0
	v_addc_co_u32_e32 v5, vcc, 0, v5, vcc
	s_mov_b32 s0, s4
.LBB283_23:                             ; =>This Inner Loop Header: Depth=1
	global_load_dwordx4 v[6:9], v[4:5], off offset:-8
	s_add_i32 s0, s0, -4
	s_cmp_lg_u32 s0, 0
	s_waitcnt vmcnt(0)
	v_pk_mul_f32 v[6:7], v[0:1], v[6:7]
	v_pk_mul_f32 v[8:9], v[0:1], v[8:9]
	global_store_dwordx4 v[4:5], v[6:9], off offset:-8
	v_add_co_u32_e32 v4, vcc, 16, v4
	v_addc_co_u32_e32 v5, vcc, 0, v5, vcc
	s_cbranch_scc1 .LBB283_23
; %bb.24:
	s_cmp_lg_u32 s4, s36
	s_mov_b64 s[2:3], 0
	s_cselect_b64 s[0:1], -1, 0
	s_branch .LBB283_26
.LBB283_25:
	s_mov_b64 s[2:3], -1
	s_mov_b64 s[0:1], 0
                                        ; implicit-def: $sgpr4
.LBB283_26:
	s_and_b64 vcc, exec, s[2:3]
	s_cbranch_vccz .LBB283_28
; %bb.27:
	s_mov_b64 s[0:1], -1
	s_mov_b32 s4, 0
.LBB283_28:
	s_andn2_b64 vcc, exec, s[0:1]
	s_cbranch_vccnz .LBB283_31
; %bb.29:
	v_add_co_u32_e32 v2, vcc, s4, v2
	v_addc_co_u32_e32 v3, vcc, 0, v3, vcc
	v_lshlrev_b64 v[2:3], 2, v[2:3]
	v_mov_b32_e32 v1, s35
	v_add_co_u32_e32 v2, vcc, s34, v2
	s_sub_i32 s0, s36, s4
	v_addc_co_u32_e32 v3, vcc, v1, v3, vcc
.LBB283_30:                             ; =>This Inner Loop Header: Depth=1
	global_load_dword v1, v[2:3], off
	s_add_i32 s0, s0, -1
	s_cmp_lg_u32 s0, 0
	s_waitcnt vmcnt(0)
	v_mul_f32_e32 v1, v0, v1
	global_store_dword v[2:3], v1, off
	v_add_co_u32_e32 v2, vcc, 4, v2
	v_addc_co_u32_e32 v3, vcc, 0, v3, vcc
	s_cbranch_scc1 .LBB283_30
.LBB283_31:
	s_endpgm
	.section	.rodata,"a",@progbits
	.p2align	6, 0x0
	.amdhsa_kernel _ZN4vllm3moe17topkGatingSoftmaxItLi16ELi128ELi8ELi32ELb0ELi2ELNS0_23SharedExpertScoringFuncE1EEEvPKT_PKbPfiPiS9_iiiiii
		.amdhsa_group_segment_fixed_size 0
		.amdhsa_private_segment_fixed_size 0
		.amdhsa_kernarg_size 72
		.amdhsa_user_sgpr_count 6
		.amdhsa_user_sgpr_private_segment_buffer 1
		.amdhsa_user_sgpr_dispatch_ptr 0
		.amdhsa_user_sgpr_queue_ptr 0
		.amdhsa_user_sgpr_kernarg_segment_ptr 1
		.amdhsa_user_sgpr_dispatch_id 0
		.amdhsa_user_sgpr_flat_scratch_init 0
		.amdhsa_user_sgpr_kernarg_preload_length 0
		.amdhsa_user_sgpr_kernarg_preload_offset 0
		.amdhsa_user_sgpr_private_segment_size 0
		.amdhsa_uses_dynamic_stack 0
		.amdhsa_system_sgpr_private_segment_wavefront_offset 0
		.amdhsa_system_sgpr_workgroup_id_x 1
		.amdhsa_system_sgpr_workgroup_id_y 0
		.amdhsa_system_sgpr_workgroup_id_z 0
		.amdhsa_system_sgpr_workgroup_info 0
		.amdhsa_system_vgpr_workitem_id 1
		.amdhsa_next_free_vgpr 50
		.amdhsa_next_free_sgpr 54
		.amdhsa_accum_offset 52
		.amdhsa_reserve_vcc 1
		.amdhsa_reserve_flat_scratch 0
		.amdhsa_float_round_mode_32 0
		.amdhsa_float_round_mode_16_64 0
		.amdhsa_float_denorm_mode_32 3
		.amdhsa_float_denorm_mode_16_64 3
		.amdhsa_dx10_clamp 1
		.amdhsa_ieee_mode 1
		.amdhsa_fp16_overflow 0
		.amdhsa_tg_split 0
		.amdhsa_exception_fp_ieee_invalid_op 0
		.amdhsa_exception_fp_denorm_src 0
		.amdhsa_exception_fp_ieee_div_zero 0
		.amdhsa_exception_fp_ieee_overflow 0
		.amdhsa_exception_fp_ieee_underflow 0
		.amdhsa_exception_fp_ieee_inexact 0
		.amdhsa_exception_int_div_zero 0
	.end_amdhsa_kernel
	.section	.text._ZN4vllm3moe17topkGatingSoftmaxItLi16ELi128ELi8ELi32ELb0ELi2ELNS0_23SharedExpertScoringFuncE1EEEvPKT_PKbPfiPiS9_iiiiii,"axG",@progbits,_ZN4vllm3moe17topkGatingSoftmaxItLi16ELi128ELi8ELi32ELb0ELi2ELNS0_23SharedExpertScoringFuncE1EEEvPKT_PKbPfiPiS9_iiiiii,comdat
.Lfunc_end283:
	.size	_ZN4vllm3moe17topkGatingSoftmaxItLi16ELi128ELi8ELi32ELb0ELi2ELNS0_23SharedExpertScoringFuncE1EEEvPKT_PKbPfiPiS9_iiiiii, .Lfunc_end283-_ZN4vllm3moe17topkGatingSoftmaxItLi16ELi128ELi8ELi32ELb0ELi2ELNS0_23SharedExpertScoringFuncE1EEEvPKT_PKbPfiPiS9_iiiiii
                                        ; -- End function
	.section	.AMDGPU.csdata,"",@progbits
; Kernel info:
; codeLenInByte = 4696
; NumSgprs: 58
; NumVgprs: 50
; NumAgprs: 0
; TotalNumVgprs: 50
; ScratchSize: 0
; MemoryBound: 0
; FloatMode: 240
; IeeeMode: 1
; LDSByteSize: 0 bytes/workgroup (compile time only)
; SGPRBlocks: 7
; VGPRBlocks: 6
; NumSGPRsForWavesPerEU: 58
; NumVGPRsForWavesPerEU: 50
; AccumOffset: 52
; Occupancy: 8
; WaveLimiterHint : 0
; COMPUTE_PGM_RSRC2:SCRATCH_EN: 0
; COMPUTE_PGM_RSRC2:USER_SGPR: 6
; COMPUTE_PGM_RSRC2:TRAP_HANDLER: 0
; COMPUTE_PGM_RSRC2:TGID_X_EN: 1
; COMPUTE_PGM_RSRC2:TGID_Y_EN: 0
; COMPUTE_PGM_RSRC2:TGID_Z_EN: 0
; COMPUTE_PGM_RSRC2:TIDIG_COMP_CNT: 1
; COMPUTE_PGM_RSRC3_GFX90A:ACCUM_OFFSET: 12
; COMPUTE_PGM_RSRC3_GFX90A:TG_SPLIT: 0
	.section	.text._ZN4vllm3moe17topkGatingSoftmaxItLi16ELi128ELi8ELi32ELb1ELi4ELNS0_23SharedExpertScoringFuncE1EEEvPKT_PKbPfiPiS9_iiiiii,"axG",@progbits,_ZN4vllm3moe17topkGatingSoftmaxItLi16ELi128ELi8ELi32ELb1ELi4ELNS0_23SharedExpertScoringFuncE1EEEvPKT_PKbPfiPiS9_iiiiii,comdat
	.protected	_ZN4vllm3moe17topkGatingSoftmaxItLi16ELi128ELi8ELi32ELb1ELi4ELNS0_23SharedExpertScoringFuncE1EEEvPKT_PKbPfiPiS9_iiiiii ; -- Begin function _ZN4vllm3moe17topkGatingSoftmaxItLi16ELi128ELi8ELi32ELb1ELi4ELNS0_23SharedExpertScoringFuncE1EEEvPKT_PKbPfiPiS9_iiiiii
	.globl	_ZN4vllm3moe17topkGatingSoftmaxItLi16ELi128ELi8ELi32ELb1ELi4ELNS0_23SharedExpertScoringFuncE1EEEvPKT_PKbPfiPiS9_iiiiii
	.p2align	8
	.type	_ZN4vllm3moe17topkGatingSoftmaxItLi16ELi128ELi8ELi32ELb1ELi4ELNS0_23SharedExpertScoringFuncE1EEEvPKT_PKbPfiPiS9_iiiiii,@function
_ZN4vllm3moe17topkGatingSoftmaxItLi16ELi128ELi8ELi32ELb1ELi4ELNS0_23SharedExpertScoringFuncE1EEEvPKT_PKbPfiPiS9_iiiiii: ; @_ZN4vllm3moe17topkGatingSoftmaxItLi16ELi128ELi8ELi32ELb1ELi4ELNS0_23SharedExpertScoringFuncE1EEEvPKT_PKbPfiPiS9_iiiiii
; %bb.0:
	s_load_dword s33, s[4:5], 0x18
	v_bfe_u32 v1, v0, 10, 10
	v_and_b32_e32 v0, 0x3ff, v0
	s_lshl_b32 s50, s6, 6
	v_lshlrev_b32_e32 v41, 3, v1
	v_lshrrev_b32_e32 v42, 3, v0
	v_add3_u32 v22, s50, v41, v42
	s_waitcnt lgkmcnt(0)
	v_cmp_gt_i32_e32 vcc, s33, v22
	s_and_saveexec_b64 s[0:1], vcc
	s_cbranch_execz .LBB284_29
; %bb.1:
	s_load_dwordx4 s[0:3], s[4:5], 0x0
	s_load_dwordx2 s[34:35], s[4:5], 0x10
	s_waitcnt lgkmcnt(0)
	s_cmp_eq_u64 s[2:3], 0
	s_cbranch_scc1 .LBB284_3
; %bb.2:
	v_ashrrev_i32_e32 v1, 31, v22
	v_mov_b32_e32 v3, s3
	v_add_co_u32_e32 v2, vcc, s2, v22
	v_addc_co_u32_e32 v3, vcc, v3, v1, vcc
	global_load_ubyte v1, v[2:3], off
	s_waitcnt vmcnt(0)
	v_and_b32_e32 v1, 1, v1
	v_cmp_eq_u32_e32 vcc, 1, v1
	s_xor_b64 s[2:3], vcc, -1
	s_orn2_b64 s[44:45], s[2:3], exec
	s_branch .LBB284_4
.LBB284_3:
	s_mov_b64 s[44:45], -1
.LBB284_4:
	s_load_dwordx2 s[8:9], s[4:5], 0x40
	s_load_dwordx4 s[36:39], s[4:5], 0x30
	v_mov_b32_e32 v4, s1
	v_and_b32_e32 v23, 7, v0
	v_lshlrev_b32_e32 v0, 5, v23
	s_waitcnt lgkmcnt(0)
	v_mul_lo_u32 v2, v22, s9
	v_ashrrev_i32_e32 v3, 31, v2
	v_lshlrev_b64 v[2:3], 1, v[2:3]
	v_add_co_u32_e32 v1, vcc, s0, v2
	v_addc_co_u32_e32 v2, vcc, v4, v3, vcc
	v_add_co_u32_e32 v8, vcc, v1, v0
	v_addc_co_u32_e32 v9, vcc, 0, v2, vcc
	global_load_dwordx4 v[12:15], v[8:9], off offset:16
	global_load_dwordx4 v[4:7], v[8:9], off
	v_lshlrev_b32_e32 v25, 4, v23
	v_mov_b32_e32 v24, 0
	v_cmp_gt_u32_e32 vcc, 4, v23
	s_and_saveexec_b64 s[0:1], vcc
	s_cbranch_execz .LBB284_6
; %bb.5:
	v_lshlrev_b32_e32 v0, 1, v23
	v_add_co_u32_e32 v0, vcc, v1, v0
	v_addc_co_u32_e32 v1, vcc, 0, v2, vcc
	global_load_ushort v0, v[0:1], off offset:256
	s_mov_b32 s2, 0xbfb8aa3b
	s_mov_b32 s3, 0x42ce8ed0
	;; [unrolled: 1-line block ×3, first 2 shown]
	v_mov_b32_e32 v3, 0x7f800000
	v_mul_lo_u32 v1, v22, s39
	v_mov_b32_e32 v10, s35
	s_waitcnt vmcnt(0)
	v_cvt_f32_u32_e32 v2, v0
	v_mul_f32_e32 v0, 0xbfb8aa3b, v2
	v_fma_f32 v8, v2, s2, -v0
	v_rndne_f32_e32 v9, v0
	v_fmac_f32_e32 v8, 0xb2a5705f, v2
	v_sub_f32_e32 v0, v0, v9
	v_add_f32_e32 v0, v0, v8
	v_cvt_i32_f32_e32 v9, v9
	v_exp_f32_e32 v8, v0
	v_cmp_nlt_f32_e32 vcc, s3, v2
	v_add3_u32 v0, v1, s36, v23
	v_ashrrev_i32_e32 v1, 31, v0
	v_ldexp_f32 v8, v8, v9
	v_cndmask_b32_e32 v8, 0, v8, vcc
	v_cmp_ngt_f32_e32 vcc, s6, v2
	v_cndmask_b32_e32 v2, v3, v8, vcc
	v_add_f32_e32 v2, 1.0, v2
	v_div_scale_f32 v3, s[2:3], v2, v2, 1.0
	v_rcp_f32_e32 v8, v3
	v_div_scale_f32 v9, vcc, 1.0, v2, 1.0
	v_lshlrev_b64 v[0:1], 2, v[0:1]
	v_fma_f32 v11, -v3, v8, 1.0
	v_fmac_f32_e32 v8, v11, v8
	v_mul_f32_e32 v11, v9, v8
	v_fma_f32 v16, -v3, v11, v9
	v_fmac_f32_e32 v11, v16, v8
	v_fma_f32 v3, -v3, v11, v9
	v_div_fmas_f32 v3, v3, v8, v11
	v_add_co_u32_e32 v0, vcc, s34, v0
	v_div_fixup_f32 v2, v3, v2, 1.0
	v_addc_co_u32_e32 v1, vcc, v10, v1, vcc
	global_store_dword v[0:1], v2, off
.LBB284_6:
	s_or_b64 exec, exec, s[0:1]
	s_waitcnt vmcnt(0)
	v_cvt_f32_u32_sdwa v1, v4 dst_sel:DWORD dst_unused:UNUSED_PAD src0_sel:WORD_1
	v_cvt_f32_u32_sdwa v0, v4 dst_sel:DWORD dst_unused:UNUSED_PAD src0_sel:WORD_0
	v_cvt_f32_u32_sdwa v2, v5 dst_sel:DWORD dst_unused:UNUSED_PAD src0_sel:WORD_0
	v_or_b32_e32 v26, 1, v25
	v_or_b32_e32 v27, 2, v25
	v_cmp_lt_f32_e32 vcc, v0, v1
	v_cndmask_b32_e32 v4, v0, v1, vcc
	v_cndmask_b32_e32 v3, v25, v26, vcc
	v_cmp_lt_f32_e32 vcc, v4, v2
	v_cndmask_b32_e32 v8, v3, v27, vcc
	v_cvt_f32_u32_sdwa v3, v5 dst_sel:DWORD dst_unused:UNUSED_PAD src0_sel:WORD_1
	v_cndmask_b32_e32 v4, v4, v2, vcc
	v_or_b32_e32 v28, 3, v25
	v_or_b32_e32 v29, 4, v25
	v_cmp_lt_f32_e32 vcc, v4, v3
	v_cndmask_b32_e32 v5, v8, v28, vcc
	v_cndmask_b32_e32 v8, v4, v3, vcc
	v_cvt_f32_u32_sdwa v4, v6 dst_sel:DWORD dst_unused:UNUSED_PAD src0_sel:WORD_0
	v_or_b32_e32 v30, 5, v25
	v_or_b32_e32 v31, 6, v25
	v_or_b32_e32 v32, 7, v25
	v_cmp_lt_f32_e32 vcc, v8, v4
	v_cndmask_b32_e32 v9, v5, v29, vcc
	v_cvt_f32_u32_sdwa v5, v6 dst_sel:DWORD dst_unused:UNUSED_PAD src0_sel:WORD_1
	v_cvt_f32_u32_sdwa v6, v7 dst_sel:DWORD dst_unused:UNUSED_PAD src0_sel:WORD_0
	v_cndmask_b32_e32 v8, v8, v4, vcc
	v_cvt_f32_u32_sdwa v7, v7 dst_sel:DWORD dst_unused:UNUSED_PAD src0_sel:WORD_1
	v_cmp_lt_f32_e32 vcc, v8, v5
	v_cndmask_b32_e32 v8, v8, v5, vcc
	v_cndmask_b32_e32 v9, v9, v30, vcc
	v_cmp_lt_f32_e32 vcc, v8, v6
	v_cndmask_b32_e32 v8, v8, v6, vcc
	v_cndmask_b32_e32 v9, v9, v31, vcc
	v_cmp_lt_f32_e32 vcc, v8, v7
	v_cndmask_b32_e32 v10, v8, v7, vcc
	v_cvt_f32_u32_sdwa v8, v12 dst_sel:DWORD dst_unused:UNUSED_PAD src0_sel:WORD_0
	v_cndmask_b32_e32 v9, v9, v32, vcc
	v_or_b32_e32 v33, 8, v25
	v_or_b32_e32 v34, 9, v25
	v_cmp_lt_f32_e32 vcc, v10, v8
	v_cndmask_b32_e32 v11, v9, v33, vcc
	v_cvt_f32_u32_sdwa v9, v12 dst_sel:DWORD dst_unused:UNUSED_PAD src0_sel:WORD_1
	v_cndmask_b32_e32 v10, v10, v8, vcc
	v_or_b32_e32 v35, 10, v25
	v_or_b32_e32 v36, 11, v25
	v_cmp_lt_f32_e32 vcc, v10, v9
	v_cndmask_b32_e32 v12, v10, v9, vcc
	v_cvt_f32_u32_sdwa v10, v13 dst_sel:DWORD dst_unused:UNUSED_PAD src0_sel:WORD_0
	v_cndmask_b32_e32 v11, v11, v34, vcc
	v_or_b32_e32 v37, 12, v25
	v_or_b32_e32 v38, 13, v25
	v_cmp_lt_f32_e32 vcc, v12, v10
	v_cndmask_b32_e32 v16, v11, v35, vcc
	v_cvt_f32_u32_sdwa v11, v13 dst_sel:DWORD dst_unused:UNUSED_PAD src0_sel:WORD_1
	v_cndmask_b32_e32 v12, v12, v10, vcc
	v_or_b32_e32 v39, 14, v25
	v_or_b32_e32 v40, 15, v25
	v_cmp_lt_f32_e32 vcc, v12, v11
	v_cndmask_b32_e32 v13, v16, v36, vcc
	v_cndmask_b32_e32 v16, v12, v11, vcc
	v_cvt_f32_u32_sdwa v12, v14 dst_sel:DWORD dst_unused:UNUSED_PAD src0_sel:WORD_0
	v_cmp_lt_f32_e32 vcc, v16, v12
	v_cndmask_b32_e32 v17, v13, v37, vcc
	v_cvt_f32_u32_sdwa v13, v14 dst_sel:DWORD dst_unused:UNUSED_PAD src0_sel:WORD_1
	v_cvt_f32_u32_sdwa v14, v15 dst_sel:DWORD dst_unused:UNUSED_PAD src0_sel:WORD_0
	v_cndmask_b32_e32 v16, v16, v12, vcc
	v_cvt_f32_u32_sdwa v15, v15 dst_sel:DWORD dst_unused:UNUSED_PAD src0_sel:WORD_1
	v_cmp_lt_f32_e32 vcc, v16, v13
	v_cndmask_b32_e32 v16, v16, v13, vcc
	v_cndmask_b32_e32 v17, v17, v38, vcc
	v_cmp_lt_f32_e32 vcc, v16, v14
	v_cndmask_b32_e32 v16, v16, v14, vcc
	v_cndmask_b32_e32 v17, v17, v39, vcc
	;; [unrolled: 3-line block ×3, first 2 shown]
	s_nop 0
	v_mov_b32_dpp v19, v17 quad_perm:[1,0,3,2] row_mask:0xf bank_mask:0xf
	v_mov_b32_dpp v18, v16 quad_perm:[1,0,3,2] row_mask:0xf bank_mask:0xf
	v_cmp_eq_f32_e64 s[0:1], v16, v18
	v_cmp_lt_i32_e64 s[2:3], v19, v17
	v_cmp_lt_f32_e32 vcc, v16, v18
	s_and_b64 s[0:1], s[0:1], s[2:3]
	s_or_b64 vcc, vcc, s[0:1]
	v_cndmask_b32_e32 v16, v16, v18, vcc
	v_cndmask_b32_e32 v17, v17, v19, vcc
	s_nop 0
	v_mov_b32_dpp v18, v16 quad_perm:[2,3,0,1] row_mask:0xf bank_mask:0xf
	v_mov_b32_dpp v19, v17 quad_perm:[2,3,0,1] row_mask:0xf bank_mask:0xf
	v_cmp_eq_f32_e64 s[0:1], v16, v18
	v_cmp_lt_i32_e64 s[2:3], v19, v17
	v_cmp_lt_f32_e32 vcc, v16, v18
	s_and_b64 s[0:1], s[0:1], s[2:3]
	s_or_b64 vcc, vcc, s[0:1]
	v_cndmask_b32_e32 v16, v16, v18, vcc
	v_cndmask_b32_e32 v17, v17, v19, vcc
	s_cmp_gt_i32 s36, 0
	s_cselect_b64 s[46:47], -1, 0
	s_cmp_lt_i32 s36, 1
	v_cmp_eq_u32_e32 vcc, 0, v23
	v_mov_b32_dpp v18, v17 row_half_mirror row_mask:0xf bank_mask:0xf
	v_mov_b32_dpp v19, v16 row_half_mirror row_mask:0xf bank_mask:0xf
	s_cbranch_scc1 .LBB284_18
; %bb.7:
	s_load_dwordx4 s[40:43], s[4:5], 0x20
	v_cmp_eq_f32_e64 s[2:3], v16, v19
	v_cmp_lt_i32_e64 s[6:7], v18, v17
	v_cmp_lt_f32_e64 s[0:1], v16, v19
	s_and_b64 s[2:3], s[2:3], s[6:7]
	s_or_b64 s[0:1], s[0:1], s[2:3]
	v_cndmask_b32_e64 v44, v17, v18, s[0:1]
	v_cndmask_b32_e64 v43, v16, v19, s[0:1]
	v_mul_lo_u32 v20, v22, s39
	v_mul_lo_u32 v18, v22, s8
	;; [unrolled: 1-line block ×3, first 2 shown]
	v_mov_b32_e32 v24, 0
	s_and_saveexec_b64 s[4:5], vcc
	s_cbranch_execz .LBB284_9
; %bb.8:
	v_sub_f32_e32 v17, v43, v43
	v_mul_f32_e32 v19, 0x3fb8aa3b, v17
	s_mov_b32 s0, 0x3fb8aa3b
	v_rndne_f32_e32 v21, v19
	v_sub_f32_e32 v24, v19, v21
	v_fma_f32 v19, v17, s0, -v19
	v_fmac_f32_e32 v19, 0x32a5705f, v17
	v_add_f32_e32 v19, v24, v19
	v_exp_f32_e32 v19, v19
	v_cvt_i32_f32_e32 v21, v21
	v_cmp_le_i32_e64 s[0:1], s37, v44
	v_cmp_gt_i32_e64 s[2:3], s38, v44
	s_and_b64 s[2:3], s[0:1], s[2:3]
	s_mov_b32 s0, 0xc2ce8ed0
	v_ldexp_f32 v19, v19, v21
	v_cmp_ngt_f32_e64 s[0:1], s0, v17
	v_cndmask_b32_e64 v19, 0, v19, s[0:1]
	s_mov_b32 s0, 0x42b17218
	v_mov_b32_e32 v21, 0x7f800000
	v_cmp_nlt_f32_e64 s[0:1], s0, v17
	v_cndmask_b32_e64 v24, v21, v19, s[0:1]
	v_ashrrev_i32_e32 v21, 31, v20
	v_lshlrev_b64 v[46:47], 2, v[20:21]
	v_mov_b32_e32 v17, s35
	v_add_co_u32_e64 v46, s[0:1], s34, v46
	v_addc_co_u32_e64 v47, s[0:1], v17, v47, s[0:1]
	v_subrev_u32_e32 v17, s37, v44
	v_mov_b32_e32 v19, 0x80
	s_and_b64 s[0:1], s[44:45], s[2:3]
	v_cndmask_b32_e64 v17, v19, v17, s[0:1]
	v_ashrrev_i32_e32 v19, 31, v18
	global_store_dword v[46:47], v24, off
	v_lshlrev_b64 v[46:47], 2, v[18:19]
	s_waitcnt lgkmcnt(0)
	v_mov_b32_e32 v19, s41
	v_add_co_u32_e64 v46, s[0:1], s40, v46
	v_addc_co_u32_e64 v47, s[0:1], v19, v47, s[0:1]
	global_store_dword v[46:47], v17, off
	v_ashrrev_i32_e32 v17, 31, v16
	v_lshlrev_b64 v[46:47], 2, v[16:17]
	v_mov_b32_e32 v17, s43
	v_add_co_u32_e64 v46, s[0:1], s42, v46
	v_addc_co_u32_e64 v47, s[0:1], v17, v47, s[0:1]
	global_store_dword v[46:47], v22, off
.LBB284_9:
	s_or_b64 exec, exec, s[4:5]
	v_ashrrev_i32_e32 v19, 31, v44
	v_lshrrev_b32_e32 v17, 28, v19
	v_add_u32_e32 v17, v44, v17
	v_ashrrev_i32_e32 v17, 4, v17
	v_lshrrev_b32_e32 v21, 29, v17
	v_add_u32_e32 v21, v17, v21
	v_and_b32_e32 v21, -8, v21
	v_sub_u32_e32 v21, v17, v21
	v_cmp_eq_u32_e64 s[0:1], v23, v21
	s_and_saveexec_b64 s[48:49], s[0:1]
	s_cbranch_execz .LBB284_11
; %bb.10:
	v_lshrrev_b32_e32 v19, 25, v19
	v_add_u32_e32 v19, v44, v19
	v_lshlrev_b32_e32 v17, 4, v17
	v_sub_u32_e32 v17, v44, v17
	v_ashrrev_i32_e32 v19, 7, v19
	v_lshl_add_u32 v17, v19, 4, v17
	v_mov_b32_e32 v19, 0xff800000
	v_cmp_ne_u32_e64 s[0:1], 14, v17
	v_cmp_ne_u32_e64 s[2:3], 13, v17
	;; [unrolled: 1-line block ×16, first 2 shown]
	v_cndmask_b32_e64 v15, v19, v15, s[30:31]
	v_cndmask_b32_e64 v14, v19, v14, s[0:1]
	;; [unrolled: 1-line block ×16, first 2 shown]
.LBB284_11:
	s_or_b64 exec, exec, s[48:49]
	s_cmp_eq_u32 s36, 1
	s_cbranch_scc1 .LBB284_18
; %bb.12:
	s_add_i32 s50, s50, s33
	s_add_i32 s51, s36, -1
	v_add3_u32 v41, s50, v42, v41
	v_add_u32_e32 v16, 1, v16
	v_add_u32_e32 v18, 1, v18
	;; [unrolled: 1-line block ×3, first 2 shown]
	s_mov_b32 s50, 0x3fb8aa3b
	s_mov_b32 s52, 0xc2ce8ed0
	;; [unrolled: 1-line block ×3, first 2 shown]
	v_mov_b32_e32 v42, 0x7f800000
	v_mov_b32_e32 v44, 0x80
	;; [unrolled: 1-line block ×3, first 2 shown]
	s_branch .LBB284_14
.LBB284_13:                             ;   in Loop: Header=BB284_14 Depth=1
	s_or_b64 exec, exec, s[48:49]
	s_add_i32 s51, s51, -1
	v_add_u32_e32 v41, s33, v41
	v_add_u32_e32 v16, 1, v16
	;; [unrolled: 1-line block ×3, first 2 shown]
	s_cmp_eq_u32 s51, 0
	v_add_u32_e32 v20, 1, v20
	s_cbranch_scc1 .LBB284_18
.LBB284_14:                             ; =>This Inner Loop Header: Depth=1
	v_cmp_gt_f32_e64 s[0:1], v1, v0
	v_cndmask_b32_e64 v19, v0, v1, s[0:1]
	v_cndmask_b32_e64 v17, v25, v26, s[0:1]
	v_cmp_gt_f32_e64 s[0:1], v2, v19
	v_cndmask_b32_e64 v19, v19, v2, s[0:1]
	v_cndmask_b32_e64 v17, v17, v27, s[0:1]
	;; [unrolled: 3-line block ×15, first 2 shown]
	s_nop 0
	v_mov_b32_dpp v46, v17 quad_perm:[1,0,3,2] row_mask:0xf bank_mask:0xf
	v_mov_b32_dpp v21, v19 quad_perm:[1,0,3,2] row_mask:0xf bank_mask:0xf
	v_cmp_eq_f32_e64 s[2:3], v19, v21
	v_cmp_lt_i32_e64 s[4:5], v46, v17
	v_cmp_lt_f32_e64 s[0:1], v19, v21
	s_and_b64 s[2:3], s[2:3], s[4:5]
	s_or_b64 s[0:1], s[0:1], s[2:3]
	v_cndmask_b32_e64 v19, v19, v21, s[0:1]
	v_cndmask_b32_e64 v21, v17, v46, s[0:1]
	s_nop 0
	v_mov_b32_dpp v17, v19 quad_perm:[2,3,0,1] row_mask:0xf bank_mask:0xf
	v_mov_b32_dpp v46, v21 quad_perm:[2,3,0,1] row_mask:0xf bank_mask:0xf
	v_cmp_eq_f32_e64 s[2:3], v19, v17
	v_cmp_lt_i32_e64 s[4:5], v46, v21
	v_cmp_lt_f32_e64 s[0:1], v19, v17
	s_and_b64 s[2:3], s[2:3], s[4:5]
	s_or_b64 s[0:1], s[0:1], s[2:3]
	v_cndmask_b32_e64 v17, v19, v17, s[0:1]
	v_cndmask_b32_e64 v21, v21, v46, s[0:1]
	s_nop 0
	v_mov_b32_dpp v19, v17 row_half_mirror row_mask:0xf bank_mask:0xf
	v_mov_b32_dpp v46, v21 row_half_mirror row_mask:0xf bank_mask:0xf
	v_cmp_eq_f32_e64 s[2:3], v17, v19
	v_cmp_lt_i32_e64 s[4:5], v46, v21
	v_cmp_lt_f32_e64 s[0:1], v17, v19
	s_and_b64 s[2:3], s[2:3], s[4:5]
	s_or_b64 s[0:1], s[0:1], s[2:3]
	v_cndmask_b32_e64 v46, v21, v46, s[0:1]
	s_and_saveexec_b64 s[4:5], vcc
	s_cbranch_execz .LBB284_16
; %bb.15:                               ;   in Loop: Header=BB284_14 Depth=1
	v_cndmask_b32_e64 v17, v17, v19, s[0:1]
	v_sub_f32_e32 v17, v17, v43
	v_mul_f32_e32 v19, 0x3fb8aa3b, v17
	v_fma_f32 v21, v17, s50, -v19
	v_rndne_f32_e32 v47, v19
	v_fmac_f32_e32 v21, 0x32a5705f, v17
	v_sub_f32_e32 v19, v19, v47
	v_add_f32_e32 v19, v19, v21
	v_exp_f32_e32 v19, v19
	v_cvt_i32_f32_e32 v21, v47
	v_cmp_le_i32_e64 s[0:1], s37, v46
	v_cmp_gt_i32_e64 s[2:3], s38, v46
	s_and_b64 s[2:3], s[0:1], s[2:3]
	v_ldexp_f32 v19, v19, v21
	v_cmp_ngt_f32_e64 s[0:1], s52, v17
	v_ashrrev_i32_e32 v21, 31, v20
	v_cndmask_b32_e64 v19, 0, v19, s[0:1]
	v_cmp_nlt_f32_e64 s[0:1], s53, v17
	v_lshlrev_b64 v[48:49], 2, v[20:21]
	v_cndmask_b32_e64 v47, v42, v19, s[0:1]
	v_mov_b32_e32 v17, s35
	v_add_co_u32_e64 v48, s[0:1], s34, v48
	v_addc_co_u32_e64 v49, s[0:1], v17, v49, s[0:1]
	v_ashrrev_i32_e32 v19, 31, v18
	global_store_dword v[48:49], v47, off
	v_subrev_u32_e32 v17, s37, v46
	s_and_b64 s[0:1], s[44:45], s[2:3]
	v_lshlrev_b64 v[48:49], 2, v[18:19]
	v_cndmask_b32_e64 v17, v44, v17, s[0:1]
	s_waitcnt lgkmcnt(0)
	v_mov_b32_e32 v19, s41
	v_add_co_u32_e64 v48, s[0:1], s40, v48
	v_addc_co_u32_e64 v49, s[0:1], v19, v49, s[0:1]
	global_store_dword v[48:49], v17, off
	v_ashrrev_i32_e32 v17, 31, v16
	v_lshlrev_b64 v[48:49], 2, v[16:17]
	v_mov_b32_e32 v17, s43
	v_add_co_u32_e64 v48, s[0:1], s42, v48
	v_addc_co_u32_e64 v49, s[0:1], v17, v49, s[0:1]
	v_add_f32_e32 v24, v24, v47
	global_store_dword v[48:49], v41, off
.LBB284_16:                             ;   in Loop: Header=BB284_14 Depth=1
	s_or_b64 exec, exec, s[4:5]
	v_ashrrev_i32_e32 v19, 31, v46
	v_lshrrev_b32_e32 v17, 28, v19
	v_add_u32_e32 v17, v46, v17
	v_ashrrev_i32_e32 v17, 4, v17
	v_lshrrev_b32_e32 v21, 29, v17
	v_add_u32_e32 v21, v17, v21
	v_and_b32_e32 v21, -8, v21
	v_sub_u32_e32 v21, v17, v21
	v_cmp_eq_u32_e64 s[0:1], v23, v21
	s_and_saveexec_b64 s[48:49], s[0:1]
	s_cbranch_execz .LBB284_13
; %bb.17:                               ;   in Loop: Header=BB284_14 Depth=1
	v_lshrrev_b32_e32 v19, 25, v19
	v_add_u32_e32 v19, v46, v19
	v_lshlrev_b32_e32 v17, 4, v17
	v_sub_u32_e32 v17, v46, v17
	v_ashrrev_i32_e32 v19, 7, v19
	v_lshl_add_u32 v17, v19, 4, v17
	v_cmp_ne_u32_e64 s[0:1], 14, v17
	v_cmp_ne_u32_e64 s[2:3], 13, v17
	;; [unrolled: 1-line block ×16, first 2 shown]
	v_cndmask_b32_e64 v15, v45, v15, s[30:31]
	v_cndmask_b32_e64 v14, v45, v14, s[0:1]
	;; [unrolled: 1-line block ×16, first 2 shown]
	s_branch .LBB284_13
.LBB284_18:
	v_cmp_eq_u32_e32 vcc, 0, v23
	v_cmp_neq_f32_e64 s[0:1], 0, v24
	s_and_b64 s[0:1], vcc, s[0:1]
	s_and_b64 exec, exec, s[0:1]
	s_cbranch_execz .LBB284_29
; %bb.19:
	s_andn2_b64 vcc, exec, s[46:47]
	s_cbranch_vccnz .LBB284_29
; %bb.20:
	v_div_scale_f32 v0, s[0:1], v24, v24, 1.0
	v_rcp_f32_e32 v1, v0
	v_div_scale_f32 v2, vcc, 1.0, v24, 1.0
	s_cmp_gt_u32 s36, 3
	v_fma_f32 v3, -v0, v1, 1.0
	v_fmac_f32_e32 v1, v3, v1
	v_mul_f32_e32 v3, v2, v1
	v_fma_f32 v4, -v0, v3, v2
	v_fmac_f32_e32 v3, v4, v1
	v_fma_f32 v0, -v0, v3, v2
	v_div_fmas_f32 v0, v0, v1, v3
	v_mul_lo_u32 v2, v22, s39
	v_div_fixup_f32 v0, v0, v24, 1.0
	v_ashrrev_i32_e32 v3, 31, v2
	s_cbranch_scc0 .LBB284_24
; %bb.21:
	v_lshlrev_b64 v[4:5], 2, v[2:3]
	v_mov_b32_e32 v6, s35
	v_add_co_u32_e32 v4, vcc, s34, v4
	v_addc_co_u32_e32 v5, vcc, v5, v6, vcc
	s_and_b32 s4, s36, 0x7ffffffc
	v_add_co_u32_e32 v4, vcc, 8, v4
	v_mov_b32_e32 v1, v0
	v_addc_co_u32_e32 v5, vcc, 0, v5, vcc
	s_mov_b32 s0, s4
.LBB284_22:                             ; =>This Inner Loop Header: Depth=1
	global_load_dwordx4 v[6:9], v[4:5], off offset:-8
	s_add_i32 s0, s0, -4
	s_cmp_lg_u32 s0, 0
	s_waitcnt vmcnt(0)
	v_pk_mul_f32 v[6:7], v[0:1], v[6:7]
	v_pk_mul_f32 v[8:9], v[0:1], v[8:9]
	global_store_dwordx4 v[4:5], v[6:9], off offset:-8
	v_add_co_u32_e32 v4, vcc, 16, v4
	v_addc_co_u32_e32 v5, vcc, 0, v5, vcc
	s_cbranch_scc1 .LBB284_22
; %bb.23:
	s_cmp_lg_u32 s4, s36
	s_cselect_b64 s[0:1], -1, 0
	s_branch .LBB284_26
.LBB284_24:
	s_mov_b64 s[0:1], 0
                                        ; implicit-def: $sgpr4
	s_cbranch_execz .LBB284_26
; %bb.25:
	s_mov_b64 s[0:1], -1
	s_mov_b32 s4, 0
.LBB284_26:
	s_andn2_b64 vcc, exec, s[0:1]
	s_cbranch_vccnz .LBB284_29
; %bb.27:
	v_add_co_u32_e32 v2, vcc, s4, v2
	v_addc_co_u32_e32 v3, vcc, 0, v3, vcc
	v_lshlrev_b64 v[2:3], 2, v[2:3]
	v_mov_b32_e32 v1, s35
	v_add_co_u32_e32 v2, vcc, s34, v2
	s_sub_i32 s0, s36, s4
	v_addc_co_u32_e32 v3, vcc, v1, v3, vcc
.LBB284_28:                             ; =>This Inner Loop Header: Depth=1
	global_load_dword v1, v[2:3], off
	s_add_i32 s0, s0, -1
	s_cmp_lg_u32 s0, 0
	s_waitcnt vmcnt(0)
	v_mul_f32_e32 v1, v0, v1
	global_store_dword v[2:3], v1, off
	v_add_co_u32_e32 v2, vcc, 4, v2
	v_addc_co_u32_e32 v3, vcc, 0, v3, vcc
	s_cbranch_scc1 .LBB284_28
.LBB284_29:
	s_endpgm
	.section	.rodata,"a",@progbits
	.p2align	6, 0x0
	.amdhsa_kernel _ZN4vllm3moe17topkGatingSoftmaxItLi16ELi128ELi8ELi32ELb1ELi4ELNS0_23SharedExpertScoringFuncE1EEEvPKT_PKbPfiPiS9_iiiiii
		.amdhsa_group_segment_fixed_size 0
		.amdhsa_private_segment_fixed_size 0
		.amdhsa_kernarg_size 72
		.amdhsa_user_sgpr_count 6
		.amdhsa_user_sgpr_private_segment_buffer 1
		.amdhsa_user_sgpr_dispatch_ptr 0
		.amdhsa_user_sgpr_queue_ptr 0
		.amdhsa_user_sgpr_kernarg_segment_ptr 1
		.amdhsa_user_sgpr_dispatch_id 0
		.amdhsa_user_sgpr_flat_scratch_init 0
		.amdhsa_user_sgpr_kernarg_preload_length 0
		.amdhsa_user_sgpr_kernarg_preload_offset 0
		.amdhsa_user_sgpr_private_segment_size 0
		.amdhsa_uses_dynamic_stack 0
		.amdhsa_system_sgpr_private_segment_wavefront_offset 0
		.amdhsa_system_sgpr_workgroup_id_x 1
		.amdhsa_system_sgpr_workgroup_id_y 0
		.amdhsa_system_sgpr_workgroup_id_z 0
		.amdhsa_system_sgpr_workgroup_info 0
		.amdhsa_system_vgpr_workitem_id 1
		.amdhsa_next_free_vgpr 50
		.amdhsa_next_free_sgpr 54
		.amdhsa_accum_offset 52
		.amdhsa_reserve_vcc 1
		.amdhsa_reserve_flat_scratch 0
		.amdhsa_float_round_mode_32 0
		.amdhsa_float_round_mode_16_64 0
		.amdhsa_float_denorm_mode_32 3
		.amdhsa_float_denorm_mode_16_64 3
		.amdhsa_dx10_clamp 1
		.amdhsa_ieee_mode 1
		.amdhsa_fp16_overflow 0
		.amdhsa_tg_split 0
		.amdhsa_exception_fp_ieee_invalid_op 0
		.amdhsa_exception_fp_denorm_src 0
		.amdhsa_exception_fp_ieee_div_zero 0
		.amdhsa_exception_fp_ieee_overflow 0
		.amdhsa_exception_fp_ieee_underflow 0
		.amdhsa_exception_fp_ieee_inexact 0
		.amdhsa_exception_int_div_zero 0
	.end_amdhsa_kernel
	.section	.text._ZN4vllm3moe17topkGatingSoftmaxItLi16ELi128ELi8ELi32ELb1ELi4ELNS0_23SharedExpertScoringFuncE1EEEvPKT_PKbPfiPiS9_iiiiii,"axG",@progbits,_ZN4vllm3moe17topkGatingSoftmaxItLi16ELi128ELi8ELi32ELb1ELi4ELNS0_23SharedExpertScoringFuncE1EEEvPKT_PKbPfiPiS9_iiiiii,comdat
.Lfunc_end284:
	.size	_ZN4vllm3moe17topkGatingSoftmaxItLi16ELi128ELi8ELi32ELb1ELi4ELNS0_23SharedExpertScoringFuncE1EEEvPKT_PKbPfiPiS9_iiiiii, .Lfunc_end284-_ZN4vllm3moe17topkGatingSoftmaxItLi16ELi128ELi8ELi32ELb1ELi4ELNS0_23SharedExpertScoringFuncE1EEEvPKT_PKbPfiPiS9_iiiiii
                                        ; -- End function
	.section	.AMDGPU.csdata,"",@progbits
; Kernel info:
; codeLenInByte = 3372
; NumSgprs: 58
; NumVgprs: 50
; NumAgprs: 0
; TotalNumVgprs: 50
; ScratchSize: 0
; MemoryBound: 0
; FloatMode: 240
; IeeeMode: 1
; LDSByteSize: 0 bytes/workgroup (compile time only)
; SGPRBlocks: 7
; VGPRBlocks: 6
; NumSGPRsForWavesPerEU: 58
; NumVGPRsForWavesPerEU: 50
; AccumOffset: 52
; Occupancy: 8
; WaveLimiterHint : 0
; COMPUTE_PGM_RSRC2:SCRATCH_EN: 0
; COMPUTE_PGM_RSRC2:USER_SGPR: 6
; COMPUTE_PGM_RSRC2:TRAP_HANDLER: 0
; COMPUTE_PGM_RSRC2:TGID_X_EN: 1
; COMPUTE_PGM_RSRC2:TGID_Y_EN: 0
; COMPUTE_PGM_RSRC2:TGID_Z_EN: 0
; COMPUTE_PGM_RSRC2:TIDIG_COMP_CNT: 1
; COMPUTE_PGM_RSRC3_GFX90A:ACCUM_OFFSET: 12
; COMPUTE_PGM_RSRC3_GFX90A:TG_SPLIT: 0
	.section	.text._ZN4vllm3moe17topkGatingSoftmaxItLi16ELi128ELi8ELi32ELb0ELi4ELNS0_23SharedExpertScoringFuncE1EEEvPKT_PKbPfiPiS9_iiiiii,"axG",@progbits,_ZN4vllm3moe17topkGatingSoftmaxItLi16ELi128ELi8ELi32ELb0ELi4ELNS0_23SharedExpertScoringFuncE1EEEvPKT_PKbPfiPiS9_iiiiii,comdat
	.protected	_ZN4vllm3moe17topkGatingSoftmaxItLi16ELi128ELi8ELi32ELb0ELi4ELNS0_23SharedExpertScoringFuncE1EEEvPKT_PKbPfiPiS9_iiiiii ; -- Begin function _ZN4vllm3moe17topkGatingSoftmaxItLi16ELi128ELi8ELi32ELb0ELi4ELNS0_23SharedExpertScoringFuncE1EEEvPKT_PKbPfiPiS9_iiiiii
	.globl	_ZN4vllm3moe17topkGatingSoftmaxItLi16ELi128ELi8ELi32ELb0ELi4ELNS0_23SharedExpertScoringFuncE1EEEvPKT_PKbPfiPiS9_iiiiii
	.p2align	8
	.type	_ZN4vllm3moe17topkGatingSoftmaxItLi16ELi128ELi8ELi32ELb0ELi4ELNS0_23SharedExpertScoringFuncE1EEEvPKT_PKbPfiPiS9_iiiiii,@function
_ZN4vllm3moe17topkGatingSoftmaxItLi16ELi128ELi8ELi32ELb0ELi4ELNS0_23SharedExpertScoringFuncE1EEEvPKT_PKbPfiPiS9_iiiiii: ; @_ZN4vllm3moe17topkGatingSoftmaxItLi16ELi128ELi8ELi32ELb0ELi4ELNS0_23SharedExpertScoringFuncE1EEEvPKT_PKbPfiPiS9_iiiiii
; %bb.0:
	s_load_dword s33, s[4:5], 0x18
	v_bfe_u32 v1, v0, 10, 10
	v_and_b32_e32 v0, 0x3ff, v0
	s_lshl_b32 s50, s6, 6
	v_lshlrev_b32_e32 v41, 3, v1
	v_lshrrev_b32_e32 v43, 3, v0
	v_add3_u32 v22, s50, v41, v43
	s_waitcnt lgkmcnt(0)
	v_cmp_gt_i32_e32 vcc, s33, v22
	s_and_saveexec_b64 s[0:1], vcc
	s_cbranch_execz .LBB285_31
; %bb.1:
	s_load_dwordx4 s[0:3], s[4:5], 0x0
	s_load_dwordx2 s[34:35], s[4:5], 0x10
	s_waitcnt lgkmcnt(0)
	s_cmp_eq_u64 s[2:3], 0
	s_cbranch_scc1 .LBB285_3
; %bb.2:
	v_ashrrev_i32_e32 v1, 31, v22
	v_mov_b32_e32 v3, s3
	v_add_co_u32_e32 v2, vcc, s2, v22
	v_addc_co_u32_e32 v3, vcc, v3, v1, vcc
	global_load_ubyte v1, v[2:3], off
	s_waitcnt vmcnt(0)
	v_and_b32_e32 v1, 1, v1
	v_cmp_eq_u32_e32 vcc, 1, v1
	s_xor_b64 s[2:3], vcc, -1
	s_orn2_b64 s[46:47], s[2:3], exec
	s_branch .LBB285_4
.LBB285_3:
	s_mov_b64 s[46:47], -1
.LBB285_4:
	s_load_dwordx2 s[6:7], s[4:5], 0x40
	s_load_dwordx4 s[36:39], s[4:5], 0x30
	v_mov_b32_e32 v4, s1
	v_and_b32_e32 v23, 7, v0
	v_lshlrev_b32_e32 v0, 5, v23
	s_waitcnt lgkmcnt(0)
	v_mul_lo_u32 v2, v22, s7
	v_ashrrev_i32_e32 v3, 31, v2
	v_lshlrev_b64 v[2:3], 1, v[2:3]
	v_add_co_u32_e32 v1, vcc, s0, v2
	v_addc_co_u32_e32 v2, vcc, v4, v3, vcc
	v_add_co_u32_e32 v8, vcc, v1, v0
	v_addc_co_u32_e32 v9, vcc, 0, v2, vcc
	global_load_dwordx4 v[12:15], v[8:9], off offset:16
	global_load_dwordx4 v[4:7], v[8:9], off
	v_lshlrev_b32_e32 v26, 4, v23
	v_mov_b32_e32 v24, 0
	v_cmp_gt_u32_e32 vcc, 4, v23
	s_and_saveexec_b64 s[0:1], vcc
	s_cbranch_execz .LBB285_6
; %bb.5:
	v_lshlrev_b32_e32 v0, 1, v23
	v_add_co_u32_e32 v0, vcc, v1, v0
	v_addc_co_u32_e32 v1, vcc, 0, v2, vcc
	global_load_ushort v0, v[0:1], off offset:256
	s_mov_b32 s2, 0xbfb8aa3b
	s_mov_b32 s3, 0x42ce8ed0
	;; [unrolled: 1-line block ×3, first 2 shown]
	v_mov_b32_e32 v3, 0x7f800000
	v_mul_lo_u32 v1, v22, s39
	v_mov_b32_e32 v10, s35
	s_waitcnt vmcnt(0)
	v_cvt_f32_u32_e32 v2, v0
	v_mul_f32_e32 v0, 0xbfb8aa3b, v2
	v_fma_f32 v8, v2, s2, -v0
	v_rndne_f32_e32 v9, v0
	v_fmac_f32_e32 v8, 0xb2a5705f, v2
	v_sub_f32_e32 v0, v0, v9
	v_add_f32_e32 v0, v0, v8
	v_cvt_i32_f32_e32 v9, v9
	v_exp_f32_e32 v8, v0
	v_cmp_nlt_f32_e32 vcc, s3, v2
	v_add3_u32 v0, v1, s36, v23
	v_ashrrev_i32_e32 v1, 31, v0
	v_ldexp_f32 v8, v8, v9
	v_cndmask_b32_e32 v8, 0, v8, vcc
	v_cmp_ngt_f32_e32 vcc, s7, v2
	v_cndmask_b32_e32 v2, v3, v8, vcc
	v_add_f32_e32 v2, 1.0, v2
	v_div_scale_f32 v3, s[2:3], v2, v2, 1.0
	v_rcp_f32_e32 v8, v3
	v_div_scale_f32 v9, vcc, 1.0, v2, 1.0
	v_lshlrev_b64 v[0:1], 2, v[0:1]
	v_fma_f32 v11, -v3, v8, 1.0
	v_fmac_f32_e32 v8, v11, v8
	v_mul_f32_e32 v11, v9, v8
	v_fma_f32 v16, -v3, v11, v9
	v_fmac_f32_e32 v11, v16, v8
	v_fma_f32 v3, -v3, v11, v9
	v_div_fmas_f32 v3, v3, v8, v11
	v_add_co_u32_e32 v0, vcc, s34, v0
	v_div_fixup_f32 v2, v3, v2, 1.0
	v_addc_co_u32_e32 v1, vcc, v10, v1, vcc
	global_store_dword v[0:1], v2, off
.LBB285_6:
	s_or_b64 exec, exec, s[0:1]
	s_waitcnt vmcnt(0)
	v_cvt_f32_u32_sdwa v1, v4 dst_sel:DWORD dst_unused:UNUSED_PAD src0_sel:WORD_1
	v_cvt_f32_u32_sdwa v0, v4 dst_sel:DWORD dst_unused:UNUSED_PAD src0_sel:WORD_0
	v_cvt_f32_u32_sdwa v2, v5 dst_sel:DWORD dst_unused:UNUSED_PAD src0_sel:WORD_0
	v_or_b32_e32 v27, 1, v26
	v_or_b32_e32 v28, 2, v26
	v_cmp_lt_f32_e32 vcc, v0, v1
	v_cndmask_b32_e32 v4, v0, v1, vcc
	v_cndmask_b32_e32 v3, v26, v27, vcc
	v_cmp_lt_f32_e32 vcc, v4, v2
	v_cndmask_b32_e32 v8, v3, v28, vcc
	v_cvt_f32_u32_sdwa v3, v5 dst_sel:DWORD dst_unused:UNUSED_PAD src0_sel:WORD_1
	v_cndmask_b32_e32 v4, v4, v2, vcc
	v_or_b32_e32 v29, 3, v26
	v_or_b32_e32 v30, 4, v26
	v_cmp_lt_f32_e32 vcc, v4, v3
	v_cndmask_b32_e32 v5, v8, v29, vcc
	v_cndmask_b32_e32 v8, v4, v3, vcc
	v_cvt_f32_u32_sdwa v4, v6 dst_sel:DWORD dst_unused:UNUSED_PAD src0_sel:WORD_0
	v_or_b32_e32 v31, 5, v26
	v_or_b32_e32 v32, 6, v26
	;; [unrolled: 1-line block ×3, first 2 shown]
	v_cmp_lt_f32_e32 vcc, v8, v4
	v_cndmask_b32_e32 v9, v5, v30, vcc
	v_cvt_f32_u32_sdwa v5, v6 dst_sel:DWORD dst_unused:UNUSED_PAD src0_sel:WORD_1
	v_cvt_f32_u32_sdwa v6, v7 dst_sel:DWORD dst_unused:UNUSED_PAD src0_sel:WORD_0
	v_cndmask_b32_e32 v8, v8, v4, vcc
	v_cvt_f32_u32_sdwa v7, v7 dst_sel:DWORD dst_unused:UNUSED_PAD src0_sel:WORD_1
	v_cmp_lt_f32_e32 vcc, v8, v5
	v_cndmask_b32_e32 v8, v8, v5, vcc
	v_cndmask_b32_e32 v9, v9, v31, vcc
	v_cmp_lt_f32_e32 vcc, v8, v6
	v_cndmask_b32_e32 v8, v8, v6, vcc
	v_cndmask_b32_e32 v9, v9, v32, vcc
	v_cmp_lt_f32_e32 vcc, v8, v7
	v_cndmask_b32_e32 v10, v8, v7, vcc
	v_cvt_f32_u32_sdwa v8, v12 dst_sel:DWORD dst_unused:UNUSED_PAD src0_sel:WORD_0
	v_cndmask_b32_e32 v9, v9, v33, vcc
	v_or_b32_e32 v34, 8, v26
	v_or_b32_e32 v35, 9, v26
	v_cmp_lt_f32_e32 vcc, v10, v8
	v_cndmask_b32_e32 v11, v9, v34, vcc
	v_cvt_f32_u32_sdwa v9, v12 dst_sel:DWORD dst_unused:UNUSED_PAD src0_sel:WORD_1
	v_cndmask_b32_e32 v10, v10, v8, vcc
	v_or_b32_e32 v36, 10, v26
	v_or_b32_e32 v37, 11, v26
	v_cmp_lt_f32_e32 vcc, v10, v9
	v_cndmask_b32_e32 v12, v10, v9, vcc
	v_cvt_f32_u32_sdwa v10, v13 dst_sel:DWORD dst_unused:UNUSED_PAD src0_sel:WORD_0
	v_cndmask_b32_e32 v11, v11, v35, vcc
	v_or_b32_e32 v38, 12, v26
	v_or_b32_e32 v39, 13, v26
	v_cmp_lt_f32_e32 vcc, v12, v10
	v_cndmask_b32_e32 v16, v11, v36, vcc
	v_cvt_f32_u32_sdwa v11, v13 dst_sel:DWORD dst_unused:UNUSED_PAD src0_sel:WORD_1
	v_cndmask_b32_e32 v12, v12, v10, vcc
	v_or_b32_e32 v40, 14, v26
	v_or_b32_e32 v42, 15, v26
	v_cmp_lt_f32_e32 vcc, v12, v11
	v_cndmask_b32_e32 v13, v16, v37, vcc
	v_cndmask_b32_e32 v16, v12, v11, vcc
	v_cvt_f32_u32_sdwa v12, v14 dst_sel:DWORD dst_unused:UNUSED_PAD src0_sel:WORD_0
	v_cmp_lt_f32_e32 vcc, v16, v12
	v_cndmask_b32_e32 v17, v13, v38, vcc
	v_cvt_f32_u32_sdwa v13, v14 dst_sel:DWORD dst_unused:UNUSED_PAD src0_sel:WORD_1
	v_cvt_f32_u32_sdwa v14, v15 dst_sel:DWORD dst_unused:UNUSED_PAD src0_sel:WORD_0
	v_cndmask_b32_e32 v16, v16, v12, vcc
	v_cvt_f32_u32_sdwa v15, v15 dst_sel:DWORD dst_unused:UNUSED_PAD src0_sel:WORD_1
	v_cmp_lt_f32_e32 vcc, v16, v13
	v_cndmask_b32_e32 v16, v16, v13, vcc
	v_cndmask_b32_e32 v17, v17, v39, vcc
	v_cmp_lt_f32_e32 vcc, v16, v14
	v_cndmask_b32_e32 v16, v16, v14, vcc
	v_cndmask_b32_e32 v17, v17, v40, vcc
	;; [unrolled: 3-line block ×3, first 2 shown]
	s_nop 0
	v_mov_b32_dpp v19, v17 quad_perm:[1,0,3,2] row_mask:0xf bank_mask:0xf
	v_mov_b32_dpp v18, v16 quad_perm:[1,0,3,2] row_mask:0xf bank_mask:0xf
	v_cmp_eq_f32_e64 s[0:1], v16, v18
	v_cmp_lt_i32_e64 s[2:3], v19, v17
	v_cmp_lt_f32_e32 vcc, v16, v18
	s_and_b64 s[0:1], s[0:1], s[2:3]
	s_or_b64 vcc, vcc, s[0:1]
	v_cndmask_b32_e32 v16, v16, v18, vcc
	v_cndmask_b32_e32 v17, v17, v19, vcc
	s_nop 0
	v_mov_b32_dpp v18, v16 quad_perm:[2,3,0,1] row_mask:0xf bank_mask:0xf
	v_mov_b32_dpp v19, v17 quad_perm:[2,3,0,1] row_mask:0xf bank_mask:0xf
	v_cmp_eq_f32_e64 s[0:1], v16, v18
	v_cmp_lt_i32_e64 s[2:3], v19, v17
	v_cmp_lt_f32_e32 vcc, v16, v18
	s_and_b64 s[0:1], s[0:1], s[2:3]
	s_or_b64 vcc, vcc, s[0:1]
	v_cndmask_b32_e32 v18, v16, v18, vcc
	v_cndmask_b32_e32 v16, v17, v19, vcc
	s_nop 0
	v_mov_b32_dpp v19, v18 row_half_mirror row_mask:0xf bank_mask:0xf
	v_mov_b32_dpp v17, v16 row_half_mirror row_mask:0xf bank_mask:0xf
	v_cmp_eq_f32_e64 s[0:1], v18, v19
	v_cmp_lt_i32_e64 s[2:3], v17, v16
	v_cmp_lt_f32_e32 vcc, v18, v19
	s_and_b64 s[0:1], s[0:1], s[2:3]
	s_or_b64 s[0:1], vcc, s[0:1]
	s_cmp_gt_i32 s36, 0
	v_cndmask_b32_e64 v25, v18, v19, s[0:1]
	s_cselect_b64 s[44:45], -1, 0
	s_cmp_lt_i32 s36, 1
	v_cmp_eq_u32_e32 vcc, 0, v23
	s_cbranch_scc1 .LBB285_18
; %bb.7:
	s_load_dwordx4 s[40:43], s[4:5], 0x20
	v_cndmask_b32_e64 v44, v16, v17, s[0:1]
	v_mul_lo_u32 v20, v22, s39
	v_mul_lo_u32 v18, v22, s6
	;; [unrolled: 1-line block ×3, first 2 shown]
	v_mov_b32_e32 v24, 0
	s_and_saveexec_b64 s[4:5], vcc
	s_cbranch_execz .LBB285_9
; %bb.8:
	v_sub_f32_e32 v17, v25, v25
	v_mul_f32_e32 v19, 0x3fb8aa3b, v17
	s_mov_b32 s0, 0x3fb8aa3b
	v_rndne_f32_e32 v21, v19
	v_sub_f32_e32 v24, v19, v21
	v_fma_f32 v19, v17, s0, -v19
	v_fmac_f32_e32 v19, 0x32a5705f, v17
	v_add_f32_e32 v19, v24, v19
	v_exp_f32_e32 v19, v19
	v_cvt_i32_f32_e32 v21, v21
	v_cmp_le_i32_e64 s[0:1], s37, v44
	v_cmp_gt_i32_e64 s[2:3], s38, v44
	s_and_b64 s[2:3], s[0:1], s[2:3]
	s_mov_b32 s0, 0xc2ce8ed0
	v_ldexp_f32 v19, v19, v21
	v_cmp_ngt_f32_e64 s[0:1], s0, v17
	v_cndmask_b32_e64 v19, 0, v19, s[0:1]
	s_mov_b32 s0, 0x42b17218
	v_mov_b32_e32 v21, 0x7f800000
	v_cmp_nlt_f32_e64 s[0:1], s0, v17
	v_cndmask_b32_e64 v24, v21, v19, s[0:1]
	v_ashrrev_i32_e32 v21, 31, v20
	v_lshlrev_b64 v[46:47], 2, v[20:21]
	v_mov_b32_e32 v17, s35
	v_add_co_u32_e64 v46, s[0:1], s34, v46
	v_addc_co_u32_e64 v47, s[0:1], v17, v47, s[0:1]
	v_subrev_u32_e32 v17, s37, v44
	v_mov_b32_e32 v19, 0x80
	s_and_b64 s[0:1], s[46:47], s[2:3]
	v_cndmask_b32_e64 v17, v19, v17, s[0:1]
	v_ashrrev_i32_e32 v19, 31, v18
	global_store_dword v[46:47], v24, off
	v_lshlrev_b64 v[46:47], 2, v[18:19]
	s_waitcnt lgkmcnt(0)
	v_mov_b32_e32 v19, s41
	v_add_co_u32_e64 v46, s[0:1], s40, v46
	v_addc_co_u32_e64 v47, s[0:1], v19, v47, s[0:1]
	global_store_dword v[46:47], v17, off
	v_ashrrev_i32_e32 v17, 31, v16
	v_lshlrev_b64 v[46:47], 2, v[16:17]
	v_mov_b32_e32 v17, s43
	v_add_co_u32_e64 v46, s[0:1], s42, v46
	v_addc_co_u32_e64 v47, s[0:1], v17, v47, s[0:1]
	global_store_dword v[46:47], v22, off
.LBB285_9:
	s_or_b64 exec, exec, s[4:5]
	v_ashrrev_i32_e32 v19, 31, v44
	v_lshrrev_b32_e32 v17, 28, v19
	v_add_u32_e32 v17, v44, v17
	v_ashrrev_i32_e32 v17, 4, v17
	v_lshrrev_b32_e32 v21, 29, v17
	v_add_u32_e32 v21, v17, v21
	v_and_b32_e32 v21, -8, v21
	v_sub_u32_e32 v21, v17, v21
	v_cmp_eq_u32_e64 s[0:1], v23, v21
	s_and_saveexec_b64 s[48:49], s[0:1]
	s_cbranch_execz .LBB285_11
; %bb.10:
	v_lshrrev_b32_e32 v19, 25, v19
	v_add_u32_e32 v19, v44, v19
	v_lshlrev_b32_e32 v17, 4, v17
	v_sub_u32_e32 v17, v44, v17
	v_ashrrev_i32_e32 v19, 7, v19
	v_lshl_add_u32 v17, v19, 4, v17
	v_mov_b32_e32 v19, 0xff800000
	v_cmp_ne_u32_e64 s[0:1], 14, v17
	v_cmp_ne_u32_e64 s[2:3], 13, v17
	;; [unrolled: 1-line block ×16, first 2 shown]
	v_cndmask_b32_e64 v15, v19, v15, s[30:31]
	v_cndmask_b32_e64 v14, v19, v14, s[0:1]
	;; [unrolled: 1-line block ×16, first 2 shown]
.LBB285_11:
	s_or_b64 exec, exec, s[48:49]
	s_cmp_eq_u32 s36, 1
	s_cbranch_scc1 .LBB285_18
; %bb.12:
	s_add_i32 s50, s50, s33
	s_add_i32 s51, s36, -1
	v_add3_u32 v41, s50, v43, v41
	v_add_u32_e32 v16, 1, v16
	v_add_u32_e32 v18, 1, v18
	;; [unrolled: 1-line block ×3, first 2 shown]
	s_mov_b32 s50, 0x3fb8aa3b
	s_mov_b32 s52, 0xc2ce8ed0
	;; [unrolled: 1-line block ×3, first 2 shown]
	v_mov_b32_e32 v43, 0x7f800000
	v_mov_b32_e32 v44, 0x80
	;; [unrolled: 1-line block ×3, first 2 shown]
	s_branch .LBB285_14
.LBB285_13:                             ;   in Loop: Header=BB285_14 Depth=1
	s_or_b64 exec, exec, s[48:49]
	s_add_i32 s51, s51, -1
	v_add_u32_e32 v41, s33, v41
	v_add_u32_e32 v16, 1, v16
	;; [unrolled: 1-line block ×3, first 2 shown]
	s_cmp_eq_u32 s51, 0
	v_add_u32_e32 v20, 1, v20
	s_cbranch_scc1 .LBB285_18
.LBB285_14:                             ; =>This Inner Loop Header: Depth=1
	v_cmp_gt_f32_e64 s[0:1], v1, v0
	v_cndmask_b32_e64 v19, v0, v1, s[0:1]
	v_cndmask_b32_e64 v17, v26, v27, s[0:1]
	v_cmp_gt_f32_e64 s[0:1], v2, v19
	v_cndmask_b32_e64 v19, v19, v2, s[0:1]
	v_cndmask_b32_e64 v17, v17, v28, s[0:1]
	;; [unrolled: 3-line block ×15, first 2 shown]
	s_nop 0
	v_mov_b32_dpp v46, v17 quad_perm:[1,0,3,2] row_mask:0xf bank_mask:0xf
	v_mov_b32_dpp v21, v19 quad_perm:[1,0,3,2] row_mask:0xf bank_mask:0xf
	v_cmp_eq_f32_e64 s[2:3], v19, v21
	v_cmp_lt_i32_e64 s[4:5], v46, v17
	v_cmp_lt_f32_e64 s[0:1], v19, v21
	s_and_b64 s[2:3], s[2:3], s[4:5]
	s_or_b64 s[0:1], s[0:1], s[2:3]
	v_cndmask_b32_e64 v19, v19, v21, s[0:1]
	v_cndmask_b32_e64 v21, v17, v46, s[0:1]
	s_nop 0
	v_mov_b32_dpp v17, v19 quad_perm:[2,3,0,1] row_mask:0xf bank_mask:0xf
	v_mov_b32_dpp v46, v21 quad_perm:[2,3,0,1] row_mask:0xf bank_mask:0xf
	v_cmp_eq_f32_e64 s[2:3], v19, v17
	v_cmp_lt_i32_e64 s[4:5], v46, v21
	v_cmp_lt_f32_e64 s[0:1], v19, v17
	s_and_b64 s[2:3], s[2:3], s[4:5]
	s_or_b64 s[0:1], s[0:1], s[2:3]
	v_cndmask_b32_e64 v17, v19, v17, s[0:1]
	v_cndmask_b32_e64 v21, v21, v46, s[0:1]
	s_nop 0
	v_mov_b32_dpp v19, v17 row_half_mirror row_mask:0xf bank_mask:0xf
	v_mov_b32_dpp v46, v21 row_half_mirror row_mask:0xf bank_mask:0xf
	v_cmp_eq_f32_e64 s[2:3], v17, v19
	v_cmp_lt_i32_e64 s[4:5], v46, v21
	v_cmp_lt_f32_e64 s[0:1], v17, v19
	s_and_b64 s[2:3], s[2:3], s[4:5]
	s_or_b64 s[0:1], s[0:1], s[2:3]
	v_cndmask_b32_e64 v46, v21, v46, s[0:1]
	s_and_saveexec_b64 s[4:5], vcc
	s_cbranch_execz .LBB285_16
; %bb.15:                               ;   in Loop: Header=BB285_14 Depth=1
	v_cndmask_b32_e64 v17, v17, v19, s[0:1]
	v_sub_f32_e32 v17, v17, v25
	v_mul_f32_e32 v19, 0x3fb8aa3b, v17
	v_fma_f32 v21, v17, s50, -v19
	v_rndne_f32_e32 v47, v19
	v_fmac_f32_e32 v21, 0x32a5705f, v17
	v_sub_f32_e32 v19, v19, v47
	v_add_f32_e32 v19, v19, v21
	v_exp_f32_e32 v19, v19
	v_cvt_i32_f32_e32 v21, v47
	v_cmp_le_i32_e64 s[0:1], s37, v46
	v_cmp_gt_i32_e64 s[2:3], s38, v46
	s_and_b64 s[2:3], s[0:1], s[2:3]
	v_ldexp_f32 v19, v19, v21
	v_cmp_ngt_f32_e64 s[0:1], s52, v17
	v_ashrrev_i32_e32 v21, 31, v20
	v_cndmask_b32_e64 v19, 0, v19, s[0:1]
	v_cmp_nlt_f32_e64 s[0:1], s53, v17
	v_lshlrev_b64 v[48:49], 2, v[20:21]
	v_cndmask_b32_e64 v47, v43, v19, s[0:1]
	v_mov_b32_e32 v17, s35
	v_add_co_u32_e64 v48, s[0:1], s34, v48
	v_addc_co_u32_e64 v49, s[0:1], v17, v49, s[0:1]
	v_ashrrev_i32_e32 v19, 31, v18
	global_store_dword v[48:49], v47, off
	v_subrev_u32_e32 v17, s37, v46
	s_and_b64 s[0:1], s[46:47], s[2:3]
	v_lshlrev_b64 v[48:49], 2, v[18:19]
	v_cndmask_b32_e64 v17, v44, v17, s[0:1]
	s_waitcnt lgkmcnt(0)
	v_mov_b32_e32 v19, s41
	v_add_co_u32_e64 v48, s[0:1], s40, v48
	v_addc_co_u32_e64 v49, s[0:1], v19, v49, s[0:1]
	global_store_dword v[48:49], v17, off
	v_ashrrev_i32_e32 v17, 31, v16
	v_lshlrev_b64 v[48:49], 2, v[16:17]
	v_mov_b32_e32 v17, s43
	v_add_co_u32_e64 v48, s[0:1], s42, v48
	v_addc_co_u32_e64 v49, s[0:1], v17, v49, s[0:1]
	v_add_f32_e32 v24, v24, v47
	global_store_dword v[48:49], v41, off
.LBB285_16:                             ;   in Loop: Header=BB285_14 Depth=1
	s_or_b64 exec, exec, s[4:5]
	v_ashrrev_i32_e32 v19, 31, v46
	v_lshrrev_b32_e32 v17, 28, v19
	v_add_u32_e32 v17, v46, v17
	v_ashrrev_i32_e32 v17, 4, v17
	v_lshrrev_b32_e32 v21, 29, v17
	v_add_u32_e32 v21, v17, v21
	v_and_b32_e32 v21, -8, v21
	v_sub_u32_e32 v21, v17, v21
	v_cmp_eq_u32_e64 s[0:1], v23, v21
	s_and_saveexec_b64 s[48:49], s[0:1]
	s_cbranch_execz .LBB285_13
; %bb.17:                               ;   in Loop: Header=BB285_14 Depth=1
	v_lshrrev_b32_e32 v19, 25, v19
	v_add_u32_e32 v19, v46, v19
	v_lshlrev_b32_e32 v17, 4, v17
	v_sub_u32_e32 v17, v46, v17
	v_ashrrev_i32_e32 v19, 7, v19
	v_lshl_add_u32 v17, v19, 4, v17
	v_cmp_ne_u32_e64 s[0:1], 14, v17
	v_cmp_ne_u32_e64 s[2:3], 13, v17
	;; [unrolled: 1-line block ×16, first 2 shown]
	v_cndmask_b32_e64 v15, v45, v15, s[30:31]
	v_cndmask_b32_e64 v14, v45, v14, s[0:1]
	;; [unrolled: 1-line block ×16, first 2 shown]
	s_branch .LBB285_13
.LBB285_18:
	v_sub_f32_e32 v0, v0, v25
	s_mov_b32 s2, 0x3fb8aa3b
	v_mul_f32_e32 v16, 0x3fb8aa3b, v0
	v_fma_f32 v17, v0, s2, -v16
	v_rndne_f32_e32 v18, v16
	v_fmac_f32_e32 v17, 0x32a5705f, v0
	v_sub_f32_e32 v16, v16, v18
	v_add_f32_e32 v16, v16, v17
	v_exp_f32_e32 v16, v16
	v_cvt_i32_f32_e32 v17, v18
	v_sub_f32_e32 v1, v1, v25
	s_mov_b32 s4, 0xc2ce8ed0
	s_mov_b32 s3, 0x42b17218
	v_ldexp_f32 v16, v16, v17
	v_mul_f32_e32 v17, 0x3fb8aa3b, v1
	v_fma_f32 v18, v1, s2, -v17
	v_rndne_f32_e32 v19, v17
	v_fmac_f32_e32 v18, 0x32a5705f, v1
	v_sub_f32_e32 v17, v17, v19
	v_add_f32_e32 v17, v17, v18
	v_exp_f32_e32 v17, v17
	v_cvt_i32_f32_e32 v18, v19
	v_cmp_ngt_f32_e32 vcc, s4, v1
	v_cmp_ngt_f32_e64 s[0:1], s4, v0
	v_sub_f32_e32 v2, v2, v25
	v_ldexp_f32 v17, v17, v18
	v_cndmask_b32_e32 v17, 0, v17, vcc
	v_mov_b32_e32 v18, 0x7f800000
	v_cmp_nlt_f32_e32 vcc, s3, v1
	v_cndmask_b32_e64 v1, 0, v16, s[0:1]
	v_cmp_nlt_f32_e64 s[0:1], s3, v0
	v_cndmask_b32_e64 v0, v18, v1, s[0:1]
	v_cndmask_b32_e32 v1, v18, v17, vcc
	v_add_f32_e32 v0, v0, v1
	v_mul_f32_e32 v1, 0x3fb8aa3b, v2
	v_fma_f32 v16, v2, s2, -v1
	v_rndne_f32_e32 v17, v1
	v_fmac_f32_e32 v16, 0x32a5705f, v2
	v_sub_f32_e32 v1, v1, v17
	v_add_f32_e32 v1, v1, v16
	v_exp_f32_e32 v1, v1
	v_cvt_i32_f32_e32 v16, v17
	v_cmp_ngt_f32_e32 vcc, s4, v2
	v_sub_f32_e32 v3, v3, v25
	v_sub_f32_e32 v4, v4, v25
	v_ldexp_f32 v1, v1, v16
	v_cndmask_b32_e32 v1, 0, v1, vcc
	v_cmp_nlt_f32_e32 vcc, s3, v2
	v_cndmask_b32_e32 v1, v18, v1, vcc
	v_add_f32_e32 v0, v0, v1
	v_mul_f32_e32 v1, 0x3fb8aa3b, v3
	v_fma_f32 v2, v3, s2, -v1
	v_rndne_f32_e32 v16, v1
	v_fmac_f32_e32 v2, 0x32a5705f, v3
	v_sub_f32_e32 v1, v1, v16
	v_add_f32_e32 v1, v1, v2
	v_exp_f32_e32 v1, v1
	v_cvt_i32_f32_e32 v2, v16
	v_cmp_ngt_f32_e32 vcc, s4, v3
	v_sub_f32_e32 v5, v5, v25
	v_sub_f32_e32 v6, v6, v25
	v_ldexp_f32 v1, v1, v2
	v_cndmask_b32_e32 v1, 0, v1, vcc
	v_cmp_nlt_f32_e32 vcc, s3, v3
	;; [unrolled: 16-line block ×5, first 2 shown]
	v_cndmask_b32_e32 v1, v18, v1, vcc
	v_add_f32_e32 v0, v0, v1
	v_mul_f32_e32 v1, 0x3fb8aa3b, v7
	v_fma_f32 v2, v7, s2, -v1
	v_rndne_f32_e32 v3, v1
	v_fmac_f32_e32 v2, 0x32a5705f, v7
	v_sub_f32_e32 v1, v1, v3
	v_add_f32_e32 v1, v1, v2
	v_exp_f32_e32 v1, v1
	v_cvt_i32_f32_e32 v2, v3
	v_cmp_ngt_f32_e32 vcc, s4, v7
	v_ldexp_f32 v1, v1, v2
	v_mul_f32_e32 v2, 0x3fb8aa3b, v8
	v_fma_f32 v3, v8, s2, -v2
	v_rndne_f32_e32 v4, v2
	v_fmac_f32_e32 v3, 0x32a5705f, v8
	v_sub_f32_e32 v2, v2, v4
	v_add_f32_e32 v2, v2, v3
	v_exp_f32_e32 v2, v2
	v_cvt_i32_f32_e32 v3, v4
	v_cndmask_b32_e32 v1, 0, v1, vcc
	v_cmp_nlt_f32_e32 vcc, s3, v7
	v_cndmask_b32_e32 v1, v18, v1, vcc
	v_add_f32_e32 v0, v0, v1
	v_ldexp_f32 v1, v2, v3
	v_mul_f32_e32 v2, 0x3fb8aa3b, v9
	v_fma_f32 v3, v9, s2, -v2
	v_rndne_f32_e32 v4, v2
	v_fmac_f32_e32 v3, 0x32a5705f, v9
	v_sub_f32_e32 v2, v2, v4
	v_add_f32_e32 v2, v2, v3
	v_exp_f32_e32 v2, v2
	v_cvt_i32_f32_e32 v3, v4
	v_cmp_ngt_f32_e32 vcc, s4, v8
	v_cndmask_b32_e32 v1, 0, v1, vcc
	v_cmp_nlt_f32_e32 vcc, s3, v8
	v_cndmask_b32_e32 v1, v18, v1, vcc
	v_add_f32_e32 v0, v0, v1
	v_ldexp_f32 v1, v2, v3
	v_mul_f32_e32 v2, 0x3fb8aa3b, v10
	v_fma_f32 v3, v10, s2, -v2
	v_rndne_f32_e32 v4, v2
	v_fmac_f32_e32 v3, 0x32a5705f, v10
	v_sub_f32_e32 v2, v2, v4
	v_add_f32_e32 v2, v2, v3
	v_exp_f32_e32 v2, v2
	v_cvt_i32_f32_e32 v3, v4
	v_cmp_ngt_f32_e32 vcc, s4, v9
	;; [unrolled: 14-line block ×4, first 2 shown]
	v_cndmask_b32_e32 v1, 0, v1, vcc
	v_cmp_nlt_f32_e32 vcc, s3, v11
	v_cndmask_b32_e32 v1, v18, v1, vcc
	v_add_f32_e32 v0, v0, v1
	v_ldexp_f32 v1, v2, v3
	v_sub_f32_e32 v2, v13, v25
	v_mul_f32_e32 v3, 0x3fb8aa3b, v2
	v_fma_f32 v4, v2, s2, -v3
	v_rndne_f32_e32 v5, v3
	v_fmac_f32_e32 v4, 0x32a5705f, v2
	v_sub_f32_e32 v3, v3, v5
	v_add_f32_e32 v3, v3, v4
	v_exp_f32_e32 v3, v3
	v_cvt_i32_f32_e32 v4, v5
	v_cmp_ngt_f32_e32 vcc, s4, v12
	v_cndmask_b32_e32 v1, 0, v1, vcc
	v_cmp_nlt_f32_e32 vcc, s3, v12
	v_cndmask_b32_e32 v1, v18, v1, vcc
	v_add_f32_e32 v0, v0, v1
	v_ldexp_f32 v1, v3, v4
	v_sub_f32_e32 v3, v14, v25
	v_mul_f32_e32 v4, 0x3fb8aa3b, v3
	v_fma_f32 v5, v3, s2, -v4
	v_rndne_f32_e32 v6, v4
	v_fmac_f32_e32 v5, 0x32a5705f, v3
	v_sub_f32_e32 v4, v4, v6
	v_add_f32_e32 v4, v4, v5
	v_exp_f32_e32 v4, v4
	v_cvt_i32_f32_e32 v5, v6
	v_cmp_ngt_f32_e32 vcc, s4, v2
	v_cndmask_b32_e32 v1, 0, v1, vcc
	v_cmp_nlt_f32_e32 vcc, s3, v2
	v_cndmask_b32_e32 v1, v18, v1, vcc
	v_sub_f32_e32 v2, v15, v25
	v_add_f32_e32 v0, v0, v1
	v_ldexp_f32 v1, v4, v5
	v_mul_f32_e32 v4, 0x3fb8aa3b, v2
	v_fma_f32 v5, v2, s2, -v4
	v_rndne_f32_e32 v6, v4
	v_fmac_f32_e32 v5, 0x32a5705f, v2
	v_sub_f32_e32 v4, v4, v6
	v_add_f32_e32 v4, v4, v5
	v_exp_f32_e32 v4, v4
	v_cvt_i32_f32_e32 v5, v6
	v_cmp_ngt_f32_e32 vcc, s4, v3
	v_cndmask_b32_e32 v1, 0, v1, vcc
	v_cmp_nlt_f32_e32 vcc, s3, v3
	v_cndmask_b32_e32 v1, v18, v1, vcc
	v_add_f32_e32 v0, v0, v1
	v_ldexp_f32 v1, v4, v5
	v_cmp_ngt_f32_e32 vcc, s4, v2
	v_cndmask_b32_e32 v1, 0, v1, vcc
	v_cmp_nlt_f32_e32 vcc, s3, v2
	v_cndmask_b32_e32 v1, v18, v1, vcc
	v_add_f32_e32 v0, v0, v1
	v_cmp_eq_u32_e32 vcc, 0, v23
	s_nop 0
	v_mov_b32_dpp v1, v0 quad_perm:[1,0,3,2] row_mask:0xf bank_mask:0xf
	v_add_f32_e32 v0, v0, v1
	s_nop 1
	v_mov_b32_dpp v1, v0 quad_perm:[2,3,0,1] row_mask:0xf bank_mask:0xf
	v_add_f32_e32 v0, v0, v1
	s_nop 1
	v_mov_b32_dpp v1, v0 row_half_mirror row_mask:0xf bank_mask:0xf
	s_and_b64 exec, exec, vcc
	s_cbranch_execz .LBB285_31
; %bb.19:
	v_add_f32_e32 v0, v0, v1
	v_add_f32_e32 v0, v24, v0
	v_cmp_neq_f32_e32 vcc, 0, v0
	s_and_b64 exec, exec, vcc
	s_cbranch_execz .LBB285_31
; %bb.20:
	s_andn2_b64 vcc, exec, s[44:45]
	s_cbranch_vccnz .LBB285_31
; %bb.21:
	v_div_scale_f32 v1, s[0:1], v0, v0, 1.0
	v_rcp_f32_e32 v2, v1
	v_div_scale_f32 v3, vcc, 1.0, v0, 1.0
	s_cmp_gt_u32 s36, 3
	v_fma_f32 v4, -v1, v2, 1.0
	v_fmac_f32_e32 v2, v4, v2
	v_mul_f32_e32 v4, v3, v2
	v_fma_f32 v5, -v1, v4, v3
	v_fmac_f32_e32 v4, v5, v2
	v_fma_f32 v1, -v1, v4, v3
	v_div_fmas_f32 v1, v1, v2, v4
	v_mul_lo_u32 v2, v22, s39
	v_div_fixup_f32 v0, v1, v0, 1.0
	v_ashrrev_i32_e32 v3, 31, v2
	s_cbranch_scc0 .LBB285_25
; %bb.22:
	v_lshlrev_b64 v[4:5], 2, v[2:3]
	v_mov_b32_e32 v6, s35
	v_add_co_u32_e32 v4, vcc, s34, v4
	v_addc_co_u32_e32 v5, vcc, v5, v6, vcc
	s_and_b32 s4, s36, 0x7ffffffc
	v_add_co_u32_e32 v4, vcc, 8, v4
	v_mov_b32_e32 v1, v0
	v_addc_co_u32_e32 v5, vcc, 0, v5, vcc
	s_mov_b32 s0, s4
.LBB285_23:                             ; =>This Inner Loop Header: Depth=1
	global_load_dwordx4 v[6:9], v[4:5], off offset:-8
	s_add_i32 s0, s0, -4
	s_cmp_lg_u32 s0, 0
	s_waitcnt vmcnt(0)
	v_pk_mul_f32 v[6:7], v[0:1], v[6:7]
	v_pk_mul_f32 v[8:9], v[0:1], v[8:9]
	global_store_dwordx4 v[4:5], v[6:9], off offset:-8
	v_add_co_u32_e32 v4, vcc, 16, v4
	v_addc_co_u32_e32 v5, vcc, 0, v5, vcc
	s_cbranch_scc1 .LBB285_23
; %bb.24:
	s_cmp_lg_u32 s4, s36
	s_mov_b64 s[2:3], 0
	s_cselect_b64 s[0:1], -1, 0
	s_branch .LBB285_26
.LBB285_25:
	s_mov_b64 s[2:3], -1
	s_mov_b64 s[0:1], 0
                                        ; implicit-def: $sgpr4
.LBB285_26:
	s_and_b64 vcc, exec, s[2:3]
	s_cbranch_vccz .LBB285_28
; %bb.27:
	s_mov_b64 s[0:1], -1
	s_mov_b32 s4, 0
.LBB285_28:
	s_andn2_b64 vcc, exec, s[0:1]
	s_cbranch_vccnz .LBB285_31
; %bb.29:
	v_add_co_u32_e32 v2, vcc, s4, v2
	v_addc_co_u32_e32 v3, vcc, 0, v3, vcc
	v_lshlrev_b64 v[2:3], 2, v[2:3]
	v_mov_b32_e32 v1, s35
	v_add_co_u32_e32 v2, vcc, s34, v2
	s_sub_i32 s0, s36, s4
	v_addc_co_u32_e32 v3, vcc, v1, v3, vcc
.LBB285_30:                             ; =>This Inner Loop Header: Depth=1
	global_load_dword v1, v[2:3], off
	s_add_i32 s0, s0, -1
	s_cmp_lg_u32 s0, 0
	s_waitcnt vmcnt(0)
	v_mul_f32_e32 v1, v0, v1
	global_store_dword v[2:3], v1, off
	v_add_co_u32_e32 v2, vcc, 4, v2
	v_addc_co_u32_e32 v3, vcc, 0, v3, vcc
	s_cbranch_scc1 .LBB285_30
.LBB285_31:
	s_endpgm
	.section	.rodata,"a",@progbits
	.p2align	6, 0x0
	.amdhsa_kernel _ZN4vllm3moe17topkGatingSoftmaxItLi16ELi128ELi8ELi32ELb0ELi4ELNS0_23SharedExpertScoringFuncE1EEEvPKT_PKbPfiPiS9_iiiiii
		.amdhsa_group_segment_fixed_size 0
		.amdhsa_private_segment_fixed_size 0
		.amdhsa_kernarg_size 72
		.amdhsa_user_sgpr_count 6
		.amdhsa_user_sgpr_private_segment_buffer 1
		.amdhsa_user_sgpr_dispatch_ptr 0
		.amdhsa_user_sgpr_queue_ptr 0
		.amdhsa_user_sgpr_kernarg_segment_ptr 1
		.amdhsa_user_sgpr_dispatch_id 0
		.amdhsa_user_sgpr_flat_scratch_init 0
		.amdhsa_user_sgpr_kernarg_preload_length 0
		.amdhsa_user_sgpr_kernarg_preload_offset 0
		.amdhsa_user_sgpr_private_segment_size 0
		.amdhsa_uses_dynamic_stack 0
		.amdhsa_system_sgpr_private_segment_wavefront_offset 0
		.amdhsa_system_sgpr_workgroup_id_x 1
		.amdhsa_system_sgpr_workgroup_id_y 0
		.amdhsa_system_sgpr_workgroup_id_z 0
		.amdhsa_system_sgpr_workgroup_info 0
		.amdhsa_system_vgpr_workitem_id 1
		.amdhsa_next_free_vgpr 50
		.amdhsa_next_free_sgpr 54
		.amdhsa_accum_offset 52
		.amdhsa_reserve_vcc 1
		.amdhsa_reserve_flat_scratch 0
		.amdhsa_float_round_mode_32 0
		.amdhsa_float_round_mode_16_64 0
		.amdhsa_float_denorm_mode_32 3
		.amdhsa_float_denorm_mode_16_64 3
		.amdhsa_dx10_clamp 1
		.amdhsa_ieee_mode 1
		.amdhsa_fp16_overflow 0
		.amdhsa_tg_split 0
		.amdhsa_exception_fp_ieee_invalid_op 0
		.amdhsa_exception_fp_denorm_src 0
		.amdhsa_exception_fp_ieee_div_zero 0
		.amdhsa_exception_fp_ieee_overflow 0
		.amdhsa_exception_fp_ieee_underflow 0
		.amdhsa_exception_fp_ieee_inexact 0
		.amdhsa_exception_int_div_zero 0
	.end_amdhsa_kernel
	.section	.text._ZN4vllm3moe17topkGatingSoftmaxItLi16ELi128ELi8ELi32ELb0ELi4ELNS0_23SharedExpertScoringFuncE1EEEvPKT_PKbPfiPiS9_iiiiii,"axG",@progbits,_ZN4vllm3moe17topkGatingSoftmaxItLi16ELi128ELi8ELi32ELb0ELi4ELNS0_23SharedExpertScoringFuncE1EEEvPKT_PKbPfiPiS9_iiiiii,comdat
.Lfunc_end285:
	.size	_ZN4vllm3moe17topkGatingSoftmaxItLi16ELi128ELi8ELi32ELb0ELi4ELNS0_23SharedExpertScoringFuncE1EEEvPKT_PKbPfiPiS9_iiiiii, .Lfunc_end285-_ZN4vllm3moe17topkGatingSoftmaxItLi16ELi128ELi8ELi32ELb0ELi4ELNS0_23SharedExpertScoringFuncE1EEEvPKT_PKbPfiPiS9_iiiiii
                                        ; -- End function
	.section	.AMDGPU.csdata,"",@progbits
; Kernel info:
; codeLenInByte = 4696
; NumSgprs: 58
; NumVgprs: 50
; NumAgprs: 0
; TotalNumVgprs: 50
; ScratchSize: 0
; MemoryBound: 0
; FloatMode: 240
; IeeeMode: 1
; LDSByteSize: 0 bytes/workgroup (compile time only)
; SGPRBlocks: 7
; VGPRBlocks: 6
; NumSGPRsForWavesPerEU: 58
; NumVGPRsForWavesPerEU: 50
; AccumOffset: 52
; Occupancy: 8
; WaveLimiterHint : 0
; COMPUTE_PGM_RSRC2:SCRATCH_EN: 0
; COMPUTE_PGM_RSRC2:USER_SGPR: 6
; COMPUTE_PGM_RSRC2:TRAP_HANDLER: 0
; COMPUTE_PGM_RSRC2:TGID_X_EN: 1
; COMPUTE_PGM_RSRC2:TGID_Y_EN: 0
; COMPUTE_PGM_RSRC2:TGID_Z_EN: 0
; COMPUTE_PGM_RSRC2:TIDIG_COMP_CNT: 1
; COMPUTE_PGM_RSRC3_GFX90A:ACCUM_OFFSET: 12
; COMPUTE_PGM_RSRC3_GFX90A:TG_SPLIT: 0
	.section	.text._ZN4vllm3moe17topkGatingSoftmaxItLi16ELi128ELi8ELi32ELb1ELi8ELNS0_23SharedExpertScoringFuncE1EEEvPKT_PKbPfiPiS9_iiiiii,"axG",@progbits,_ZN4vllm3moe17topkGatingSoftmaxItLi16ELi128ELi8ELi32ELb1ELi8ELNS0_23SharedExpertScoringFuncE1EEEvPKT_PKbPfiPiS9_iiiiii,comdat
	.protected	_ZN4vllm3moe17topkGatingSoftmaxItLi16ELi128ELi8ELi32ELb1ELi8ELNS0_23SharedExpertScoringFuncE1EEEvPKT_PKbPfiPiS9_iiiiii ; -- Begin function _ZN4vllm3moe17topkGatingSoftmaxItLi16ELi128ELi8ELi32ELb1ELi8ELNS0_23SharedExpertScoringFuncE1EEEvPKT_PKbPfiPiS9_iiiiii
	.globl	_ZN4vllm3moe17topkGatingSoftmaxItLi16ELi128ELi8ELi32ELb1ELi8ELNS0_23SharedExpertScoringFuncE1EEEvPKT_PKbPfiPiS9_iiiiii
	.p2align	8
	.type	_ZN4vllm3moe17topkGatingSoftmaxItLi16ELi128ELi8ELi32ELb1ELi8ELNS0_23SharedExpertScoringFuncE1EEEvPKT_PKbPfiPiS9_iiiiii,@function
_ZN4vllm3moe17topkGatingSoftmaxItLi16ELi128ELi8ELi32ELb1ELi8ELNS0_23SharedExpertScoringFuncE1EEEvPKT_PKbPfiPiS9_iiiiii: ; @_ZN4vllm3moe17topkGatingSoftmaxItLi16ELi128ELi8ELi32ELb1ELi8ELNS0_23SharedExpertScoringFuncE1EEEvPKT_PKbPfiPiS9_iiiiii
; %bb.0:
	s_load_dword s33, s[4:5], 0x18
	v_bfe_u32 v1, v0, 10, 10
	v_and_b32_e32 v0, 0x3ff, v0
	s_lshl_b32 s50, s6, 6
	v_lshlrev_b32_e32 v22, 3, v1
	v_lshrrev_b32_e32 v23, 3, v0
	v_add3_u32 v43, s50, v22, v23
	s_waitcnt lgkmcnt(0)
	v_cmp_gt_i32_e32 vcc, s33, v43
	s_and_saveexec_b64 s[0:1], vcc
	s_cbranch_execz .LBB286_27
; %bb.1:
	s_load_dwordx4 s[0:3], s[4:5], 0x0
	s_load_dwordx2 s[34:35], s[4:5], 0x10
	s_waitcnt lgkmcnt(0)
	s_cmp_eq_u64 s[2:3], 0
	s_cbranch_scc1 .LBB286_3
; %bb.2:
	v_ashrrev_i32_e32 v1, 31, v43
	v_mov_b32_e32 v3, s3
	v_add_co_u32_e32 v2, vcc, s2, v43
	v_addc_co_u32_e32 v3, vcc, v3, v1, vcc
	global_load_ubyte v1, v[2:3], off
	s_waitcnt vmcnt(0)
	v_and_b32_e32 v1, 1, v1
	v_cmp_eq_u32_e32 vcc, 1, v1
	s_xor_b64 s[2:3], vcc, -1
	s_orn2_b64 s[44:45], s[2:3], exec
	s_branch .LBB286_4
.LBB286_3:
	s_mov_b64 s[44:45], -1
.LBB286_4:
	s_load_dwordx2 s[8:9], s[4:5], 0x40
	s_load_dwordx4 s[36:39], s[4:5], 0x30
	v_mov_b32_e32 v1, s1
	v_and_b32_e32 v24, 7, v0
	v_lshlrev_b32_e32 v0, 1, v24
	s_waitcnt lgkmcnt(0)
	v_mul_lo_u32 v2, v43, s9
	v_ashrrev_i32_e32 v3, 31, v2
	v_lshlrev_b64 v[2:3], 1, v[2:3]
	v_add_co_u32_e32 v2, vcc, s0, v2
	v_addc_co_u32_e32 v3, vcc, v1, v3, vcc
	v_add_co_u32_e32 v0, vcc, v2, v0
	v_addc_co_u32_e32 v1, vcc, 0, v3, vcc
	global_load_ushort v8, v[0:1], off offset:256
	v_lshlrev_b32_e32 v4, 5, v24
	v_add_co_u32_e32 v0, vcc, v2, v4
	v_addc_co_u32_e32 v1, vcc, 0, v3, vcc
	global_load_dwordx4 v[4:7], v[0:1], off
	global_load_dwordx4 v[12:15], v[0:1], off offset:16
	v_mul_lo_u32 v16, v43, s39
	v_add3_u32 v0, v16, s36, v24
	v_ashrrev_i32_e32 v1, 31, v0
	s_mov_b32 s0, 0xbfb8aa3b
	v_lshlrev_b64 v[2:3], 2, v[0:1]
	s_mov_b32 s1, 0x42ce8ed0
	s_mov_b32 s2, 0xc2b17218
	v_mov_b32_e32 v9, 0x7f800000
	v_mov_b32_e32 v10, s35
	v_add_co_u32_e32 v2, vcc, s34, v2
	v_lshlrev_b32_e32 v25, 4, v24
	v_addc_co_u32_e32 v3, vcc, v10, v3, vcc
	v_or_b32_e32 v26, 1, v25
	v_or_b32_e32 v27, 2, v25
	v_or_b32_e32 v28, 3, v25
	v_or_b32_e32 v29, 4, v25
	v_or_b32_e32 v30, 5, v25
	v_or_b32_e32 v31, 6, v25
	v_or_b32_e32 v32, 7, v25
	v_or_b32_e32 v33, 8, v25
	v_or_b32_e32 v34, 9, v25
	v_or_b32_e32 v35, 10, v25
	v_or_b32_e32 v36, 11, v25
	v_or_b32_e32 v37, 12, v25
	v_or_b32_e32 v38, 13, v25
	v_or_b32_e32 v39, 14, v25
	v_or_b32_e32 v40, 15, v25
	v_mov_b32_e32 v41, 0
	s_waitcnt vmcnt(2)
	v_cvt_f32_u32_e32 v8, v8
	s_waitcnt vmcnt(1)
	v_cvt_f32_u32_sdwa v1, v4 dst_sel:DWORD dst_unused:UNUSED_PAD src0_sel:WORD_1
	v_cvt_f32_u32_sdwa v0, v4 dst_sel:DWORD dst_unused:UNUSED_PAD src0_sel:WORD_0
	v_mul_f32_e32 v4, 0xbfb8aa3b, v8
	v_fma_f32 v11, v8, s0, -v4
	v_rndne_f32_e32 v17, v4
	v_fmac_f32_e32 v11, 0xb2a5705f, v8
	v_sub_f32_e32 v4, v4, v17
	v_add_f32_e32 v4, v4, v11
	v_cvt_i32_f32_e32 v17, v17
	v_exp_f32_e32 v4, v4
	v_cmp_nlt_f32_e64 s[0:1], s1, v8
	v_cmp_lt_f32_e32 vcc, v0, v1
	v_cndmask_b32_e32 v10, v25, v26, vcc
	v_ldexp_f32 v4, v4, v17
	v_cndmask_b32_e64 v4, 0, v4, s[0:1]
	v_cmp_ngt_f32_e64 s[0:1], s2, v8
	v_cndmask_b32_e64 v4, v9, v4, s[0:1]
	v_add_f32_e32 v4, 1.0, v4
	v_div_scale_f32 v8, s[0:1], v4, v4, 1.0
	v_rcp_f32_e32 v9, v8
	v_cndmask_b32_e32 v11, v0, v1, vcc
	v_div_scale_f32 v17, vcc, 1.0, v4, 1.0
	v_fma_f32 v18, -v8, v9, 1.0
	v_fmac_f32_e32 v9, v18, v9
	v_mul_f32_e32 v18, v17, v9
	v_fma_f32 v19, -v8, v18, v17
	v_fmac_f32_e32 v18, v19, v9
	v_fma_f32 v8, -v8, v18, v17
	v_div_fmas_f32 v8, v8, v9, v18
	v_div_fixup_f32 v4, v8, v4, 1.0
	global_store_dword v[2:3], v4, off
	v_cvt_f32_u32_sdwa v2, v5 dst_sel:DWORD dst_unused:UNUSED_PAD src0_sel:WORD_0
	v_cvt_f32_u32_sdwa v3, v5 dst_sel:DWORD dst_unused:UNUSED_PAD src0_sel:WORD_1
	v_cmp_lt_f32_e32 vcc, v11, v2
	v_cndmask_b32_e32 v8, v11, v2, vcc
	v_cndmask_b32_e32 v4, v10, v27, vcc
	v_cmp_lt_f32_e32 vcc, v8, v3
	v_cndmask_b32_e32 v5, v4, v28, vcc
	v_cvt_f32_u32_sdwa v4, v6 dst_sel:DWORD dst_unused:UNUSED_PAD src0_sel:WORD_0
	v_cndmask_b32_e32 v8, v8, v3, vcc
	v_cmp_lt_f32_e32 vcc, v8, v4
	v_cndmask_b32_e32 v9, v5, v29, vcc
	v_cvt_f32_u32_sdwa v5, v6 dst_sel:DWORD dst_unused:UNUSED_PAD src0_sel:WORD_1
	v_cvt_f32_u32_sdwa v6, v7 dst_sel:DWORD dst_unused:UNUSED_PAD src0_sel:WORD_0
	v_cndmask_b32_e32 v8, v8, v4, vcc
	v_cvt_f32_u32_sdwa v7, v7 dst_sel:DWORD dst_unused:UNUSED_PAD src0_sel:WORD_1
	v_cmp_lt_f32_e32 vcc, v8, v5
	v_cndmask_b32_e32 v8, v8, v5, vcc
	v_cndmask_b32_e32 v9, v9, v30, vcc
	v_cmp_lt_f32_e32 vcc, v8, v6
	v_cndmask_b32_e32 v8, v8, v6, vcc
	v_cndmask_b32_e32 v9, v9, v31, vcc
	v_cmp_lt_f32_e32 vcc, v8, v7
	v_cndmask_b32_e32 v10, v8, v7, vcc
	s_waitcnt vmcnt(1)
	v_cvt_f32_u32_sdwa v8, v12 dst_sel:DWORD dst_unused:UNUSED_PAD src0_sel:WORD_0
	v_cndmask_b32_e32 v9, v9, v32, vcc
	v_cmp_lt_f32_e32 vcc, v10, v8
	v_cndmask_b32_e32 v11, v9, v33, vcc
	v_cvt_f32_u32_sdwa v9, v12 dst_sel:DWORD dst_unused:UNUSED_PAD src0_sel:WORD_1
	v_cndmask_b32_e32 v10, v10, v8, vcc
	v_cmp_lt_f32_e32 vcc, v10, v9
	v_cndmask_b32_e32 v12, v10, v9, vcc
	v_cvt_f32_u32_sdwa v10, v13 dst_sel:DWORD dst_unused:UNUSED_PAD src0_sel:WORD_0
	v_cndmask_b32_e32 v11, v11, v34, vcc
	v_cmp_lt_f32_e32 vcc, v12, v10
	v_cndmask_b32_e32 v17, v11, v35, vcc
	v_cvt_f32_u32_sdwa v11, v13 dst_sel:DWORD dst_unused:UNUSED_PAD src0_sel:WORD_1
	v_cndmask_b32_e32 v12, v12, v10, vcc
	v_cmp_lt_f32_e32 vcc, v12, v11
	v_cndmask_b32_e32 v13, v17, v36, vcc
	v_cndmask_b32_e32 v17, v12, v11, vcc
	v_cvt_f32_u32_sdwa v12, v14 dst_sel:DWORD dst_unused:UNUSED_PAD src0_sel:WORD_0
	v_cmp_lt_f32_e32 vcc, v17, v12
	v_cndmask_b32_e32 v18, v13, v37, vcc
	v_cvt_f32_u32_sdwa v13, v14 dst_sel:DWORD dst_unused:UNUSED_PAD src0_sel:WORD_1
	v_cvt_f32_u32_sdwa v14, v15 dst_sel:DWORD dst_unused:UNUSED_PAD src0_sel:WORD_0
	v_cndmask_b32_e32 v17, v17, v12, vcc
	v_cvt_f32_u32_sdwa v15, v15 dst_sel:DWORD dst_unused:UNUSED_PAD src0_sel:WORD_1
	v_cmp_lt_f32_e32 vcc, v17, v13
	v_cndmask_b32_e32 v17, v17, v13, vcc
	v_cndmask_b32_e32 v18, v18, v38, vcc
	v_cmp_lt_f32_e32 vcc, v17, v14
	v_cndmask_b32_e32 v17, v17, v14, vcc
	v_cndmask_b32_e32 v18, v18, v39, vcc
	;; [unrolled: 3-line block ×3, first 2 shown]
	s_nop 0
	v_mov_b32_dpp v20, v18 quad_perm:[1,0,3,2] row_mask:0xf bank_mask:0xf
	v_mov_b32_dpp v19, v17 quad_perm:[1,0,3,2] row_mask:0xf bank_mask:0xf
	v_cmp_eq_f32_e64 s[0:1], v17, v19
	v_cmp_lt_i32_e64 s[2:3], v20, v18
	v_cmp_lt_f32_e32 vcc, v17, v19
	s_and_b64 s[0:1], s[0:1], s[2:3]
	s_or_b64 vcc, vcc, s[0:1]
	v_cndmask_b32_e32 v17, v17, v19, vcc
	v_cndmask_b32_e32 v18, v18, v20, vcc
	s_nop 0
	v_mov_b32_dpp v19, v17 quad_perm:[2,3,0,1] row_mask:0xf bank_mask:0xf
	v_mov_b32_dpp v20, v18 quad_perm:[2,3,0,1] row_mask:0xf bank_mask:0xf
	v_cmp_eq_f32_e64 s[0:1], v17, v19
	v_cmp_lt_i32_e64 s[2:3], v20, v18
	v_cmp_lt_f32_e32 vcc, v17, v19
	s_and_b64 s[0:1], s[0:1], s[2:3]
	s_or_b64 vcc, vcc, s[0:1]
	v_cndmask_b32_e32 v17, v17, v19, vcc
	v_cndmask_b32_e32 v18, v18, v20, vcc
	s_cmp_gt_i32 s36, 0
	s_cselect_b64 s[46:47], -1, 0
	s_cmp_lt_i32 s36, 1
	v_cmp_eq_u32_e32 vcc, 0, v24
	v_mov_b32_dpp v20, v18 row_half_mirror row_mask:0xf bank_mask:0xf
	v_mov_b32_dpp v19, v17 row_half_mirror row_mask:0xf bank_mask:0xf
	s_cbranch_scc1 .LBB286_16
; %bb.5:
	s_load_dwordx4 s[40:43], s[4:5], 0x20
	v_cmp_eq_f32_e64 s[2:3], v17, v19
	v_cmp_lt_i32_e64 s[6:7], v20, v18
	v_cmp_lt_f32_e64 s[0:1], v17, v19
	s_and_b64 s[2:3], s[2:3], s[6:7]
	s_or_b64 s[0:1], s[0:1], s[2:3]
	v_cndmask_b32_e64 v44, v18, v20, s[0:1]
	v_cndmask_b32_e64 v42, v17, v19, s[0:1]
	v_mul_lo_u32 v20, v43, s8
	v_mul_lo_u32 v18, v43, s36
	v_mov_b32_e32 v41, 0
	s_and_saveexec_b64 s[4:5], vcc
	s_cbranch_execz .LBB286_7
; %bb.6:
	v_sub_f32_e32 v17, v42, v42
	v_mul_f32_e32 v19, 0x3fb8aa3b, v17
	s_mov_b32 s0, 0x3fb8aa3b
	v_rndne_f32_e32 v21, v19
	v_sub_f32_e32 v41, v19, v21
	v_fma_f32 v19, v17, s0, -v19
	v_fmac_f32_e32 v19, 0x32a5705f, v17
	v_add_f32_e32 v19, v41, v19
	v_exp_f32_e32 v19, v19
	v_cvt_i32_f32_e32 v21, v21
	v_cmp_le_i32_e64 s[0:1], s37, v44
	v_cmp_gt_i32_e64 s[2:3], s38, v44
	s_and_b64 s[2:3], s[0:1], s[2:3]
	s_mov_b32 s0, 0xc2ce8ed0
	v_ldexp_f32 v19, v19, v21
	v_cmp_ngt_f32_e64 s[0:1], s0, v17
	v_cndmask_b32_e64 v19, 0, v19, s[0:1]
	s_mov_b32 s0, 0x42b17218
	v_cmp_nlt_f32_e64 s[0:1], s0, v17
	v_ashrrev_i32_e32 v17, 31, v16
	v_mov_b32_e32 v21, 0x7f800000
	v_lshlrev_b64 v[46:47], 2, v[16:17]
	v_cndmask_b32_e64 v41, v21, v19, s[0:1]
	v_mov_b32_e32 v17, s35
	v_add_co_u32_e64 v46, s[0:1], s34, v46
	v_addc_co_u32_e64 v47, s[0:1], v17, v47, s[0:1]
	v_ashrrev_i32_e32 v21, 31, v20
	global_store_dword v[46:47], v41, off
	v_subrev_u32_e32 v17, s37, v44
	v_mov_b32_e32 v19, 0x80
	s_and_b64 s[0:1], s[44:45], s[2:3]
	v_lshlrev_b64 v[46:47], 2, v[20:21]
	v_cndmask_b32_e64 v17, v19, v17, s[0:1]
	s_waitcnt lgkmcnt(0)
	v_mov_b32_e32 v19, s41
	v_add_co_u32_e64 v46, s[0:1], s40, v46
	v_addc_co_u32_e64 v47, s[0:1], v19, v47, s[0:1]
	v_ashrrev_i32_e32 v19, 31, v18
	global_store_dword v[46:47], v17, off
	v_lshlrev_b64 v[46:47], 2, v[18:19]
	v_mov_b32_e32 v17, s43
	v_add_co_u32_e64 v46, s[0:1], s42, v46
	v_addc_co_u32_e64 v47, s[0:1], v17, v47, s[0:1]
	global_store_dword v[46:47], v43, off
.LBB286_7:
	s_or_b64 exec, exec, s[4:5]
	v_ashrrev_i32_e32 v19, 31, v44
	v_lshrrev_b32_e32 v17, 28, v19
	v_add_u32_e32 v17, v44, v17
	v_ashrrev_i32_e32 v17, 4, v17
	v_lshrrev_b32_e32 v21, 29, v17
	v_add_u32_e32 v21, v17, v21
	v_and_b32_e32 v21, -8, v21
	v_sub_u32_e32 v21, v17, v21
	v_cmp_eq_u32_e64 s[0:1], v24, v21
	s_and_saveexec_b64 s[48:49], s[0:1]
	s_cbranch_execz .LBB286_9
; %bb.8:
	v_lshrrev_b32_e32 v19, 25, v19
	v_add_u32_e32 v19, v44, v19
	v_lshlrev_b32_e32 v17, 4, v17
	v_sub_u32_e32 v17, v44, v17
	v_ashrrev_i32_e32 v19, 7, v19
	v_lshl_add_u32 v17, v19, 4, v17
	v_mov_b32_e32 v19, 0xff800000
	v_cmp_ne_u32_e64 s[0:1], 14, v17
	v_cmp_ne_u32_e64 s[2:3], 13, v17
	v_cmp_ne_u32_e64 s[4:5], 12, v17
	v_cmp_ne_u32_e64 s[6:7], 11, v17
	v_cmp_ne_u32_e64 s[8:9], 10, v17
	v_cmp_ne_u32_e64 s[10:11], 9, v17
	v_cmp_ne_u32_e64 s[12:13], 8, v17
	v_cmp_ne_u32_e64 s[14:15], 7, v17
	v_cmp_ne_u32_e64 s[16:17], 6, v17
	v_cmp_ne_u32_e64 s[18:19], 5, v17
	v_cmp_ne_u32_e64 s[20:21], 4, v17
	v_cmp_ne_u32_e64 s[22:23], 3, v17
	v_cmp_ne_u32_e64 s[24:25], 2, v17
	v_cmp_ne_u32_e64 s[26:27], 1, v17
	v_cmp_ne_u32_e64 s[28:29], 0, v17
	v_cmp_ne_u32_e64 s[30:31], 15, v17
	v_cndmask_b32_e64 v15, v19, v15, s[30:31]
	v_cndmask_b32_e64 v14, v19, v14, s[0:1]
	;; [unrolled: 1-line block ×16, first 2 shown]
.LBB286_9:
	s_or_b64 exec, exec, s[48:49]
	s_cmp_eq_u32 s36, 1
	s_cbranch_scc1 .LBB286_16
; %bb.10:
	s_add_i32 s50, s50, s33
	s_add_i32 s39, s36, -1
	v_add3_u32 v17, s50, v23, v22
	v_add_u32_e32 v18, 1, v18
	v_add_u32_e32 v20, 1, v20
	;; [unrolled: 1-line block ×3, first 2 shown]
	s_mov_b32 s50, 0x3fb8aa3b
	s_mov_b32 s51, 0xc2ce8ed0
	;; [unrolled: 1-line block ×3, first 2 shown]
	v_mov_b32_e32 v43, 0x7f800000
	v_mov_b32_e32 v44, 0x80
	;; [unrolled: 1-line block ×3, first 2 shown]
	s_branch .LBB286_12
.LBB286_11:                             ;   in Loop: Header=BB286_12 Depth=1
	s_or_b64 exec, exec, s[48:49]
	s_add_i32 s39, s39, -1
	v_add_u32_e32 v17, s33, v17
	v_add_u32_e32 v18, 1, v18
	;; [unrolled: 1-line block ×3, first 2 shown]
	s_cmp_eq_u32 s39, 0
	v_add_u32_e32 v22, 1, v22
	s_cbranch_scc1 .LBB286_16
.LBB286_12:                             ; =>This Inner Loop Header: Depth=1
	v_cmp_gt_f32_e64 s[0:1], v1, v0
	v_cndmask_b32_e64 v21, v0, v1, s[0:1]
	v_cndmask_b32_e64 v19, v25, v26, s[0:1]
	v_cmp_gt_f32_e64 s[0:1], v2, v21
	v_cndmask_b32_e64 v21, v21, v2, s[0:1]
	v_cndmask_b32_e64 v19, v19, v27, s[0:1]
	;; [unrolled: 3-line block ×15, first 2 shown]
	s_nop 0
	v_mov_b32_dpp v46, v19 quad_perm:[1,0,3,2] row_mask:0xf bank_mask:0xf
	v_mov_b32_dpp v23, v21 quad_perm:[1,0,3,2] row_mask:0xf bank_mask:0xf
	v_cmp_eq_f32_e64 s[2:3], v21, v23
	v_cmp_lt_i32_e64 s[4:5], v46, v19
	v_cmp_lt_f32_e64 s[0:1], v21, v23
	s_and_b64 s[2:3], s[2:3], s[4:5]
	s_or_b64 s[0:1], s[0:1], s[2:3]
	v_cndmask_b32_e64 v21, v21, v23, s[0:1]
	v_cndmask_b32_e64 v23, v19, v46, s[0:1]
	s_nop 0
	v_mov_b32_dpp v19, v21 quad_perm:[2,3,0,1] row_mask:0xf bank_mask:0xf
	v_mov_b32_dpp v46, v23 quad_perm:[2,3,0,1] row_mask:0xf bank_mask:0xf
	v_cmp_eq_f32_e64 s[2:3], v21, v19
	v_cmp_lt_i32_e64 s[4:5], v46, v23
	v_cmp_lt_f32_e64 s[0:1], v21, v19
	s_and_b64 s[2:3], s[2:3], s[4:5]
	s_or_b64 s[0:1], s[0:1], s[2:3]
	v_cndmask_b32_e64 v19, v21, v19, s[0:1]
	v_cndmask_b32_e64 v23, v23, v46, s[0:1]
	s_nop 0
	v_mov_b32_dpp v21, v19 row_half_mirror row_mask:0xf bank_mask:0xf
	v_mov_b32_dpp v46, v23 row_half_mirror row_mask:0xf bank_mask:0xf
	v_cmp_eq_f32_e64 s[2:3], v19, v21
	v_cmp_lt_i32_e64 s[4:5], v46, v23
	v_cmp_lt_f32_e64 s[0:1], v19, v21
	s_and_b64 s[2:3], s[2:3], s[4:5]
	s_or_b64 s[0:1], s[0:1], s[2:3]
	v_cndmask_b32_e64 v46, v23, v46, s[0:1]
	s_and_saveexec_b64 s[4:5], vcc
	s_cbranch_execz .LBB286_14
; %bb.13:                               ;   in Loop: Header=BB286_12 Depth=1
	v_cndmask_b32_e64 v19, v19, v21, s[0:1]
	v_sub_f32_e32 v19, v19, v42
	v_mul_f32_e32 v21, 0x3fb8aa3b, v19
	v_fma_f32 v23, v19, s50, -v21
	v_rndne_f32_e32 v47, v21
	v_fmac_f32_e32 v23, 0x32a5705f, v19
	v_sub_f32_e32 v21, v21, v47
	v_add_f32_e32 v21, v21, v23
	v_exp_f32_e32 v21, v21
	v_cvt_i32_f32_e32 v23, v47
	v_cmp_le_i32_e64 s[0:1], s37, v46
	v_cmp_gt_i32_e64 s[2:3], s38, v46
	s_and_b64 s[2:3], s[0:1], s[2:3]
	v_ldexp_f32 v21, v21, v23
	v_cmp_ngt_f32_e64 s[0:1], s51, v19
	v_ashrrev_i32_e32 v23, 31, v22
	v_cndmask_b32_e64 v21, 0, v21, s[0:1]
	v_cmp_nlt_f32_e64 s[0:1], s52, v19
	v_lshlrev_b64 v[48:49], 2, v[22:23]
	v_cndmask_b32_e64 v47, v43, v21, s[0:1]
	v_mov_b32_e32 v19, s35
	v_add_co_u32_e64 v48, s[0:1], s34, v48
	v_addc_co_u32_e64 v49, s[0:1], v19, v49, s[0:1]
	v_ashrrev_i32_e32 v21, 31, v20
	global_store_dword v[48:49], v47, off
	v_subrev_u32_e32 v19, s37, v46
	s_and_b64 s[0:1], s[44:45], s[2:3]
	v_lshlrev_b64 v[48:49], 2, v[20:21]
	v_cndmask_b32_e64 v19, v44, v19, s[0:1]
	s_waitcnt lgkmcnt(0)
	v_mov_b32_e32 v21, s41
	v_add_co_u32_e64 v48, s[0:1], s40, v48
	v_addc_co_u32_e64 v49, s[0:1], v21, v49, s[0:1]
	global_store_dword v[48:49], v19, off
	v_ashrrev_i32_e32 v19, 31, v18
	v_lshlrev_b64 v[48:49], 2, v[18:19]
	v_mov_b32_e32 v19, s43
	v_add_co_u32_e64 v48, s[0:1], s42, v48
	v_addc_co_u32_e64 v49, s[0:1], v19, v49, s[0:1]
	v_add_f32_e32 v41, v41, v47
	global_store_dword v[48:49], v17, off
.LBB286_14:                             ;   in Loop: Header=BB286_12 Depth=1
	s_or_b64 exec, exec, s[4:5]
	v_ashrrev_i32_e32 v21, 31, v46
	v_lshrrev_b32_e32 v19, 28, v21
	v_add_u32_e32 v19, v46, v19
	v_ashrrev_i32_e32 v19, 4, v19
	v_lshrrev_b32_e32 v23, 29, v19
	v_add_u32_e32 v23, v19, v23
	v_and_b32_e32 v23, -8, v23
	v_sub_u32_e32 v23, v19, v23
	v_cmp_eq_u32_e64 s[0:1], v24, v23
	s_and_saveexec_b64 s[48:49], s[0:1]
	s_cbranch_execz .LBB286_11
; %bb.15:                               ;   in Loop: Header=BB286_12 Depth=1
	v_lshrrev_b32_e32 v21, 25, v21
	v_add_u32_e32 v21, v46, v21
	v_lshlrev_b32_e32 v19, 4, v19
	v_sub_u32_e32 v19, v46, v19
	v_ashrrev_i32_e32 v21, 7, v21
	v_lshl_add_u32 v19, v21, 4, v19
	v_cmp_ne_u32_e64 s[0:1], 14, v19
	v_cmp_ne_u32_e64 s[2:3], 13, v19
	;; [unrolled: 1-line block ×16, first 2 shown]
	v_cndmask_b32_e64 v15, v45, v15, s[30:31]
	v_cndmask_b32_e64 v14, v45, v14, s[0:1]
	;; [unrolled: 1-line block ×16, first 2 shown]
	s_branch .LBB286_11
.LBB286_16:
	v_cmp_eq_u32_e32 vcc, 0, v24
	v_cmp_neq_f32_e64 s[0:1], 0, v41
	s_and_b64 s[0:1], vcc, s[0:1]
	s_and_b64 exec, exec, s[0:1]
	s_cbranch_execz .LBB286_27
; %bb.17:
	s_andn2_b64 vcc, exec, s[46:47]
	s_cbranch_vccnz .LBB286_27
; %bb.18:
	v_div_scale_f32 v0, s[0:1], v41, v41, 1.0
	v_rcp_f32_e32 v1, v0
	v_div_scale_f32 v2, vcc, 1.0, v41, 1.0
	s_cmp_gt_u32 s36, 3
	v_fma_f32 v3, -v0, v1, 1.0
	v_fmac_f32_e32 v1, v3, v1
	v_mul_f32_e32 v3, v2, v1
	v_fma_f32 v4, -v0, v3, v2
	v_fmac_f32_e32 v3, v4, v1
	v_fma_f32 v0, -v0, v3, v2
	v_div_fmas_f32 v0, v0, v1, v3
	v_div_fixup_f32 v0, v0, v41, 1.0
	v_ashrrev_i32_e32 v17, 31, v16
	s_cbranch_scc0 .LBB286_22
; %bb.19:
	v_lshlrev_b64 v[2:3], 2, v[16:17]
	v_mov_b32_e32 v4, s35
	v_add_co_u32_e32 v2, vcc, s34, v2
	v_addc_co_u32_e32 v3, vcc, v3, v4, vcc
	s_and_b32 s4, s36, 0x7ffffffc
	v_add_co_u32_e32 v2, vcc, 8, v2
	v_mov_b32_e32 v1, v0
	v_addc_co_u32_e32 v3, vcc, 0, v3, vcc
	s_mov_b32 s0, s4
.LBB286_20:                             ; =>This Inner Loop Header: Depth=1
	global_load_dwordx4 v[4:7], v[2:3], off offset:-8
	s_add_i32 s0, s0, -4
	s_cmp_lg_u32 s0, 0
	s_waitcnt vmcnt(0)
	v_pk_mul_f32 v[4:5], v[0:1], v[4:5]
	v_pk_mul_f32 v[6:7], v[0:1], v[6:7]
	global_store_dwordx4 v[2:3], v[4:7], off offset:-8
	v_add_co_u32_e32 v2, vcc, 16, v2
	v_addc_co_u32_e32 v3, vcc, 0, v3, vcc
	s_cbranch_scc1 .LBB286_20
; %bb.21:
	s_cmp_lg_u32 s4, s36
	s_cselect_b64 s[0:1], -1, 0
	s_branch .LBB286_24
.LBB286_22:
	s_mov_b64 s[0:1], 0
                                        ; implicit-def: $sgpr4
	s_cbranch_execz .LBB286_24
; %bb.23:
	s_mov_b64 s[0:1], -1
	s_mov_b32 s4, 0
.LBB286_24:
	s_andn2_b64 vcc, exec, s[0:1]
	s_cbranch_vccnz .LBB286_27
; %bb.25:
	v_add_co_u32_e32 v2, vcc, s4, v16
	v_addc_co_u32_e32 v3, vcc, 0, v17, vcc
	v_lshlrev_b64 v[2:3], 2, v[2:3]
	v_mov_b32_e32 v1, s35
	v_add_co_u32_e32 v2, vcc, s34, v2
	s_sub_i32 s0, s36, s4
	v_addc_co_u32_e32 v3, vcc, v1, v3, vcc
.LBB286_26:                             ; =>This Inner Loop Header: Depth=1
	global_load_dword v1, v[2:3], off
	s_add_i32 s0, s0, -1
	s_cmp_lg_u32 s0, 0
	s_waitcnt vmcnt(0)
	v_mul_f32_e32 v1, v0, v1
	global_store_dword v[2:3], v1, off
	v_add_co_u32_e32 v2, vcc, 4, v2
	v_addc_co_u32_e32 v3, vcc, 0, v3, vcc
	s_cbranch_scc1 .LBB286_26
.LBB286_27:
	s_endpgm
	.section	.rodata,"a",@progbits
	.p2align	6, 0x0
	.amdhsa_kernel _ZN4vllm3moe17topkGatingSoftmaxItLi16ELi128ELi8ELi32ELb1ELi8ELNS0_23SharedExpertScoringFuncE1EEEvPKT_PKbPfiPiS9_iiiiii
		.amdhsa_group_segment_fixed_size 0
		.amdhsa_private_segment_fixed_size 0
		.amdhsa_kernarg_size 72
		.amdhsa_user_sgpr_count 6
		.amdhsa_user_sgpr_private_segment_buffer 1
		.amdhsa_user_sgpr_dispatch_ptr 0
		.amdhsa_user_sgpr_queue_ptr 0
		.amdhsa_user_sgpr_kernarg_segment_ptr 1
		.amdhsa_user_sgpr_dispatch_id 0
		.amdhsa_user_sgpr_flat_scratch_init 0
		.amdhsa_user_sgpr_kernarg_preload_length 0
		.amdhsa_user_sgpr_kernarg_preload_offset 0
		.amdhsa_user_sgpr_private_segment_size 0
		.amdhsa_uses_dynamic_stack 0
		.amdhsa_system_sgpr_private_segment_wavefront_offset 0
		.amdhsa_system_sgpr_workgroup_id_x 1
		.amdhsa_system_sgpr_workgroup_id_y 0
		.amdhsa_system_sgpr_workgroup_id_z 0
		.amdhsa_system_sgpr_workgroup_info 0
		.amdhsa_system_vgpr_workitem_id 1
		.amdhsa_next_free_vgpr 50
		.amdhsa_next_free_sgpr 53
		.amdhsa_accum_offset 52
		.amdhsa_reserve_vcc 1
		.amdhsa_reserve_flat_scratch 0
		.amdhsa_float_round_mode_32 0
		.amdhsa_float_round_mode_16_64 0
		.amdhsa_float_denorm_mode_32 3
		.amdhsa_float_denorm_mode_16_64 3
		.amdhsa_dx10_clamp 1
		.amdhsa_ieee_mode 1
		.amdhsa_fp16_overflow 0
		.amdhsa_tg_split 0
		.amdhsa_exception_fp_ieee_invalid_op 0
		.amdhsa_exception_fp_denorm_src 0
		.amdhsa_exception_fp_ieee_div_zero 0
		.amdhsa_exception_fp_ieee_overflow 0
		.amdhsa_exception_fp_ieee_underflow 0
		.amdhsa_exception_fp_ieee_inexact 0
		.amdhsa_exception_int_div_zero 0
	.end_amdhsa_kernel
	.section	.text._ZN4vllm3moe17topkGatingSoftmaxItLi16ELi128ELi8ELi32ELb1ELi8ELNS0_23SharedExpertScoringFuncE1EEEvPKT_PKbPfiPiS9_iiiiii,"axG",@progbits,_ZN4vllm3moe17topkGatingSoftmaxItLi16ELi128ELi8ELi32ELb1ELi8ELNS0_23SharedExpertScoringFuncE1EEEvPKT_PKbPfiPiS9_iiiiii,comdat
.Lfunc_end286:
	.size	_ZN4vllm3moe17topkGatingSoftmaxItLi16ELi128ELi8ELi32ELb1ELi8ELNS0_23SharedExpertScoringFuncE1EEEvPKT_PKbPfiPiS9_iiiiii, .Lfunc_end286-_ZN4vllm3moe17topkGatingSoftmaxItLi16ELi128ELi8ELi32ELb1ELi8ELNS0_23SharedExpertScoringFuncE1EEEvPKT_PKbPfiPiS9_iiiiii
                                        ; -- End function
	.section	.AMDGPU.csdata,"",@progbits
; Kernel info:
; codeLenInByte = 3360
; NumSgprs: 57
; NumVgprs: 50
; NumAgprs: 0
; TotalNumVgprs: 50
; ScratchSize: 0
; MemoryBound: 0
; FloatMode: 240
; IeeeMode: 1
; LDSByteSize: 0 bytes/workgroup (compile time only)
; SGPRBlocks: 7
; VGPRBlocks: 6
; NumSGPRsForWavesPerEU: 57
; NumVGPRsForWavesPerEU: 50
; AccumOffset: 52
; Occupancy: 8
; WaveLimiterHint : 0
; COMPUTE_PGM_RSRC2:SCRATCH_EN: 0
; COMPUTE_PGM_RSRC2:USER_SGPR: 6
; COMPUTE_PGM_RSRC2:TRAP_HANDLER: 0
; COMPUTE_PGM_RSRC2:TGID_X_EN: 1
; COMPUTE_PGM_RSRC2:TGID_Y_EN: 0
; COMPUTE_PGM_RSRC2:TGID_Z_EN: 0
; COMPUTE_PGM_RSRC2:TIDIG_COMP_CNT: 1
; COMPUTE_PGM_RSRC3_GFX90A:ACCUM_OFFSET: 12
; COMPUTE_PGM_RSRC3_GFX90A:TG_SPLIT: 0
	.section	.text._ZN4vllm3moe17topkGatingSoftmaxItLi16ELi128ELi8ELi32ELb0ELi8ELNS0_23SharedExpertScoringFuncE1EEEvPKT_PKbPfiPiS9_iiiiii,"axG",@progbits,_ZN4vllm3moe17topkGatingSoftmaxItLi16ELi128ELi8ELi32ELb0ELi8ELNS0_23SharedExpertScoringFuncE1EEEvPKT_PKbPfiPiS9_iiiiii,comdat
	.protected	_ZN4vllm3moe17topkGatingSoftmaxItLi16ELi128ELi8ELi32ELb0ELi8ELNS0_23SharedExpertScoringFuncE1EEEvPKT_PKbPfiPiS9_iiiiii ; -- Begin function _ZN4vllm3moe17topkGatingSoftmaxItLi16ELi128ELi8ELi32ELb0ELi8ELNS0_23SharedExpertScoringFuncE1EEEvPKT_PKbPfiPiS9_iiiiii
	.globl	_ZN4vllm3moe17topkGatingSoftmaxItLi16ELi128ELi8ELi32ELb0ELi8ELNS0_23SharedExpertScoringFuncE1EEEvPKT_PKbPfiPiS9_iiiiii
	.p2align	8
	.type	_ZN4vllm3moe17topkGatingSoftmaxItLi16ELi128ELi8ELi32ELb0ELi8ELNS0_23SharedExpertScoringFuncE1EEEvPKT_PKbPfiPiS9_iiiiii,@function
_ZN4vllm3moe17topkGatingSoftmaxItLi16ELi128ELi8ELi32ELb0ELi8ELNS0_23SharedExpertScoringFuncE1EEEvPKT_PKbPfiPiS9_iiiiii: ; @_ZN4vllm3moe17topkGatingSoftmaxItLi16ELi128ELi8ELi32ELb0ELi8ELNS0_23SharedExpertScoringFuncE1EEEvPKT_PKbPfiPiS9_iiiiii
; %bb.0:
	s_load_dword s33, s[4:5], 0x18
	v_bfe_u32 v1, v0, 10, 10
	v_and_b32_e32 v0, 0x3ff, v0
	s_lshl_b32 s50, s6, 6
	v_lshlrev_b32_e32 v22, 3, v1
	v_lshrrev_b32_e32 v23, 3, v0
	v_add3_u32 v43, s50, v22, v23
	s_waitcnt lgkmcnt(0)
	v_cmp_gt_i32_e32 vcc, s33, v43
	s_and_saveexec_b64 s[0:1], vcc
	s_cbranch_execz .LBB287_29
; %bb.1:
	s_load_dwordx4 s[0:3], s[4:5], 0x0
	s_load_dwordx2 s[34:35], s[4:5], 0x10
	s_waitcnt lgkmcnt(0)
	s_cmp_eq_u64 s[2:3], 0
	s_cbranch_scc1 .LBB287_3
; %bb.2:
	v_ashrrev_i32_e32 v1, 31, v43
	v_mov_b32_e32 v3, s3
	v_add_co_u32_e32 v2, vcc, s2, v43
	v_addc_co_u32_e32 v3, vcc, v3, v1, vcc
	global_load_ubyte v1, v[2:3], off
	s_waitcnt vmcnt(0)
	v_and_b32_e32 v1, 1, v1
	v_cmp_eq_u32_e32 vcc, 1, v1
	s_xor_b64 s[2:3], vcc, -1
	s_orn2_b64 s[46:47], s[2:3], exec
	s_branch .LBB287_4
.LBB287_3:
	s_mov_b64 s[46:47], -1
.LBB287_4:
	s_load_dwordx2 s[6:7], s[4:5], 0x40
	s_load_dwordx4 s[36:39], s[4:5], 0x30
	v_mov_b32_e32 v1, s1
	v_and_b32_e32 v24, 7, v0
	v_lshlrev_b32_e32 v0, 1, v24
	s_waitcnt lgkmcnt(0)
	v_mul_lo_u32 v2, v43, s7
	v_ashrrev_i32_e32 v3, 31, v2
	v_lshlrev_b64 v[2:3], 1, v[2:3]
	v_add_co_u32_e32 v2, vcc, s0, v2
	v_addc_co_u32_e32 v3, vcc, v1, v3, vcc
	v_add_co_u32_e32 v0, vcc, v2, v0
	v_addc_co_u32_e32 v1, vcc, 0, v3, vcc
	global_load_ushort v8, v[0:1], off offset:256
	v_lshlrev_b32_e32 v4, 5, v24
	v_add_co_u32_e32 v0, vcc, v2, v4
	v_addc_co_u32_e32 v1, vcc, 0, v3, vcc
	global_load_dwordx4 v[4:7], v[0:1], off
	global_load_dwordx4 v[12:15], v[0:1], off offset:16
	v_mul_lo_u32 v16, v43, s39
	v_add3_u32 v0, v16, s36, v24
	v_ashrrev_i32_e32 v1, 31, v0
	s_mov_b32 s0, 0xbfb8aa3b
	v_lshlrev_b64 v[2:3], 2, v[0:1]
	s_mov_b32 s1, 0x42ce8ed0
	s_mov_b32 s2, 0xc2b17218
	v_mov_b32_e32 v9, 0x7f800000
	v_mov_b32_e32 v10, s35
	v_add_co_u32_e32 v2, vcc, s34, v2
	v_lshlrev_b32_e32 v27, 4, v24
	v_addc_co_u32_e32 v3, vcc, v10, v3, vcc
	v_or_b32_e32 v28, 1, v27
	v_or_b32_e32 v29, 2, v27
	;; [unrolled: 1-line block ×15, first 2 shown]
	v_mov_b32_e32 v26, 0
	s_waitcnt vmcnt(2)
	v_cvt_f32_u32_e32 v8, v8
	s_waitcnt vmcnt(1)
	v_cvt_f32_u32_sdwa v1, v4 dst_sel:DWORD dst_unused:UNUSED_PAD src0_sel:WORD_1
	v_cvt_f32_u32_sdwa v0, v4 dst_sel:DWORD dst_unused:UNUSED_PAD src0_sel:WORD_0
	v_mul_f32_e32 v4, 0xbfb8aa3b, v8
	v_fma_f32 v11, v8, s0, -v4
	v_rndne_f32_e32 v17, v4
	v_fmac_f32_e32 v11, 0xb2a5705f, v8
	v_sub_f32_e32 v4, v4, v17
	v_add_f32_e32 v4, v4, v11
	v_cvt_i32_f32_e32 v17, v17
	v_exp_f32_e32 v4, v4
	v_cmp_nlt_f32_e64 s[0:1], s1, v8
	v_cmp_lt_f32_e32 vcc, v0, v1
	v_cndmask_b32_e32 v10, v27, v28, vcc
	v_ldexp_f32 v4, v4, v17
	v_cndmask_b32_e64 v4, 0, v4, s[0:1]
	v_cmp_ngt_f32_e64 s[0:1], s2, v8
	v_cndmask_b32_e64 v4, v9, v4, s[0:1]
	v_add_f32_e32 v4, 1.0, v4
	v_div_scale_f32 v8, s[0:1], v4, v4, 1.0
	v_rcp_f32_e32 v9, v8
	v_cndmask_b32_e32 v11, v0, v1, vcc
	v_div_scale_f32 v17, vcc, 1.0, v4, 1.0
	v_fma_f32 v18, -v8, v9, 1.0
	v_fmac_f32_e32 v9, v18, v9
	v_mul_f32_e32 v18, v17, v9
	v_fma_f32 v19, -v8, v18, v17
	v_fmac_f32_e32 v18, v19, v9
	v_fma_f32 v8, -v8, v18, v17
	v_div_fmas_f32 v8, v8, v9, v18
	v_div_fixup_f32 v4, v8, v4, 1.0
	global_store_dword v[2:3], v4, off
	v_cvt_f32_u32_sdwa v2, v5 dst_sel:DWORD dst_unused:UNUSED_PAD src0_sel:WORD_0
	v_cvt_f32_u32_sdwa v3, v5 dst_sel:DWORD dst_unused:UNUSED_PAD src0_sel:WORD_1
	v_cmp_lt_f32_e32 vcc, v11, v2
	v_cndmask_b32_e32 v8, v11, v2, vcc
	v_cndmask_b32_e32 v4, v10, v29, vcc
	v_cmp_lt_f32_e32 vcc, v8, v3
	v_cndmask_b32_e32 v5, v4, v30, vcc
	v_cvt_f32_u32_sdwa v4, v6 dst_sel:DWORD dst_unused:UNUSED_PAD src0_sel:WORD_0
	v_cndmask_b32_e32 v8, v8, v3, vcc
	v_cmp_lt_f32_e32 vcc, v8, v4
	v_cndmask_b32_e32 v9, v5, v31, vcc
	v_cvt_f32_u32_sdwa v5, v6 dst_sel:DWORD dst_unused:UNUSED_PAD src0_sel:WORD_1
	v_cvt_f32_u32_sdwa v6, v7 dst_sel:DWORD dst_unused:UNUSED_PAD src0_sel:WORD_0
	v_cndmask_b32_e32 v8, v8, v4, vcc
	v_cvt_f32_u32_sdwa v7, v7 dst_sel:DWORD dst_unused:UNUSED_PAD src0_sel:WORD_1
	v_cmp_lt_f32_e32 vcc, v8, v5
	v_cndmask_b32_e32 v8, v8, v5, vcc
	v_cndmask_b32_e32 v9, v9, v32, vcc
	v_cmp_lt_f32_e32 vcc, v8, v6
	v_cndmask_b32_e32 v8, v8, v6, vcc
	v_cndmask_b32_e32 v9, v9, v33, vcc
	v_cmp_lt_f32_e32 vcc, v8, v7
	v_cndmask_b32_e32 v10, v8, v7, vcc
	s_waitcnt vmcnt(1)
	v_cvt_f32_u32_sdwa v8, v12 dst_sel:DWORD dst_unused:UNUSED_PAD src0_sel:WORD_0
	v_cndmask_b32_e32 v9, v9, v34, vcc
	v_cmp_lt_f32_e32 vcc, v10, v8
	v_cndmask_b32_e32 v11, v9, v35, vcc
	v_cvt_f32_u32_sdwa v9, v12 dst_sel:DWORD dst_unused:UNUSED_PAD src0_sel:WORD_1
	v_cndmask_b32_e32 v10, v10, v8, vcc
	v_cmp_lt_f32_e32 vcc, v10, v9
	v_cndmask_b32_e32 v12, v10, v9, vcc
	v_cvt_f32_u32_sdwa v10, v13 dst_sel:DWORD dst_unused:UNUSED_PAD src0_sel:WORD_0
	v_cndmask_b32_e32 v11, v11, v36, vcc
	v_cmp_lt_f32_e32 vcc, v12, v10
	v_cndmask_b32_e32 v17, v11, v37, vcc
	v_cvt_f32_u32_sdwa v11, v13 dst_sel:DWORD dst_unused:UNUSED_PAD src0_sel:WORD_1
	v_cndmask_b32_e32 v12, v12, v10, vcc
	v_cmp_lt_f32_e32 vcc, v12, v11
	v_cndmask_b32_e32 v13, v17, v38, vcc
	v_cndmask_b32_e32 v17, v12, v11, vcc
	v_cvt_f32_u32_sdwa v12, v14 dst_sel:DWORD dst_unused:UNUSED_PAD src0_sel:WORD_0
	v_cmp_lt_f32_e32 vcc, v17, v12
	v_cndmask_b32_e32 v18, v13, v39, vcc
	v_cvt_f32_u32_sdwa v13, v14 dst_sel:DWORD dst_unused:UNUSED_PAD src0_sel:WORD_1
	v_cvt_f32_u32_sdwa v14, v15 dst_sel:DWORD dst_unused:UNUSED_PAD src0_sel:WORD_0
	v_cndmask_b32_e32 v17, v17, v12, vcc
	v_cvt_f32_u32_sdwa v15, v15 dst_sel:DWORD dst_unused:UNUSED_PAD src0_sel:WORD_1
	v_cmp_lt_f32_e32 vcc, v17, v13
	v_cndmask_b32_e32 v17, v17, v13, vcc
	v_cndmask_b32_e32 v18, v18, v40, vcc
	v_cmp_lt_f32_e32 vcc, v17, v14
	v_cndmask_b32_e32 v17, v17, v14, vcc
	v_cndmask_b32_e32 v18, v18, v41, vcc
	;; [unrolled: 3-line block ×3, first 2 shown]
	s_nop 0
	v_mov_b32_dpp v20, v18 quad_perm:[1,0,3,2] row_mask:0xf bank_mask:0xf
	v_mov_b32_dpp v19, v17 quad_perm:[1,0,3,2] row_mask:0xf bank_mask:0xf
	v_cmp_eq_f32_e64 s[0:1], v17, v19
	v_cmp_lt_i32_e64 s[2:3], v20, v18
	v_cmp_lt_f32_e32 vcc, v17, v19
	s_and_b64 s[0:1], s[0:1], s[2:3]
	s_or_b64 vcc, vcc, s[0:1]
	v_cndmask_b32_e32 v17, v17, v19, vcc
	v_cndmask_b32_e32 v18, v18, v20, vcc
	s_nop 0
	v_mov_b32_dpp v19, v17 quad_perm:[2,3,0,1] row_mask:0xf bank_mask:0xf
	v_mov_b32_dpp v20, v18 quad_perm:[2,3,0,1] row_mask:0xf bank_mask:0xf
	v_cmp_eq_f32_e64 s[0:1], v17, v19
	v_cmp_lt_i32_e64 s[2:3], v20, v18
	v_cmp_lt_f32_e32 vcc, v17, v19
	s_and_b64 s[0:1], s[0:1], s[2:3]
	s_or_b64 vcc, vcc, s[0:1]
	v_cndmask_b32_e32 v19, v17, v19, vcc
	v_cndmask_b32_e32 v17, v18, v20, vcc
	s_nop 0
	v_mov_b32_dpp v20, v19 row_half_mirror row_mask:0xf bank_mask:0xf
	v_mov_b32_dpp v18, v17 row_half_mirror row_mask:0xf bank_mask:0xf
	v_cmp_eq_f32_e64 s[0:1], v19, v20
	v_cmp_lt_i32_e64 s[2:3], v18, v17
	v_cmp_lt_f32_e32 vcc, v19, v20
	s_and_b64 s[0:1], s[0:1], s[2:3]
	s_or_b64 s[0:1], vcc, s[0:1]
	s_cmp_gt_i32 s36, 0
	v_cndmask_b32_e64 v25, v19, v20, s[0:1]
	s_cselect_b64 s[44:45], -1, 0
	s_cmp_lt_i32 s36, 1
	v_cmp_eq_u32_e32 vcc, 0, v24
	s_cbranch_scc1 .LBB287_16
; %bb.5:
	s_load_dwordx4 s[40:43], s[4:5], 0x20
	v_cndmask_b32_e64 v44, v17, v18, s[0:1]
	v_mul_lo_u32 v20, v43, s6
	v_mul_lo_u32 v18, v43, s36
	v_mov_b32_e32 v26, 0
	s_and_saveexec_b64 s[4:5], vcc
	s_cbranch_execz .LBB287_7
; %bb.6:
	v_sub_f32_e32 v17, v25, v25
	v_mul_f32_e32 v19, 0x3fb8aa3b, v17
	s_mov_b32 s0, 0x3fb8aa3b
	v_rndne_f32_e32 v21, v19
	v_sub_f32_e32 v26, v19, v21
	v_fma_f32 v19, v17, s0, -v19
	v_fmac_f32_e32 v19, 0x32a5705f, v17
	v_add_f32_e32 v19, v26, v19
	v_exp_f32_e32 v19, v19
	v_cvt_i32_f32_e32 v21, v21
	v_cmp_le_i32_e64 s[0:1], s37, v44
	v_cmp_gt_i32_e64 s[2:3], s38, v44
	s_and_b64 s[2:3], s[0:1], s[2:3]
	s_mov_b32 s0, 0xc2ce8ed0
	v_ldexp_f32 v19, v19, v21
	v_cmp_ngt_f32_e64 s[0:1], s0, v17
	v_cndmask_b32_e64 v19, 0, v19, s[0:1]
	s_mov_b32 s0, 0x42b17218
	v_cmp_nlt_f32_e64 s[0:1], s0, v17
	v_ashrrev_i32_e32 v17, 31, v16
	v_mov_b32_e32 v21, 0x7f800000
	v_lshlrev_b64 v[46:47], 2, v[16:17]
	v_cndmask_b32_e64 v26, v21, v19, s[0:1]
	v_mov_b32_e32 v17, s35
	v_add_co_u32_e64 v46, s[0:1], s34, v46
	v_addc_co_u32_e64 v47, s[0:1], v17, v47, s[0:1]
	v_ashrrev_i32_e32 v21, 31, v20
	global_store_dword v[46:47], v26, off
	v_subrev_u32_e32 v17, s37, v44
	v_mov_b32_e32 v19, 0x80
	s_and_b64 s[0:1], s[46:47], s[2:3]
	v_lshlrev_b64 v[46:47], 2, v[20:21]
	v_cndmask_b32_e64 v17, v19, v17, s[0:1]
	s_waitcnt lgkmcnt(0)
	v_mov_b32_e32 v19, s41
	v_add_co_u32_e64 v46, s[0:1], s40, v46
	v_addc_co_u32_e64 v47, s[0:1], v19, v47, s[0:1]
	v_ashrrev_i32_e32 v19, 31, v18
	global_store_dword v[46:47], v17, off
	v_lshlrev_b64 v[46:47], 2, v[18:19]
	v_mov_b32_e32 v17, s43
	v_add_co_u32_e64 v46, s[0:1], s42, v46
	v_addc_co_u32_e64 v47, s[0:1], v17, v47, s[0:1]
	global_store_dword v[46:47], v43, off
.LBB287_7:
	s_or_b64 exec, exec, s[4:5]
	v_ashrrev_i32_e32 v19, 31, v44
	v_lshrrev_b32_e32 v17, 28, v19
	v_add_u32_e32 v17, v44, v17
	v_ashrrev_i32_e32 v17, 4, v17
	v_lshrrev_b32_e32 v21, 29, v17
	v_add_u32_e32 v21, v17, v21
	v_and_b32_e32 v21, -8, v21
	v_sub_u32_e32 v21, v17, v21
	v_cmp_eq_u32_e64 s[0:1], v24, v21
	s_and_saveexec_b64 s[48:49], s[0:1]
	s_cbranch_execz .LBB287_9
; %bb.8:
	v_lshrrev_b32_e32 v19, 25, v19
	v_add_u32_e32 v19, v44, v19
	v_lshlrev_b32_e32 v17, 4, v17
	v_sub_u32_e32 v17, v44, v17
	v_ashrrev_i32_e32 v19, 7, v19
	v_lshl_add_u32 v17, v19, 4, v17
	v_mov_b32_e32 v19, 0xff800000
	v_cmp_ne_u32_e64 s[0:1], 14, v17
	v_cmp_ne_u32_e64 s[2:3], 13, v17
	;; [unrolled: 1-line block ×16, first 2 shown]
	v_cndmask_b32_e64 v15, v19, v15, s[30:31]
	v_cndmask_b32_e64 v14, v19, v14, s[0:1]
	;; [unrolled: 1-line block ×16, first 2 shown]
.LBB287_9:
	s_or_b64 exec, exec, s[48:49]
	s_cmp_eq_u32 s36, 1
	s_cbranch_scc1 .LBB287_16
; %bb.10:
	s_add_i32 s50, s50, s33
	s_add_i32 s39, s36, -1
	v_add3_u32 v17, s50, v23, v22
	v_add_u32_e32 v18, 1, v18
	v_add_u32_e32 v20, 1, v20
	;; [unrolled: 1-line block ×3, first 2 shown]
	s_mov_b32 s50, 0x3fb8aa3b
	s_mov_b32 s51, 0xc2ce8ed0
	;; [unrolled: 1-line block ×3, first 2 shown]
	v_mov_b32_e32 v43, 0x7f800000
	v_mov_b32_e32 v44, 0x80
	;; [unrolled: 1-line block ×3, first 2 shown]
	s_branch .LBB287_12
.LBB287_11:                             ;   in Loop: Header=BB287_12 Depth=1
	s_or_b64 exec, exec, s[48:49]
	s_add_i32 s39, s39, -1
	v_add_u32_e32 v17, s33, v17
	v_add_u32_e32 v18, 1, v18
	;; [unrolled: 1-line block ×3, first 2 shown]
	s_cmp_eq_u32 s39, 0
	v_add_u32_e32 v22, 1, v22
	s_cbranch_scc1 .LBB287_16
.LBB287_12:                             ; =>This Inner Loop Header: Depth=1
	v_cmp_gt_f32_e64 s[0:1], v1, v0
	v_cndmask_b32_e64 v21, v0, v1, s[0:1]
	v_cndmask_b32_e64 v19, v27, v28, s[0:1]
	v_cmp_gt_f32_e64 s[0:1], v2, v21
	v_cndmask_b32_e64 v21, v21, v2, s[0:1]
	v_cndmask_b32_e64 v19, v19, v29, s[0:1]
	;; [unrolled: 3-line block ×15, first 2 shown]
	s_nop 0
	v_mov_b32_dpp v46, v19 quad_perm:[1,0,3,2] row_mask:0xf bank_mask:0xf
	v_mov_b32_dpp v23, v21 quad_perm:[1,0,3,2] row_mask:0xf bank_mask:0xf
	v_cmp_eq_f32_e64 s[2:3], v21, v23
	v_cmp_lt_i32_e64 s[4:5], v46, v19
	v_cmp_lt_f32_e64 s[0:1], v21, v23
	s_and_b64 s[2:3], s[2:3], s[4:5]
	s_or_b64 s[0:1], s[0:1], s[2:3]
	v_cndmask_b32_e64 v21, v21, v23, s[0:1]
	v_cndmask_b32_e64 v23, v19, v46, s[0:1]
	s_nop 0
	v_mov_b32_dpp v19, v21 quad_perm:[2,3,0,1] row_mask:0xf bank_mask:0xf
	v_mov_b32_dpp v46, v23 quad_perm:[2,3,0,1] row_mask:0xf bank_mask:0xf
	v_cmp_eq_f32_e64 s[2:3], v21, v19
	v_cmp_lt_i32_e64 s[4:5], v46, v23
	v_cmp_lt_f32_e64 s[0:1], v21, v19
	s_and_b64 s[2:3], s[2:3], s[4:5]
	s_or_b64 s[0:1], s[0:1], s[2:3]
	v_cndmask_b32_e64 v19, v21, v19, s[0:1]
	v_cndmask_b32_e64 v23, v23, v46, s[0:1]
	s_nop 0
	v_mov_b32_dpp v21, v19 row_half_mirror row_mask:0xf bank_mask:0xf
	v_mov_b32_dpp v46, v23 row_half_mirror row_mask:0xf bank_mask:0xf
	v_cmp_eq_f32_e64 s[2:3], v19, v21
	v_cmp_lt_i32_e64 s[4:5], v46, v23
	v_cmp_lt_f32_e64 s[0:1], v19, v21
	s_and_b64 s[2:3], s[2:3], s[4:5]
	s_or_b64 s[0:1], s[0:1], s[2:3]
	v_cndmask_b32_e64 v46, v23, v46, s[0:1]
	s_and_saveexec_b64 s[4:5], vcc
	s_cbranch_execz .LBB287_14
; %bb.13:                               ;   in Loop: Header=BB287_12 Depth=1
	v_cndmask_b32_e64 v19, v19, v21, s[0:1]
	v_sub_f32_e32 v19, v19, v25
	v_mul_f32_e32 v21, 0x3fb8aa3b, v19
	v_fma_f32 v23, v19, s50, -v21
	v_rndne_f32_e32 v47, v21
	v_fmac_f32_e32 v23, 0x32a5705f, v19
	v_sub_f32_e32 v21, v21, v47
	v_add_f32_e32 v21, v21, v23
	v_exp_f32_e32 v21, v21
	v_cvt_i32_f32_e32 v23, v47
	v_cmp_le_i32_e64 s[0:1], s37, v46
	v_cmp_gt_i32_e64 s[2:3], s38, v46
	s_and_b64 s[2:3], s[0:1], s[2:3]
	v_ldexp_f32 v21, v21, v23
	v_cmp_ngt_f32_e64 s[0:1], s51, v19
	v_ashrrev_i32_e32 v23, 31, v22
	v_cndmask_b32_e64 v21, 0, v21, s[0:1]
	v_cmp_nlt_f32_e64 s[0:1], s52, v19
	v_lshlrev_b64 v[48:49], 2, v[22:23]
	v_cndmask_b32_e64 v47, v43, v21, s[0:1]
	v_mov_b32_e32 v19, s35
	v_add_co_u32_e64 v48, s[0:1], s34, v48
	v_addc_co_u32_e64 v49, s[0:1], v19, v49, s[0:1]
	v_ashrrev_i32_e32 v21, 31, v20
	global_store_dword v[48:49], v47, off
	v_subrev_u32_e32 v19, s37, v46
	s_and_b64 s[0:1], s[46:47], s[2:3]
	v_lshlrev_b64 v[48:49], 2, v[20:21]
	v_cndmask_b32_e64 v19, v44, v19, s[0:1]
	s_waitcnt lgkmcnt(0)
	v_mov_b32_e32 v21, s41
	v_add_co_u32_e64 v48, s[0:1], s40, v48
	v_addc_co_u32_e64 v49, s[0:1], v21, v49, s[0:1]
	global_store_dword v[48:49], v19, off
	v_ashrrev_i32_e32 v19, 31, v18
	v_lshlrev_b64 v[48:49], 2, v[18:19]
	v_mov_b32_e32 v19, s43
	v_add_co_u32_e64 v48, s[0:1], s42, v48
	v_addc_co_u32_e64 v49, s[0:1], v19, v49, s[0:1]
	v_add_f32_e32 v26, v26, v47
	global_store_dword v[48:49], v17, off
.LBB287_14:                             ;   in Loop: Header=BB287_12 Depth=1
	s_or_b64 exec, exec, s[4:5]
	v_ashrrev_i32_e32 v21, 31, v46
	v_lshrrev_b32_e32 v19, 28, v21
	v_add_u32_e32 v19, v46, v19
	v_ashrrev_i32_e32 v19, 4, v19
	v_lshrrev_b32_e32 v23, 29, v19
	v_add_u32_e32 v23, v19, v23
	v_and_b32_e32 v23, -8, v23
	v_sub_u32_e32 v23, v19, v23
	v_cmp_eq_u32_e64 s[0:1], v24, v23
	s_and_saveexec_b64 s[48:49], s[0:1]
	s_cbranch_execz .LBB287_11
; %bb.15:                               ;   in Loop: Header=BB287_12 Depth=1
	v_lshrrev_b32_e32 v21, 25, v21
	v_add_u32_e32 v21, v46, v21
	v_lshlrev_b32_e32 v19, 4, v19
	v_sub_u32_e32 v19, v46, v19
	v_ashrrev_i32_e32 v21, 7, v21
	v_lshl_add_u32 v19, v21, 4, v19
	v_cmp_ne_u32_e64 s[0:1], 14, v19
	v_cmp_ne_u32_e64 s[2:3], 13, v19
	;; [unrolled: 1-line block ×16, first 2 shown]
	v_cndmask_b32_e64 v15, v45, v15, s[30:31]
	v_cndmask_b32_e64 v14, v45, v14, s[0:1]
	;; [unrolled: 1-line block ×16, first 2 shown]
	s_branch .LBB287_11
.LBB287_16:
	v_sub_f32_e32 v0, v0, v25
	s_mov_b32 s2, 0x3fb8aa3b
	v_mul_f32_e32 v17, 0x3fb8aa3b, v0
	v_fma_f32 v18, v0, s2, -v17
	v_rndne_f32_e32 v19, v17
	v_fmac_f32_e32 v18, 0x32a5705f, v0
	v_sub_f32_e32 v17, v17, v19
	v_add_f32_e32 v17, v17, v18
	v_exp_f32_e32 v17, v17
	v_cvt_i32_f32_e32 v18, v19
	v_sub_f32_e32 v1, v1, v25
	s_mov_b32 s4, 0xc2ce8ed0
	s_mov_b32 s3, 0x42b17218
	v_ldexp_f32 v17, v17, v18
	v_mul_f32_e32 v18, 0x3fb8aa3b, v1
	v_fma_f32 v19, v1, s2, -v18
	v_rndne_f32_e32 v20, v18
	v_fmac_f32_e32 v19, 0x32a5705f, v1
	v_sub_f32_e32 v18, v18, v20
	v_add_f32_e32 v18, v18, v19
	v_exp_f32_e32 v18, v18
	v_cvt_i32_f32_e32 v19, v20
	v_cmp_ngt_f32_e32 vcc, s4, v1
	v_cmp_ngt_f32_e64 s[0:1], s4, v0
	v_sub_f32_e32 v2, v2, v25
	v_ldexp_f32 v18, v18, v19
	v_cndmask_b32_e32 v18, 0, v18, vcc
	v_mov_b32_e32 v19, 0x7f800000
	v_cmp_nlt_f32_e32 vcc, s3, v1
	v_cndmask_b32_e64 v1, 0, v17, s[0:1]
	v_cmp_nlt_f32_e64 s[0:1], s3, v0
	v_cndmask_b32_e64 v0, v19, v1, s[0:1]
	v_cndmask_b32_e32 v1, v19, v18, vcc
	v_add_f32_e32 v0, v0, v1
	v_mul_f32_e32 v1, 0x3fb8aa3b, v2
	v_fma_f32 v17, v2, s2, -v1
	v_rndne_f32_e32 v18, v1
	v_fmac_f32_e32 v17, 0x32a5705f, v2
	v_sub_f32_e32 v1, v1, v18
	v_add_f32_e32 v1, v1, v17
	v_exp_f32_e32 v1, v1
	v_cvt_i32_f32_e32 v17, v18
	v_cmp_ngt_f32_e32 vcc, s4, v2
	v_sub_f32_e32 v3, v3, v25
	v_sub_f32_e32 v4, v4, v25
	v_ldexp_f32 v1, v1, v17
	v_cndmask_b32_e32 v1, 0, v1, vcc
	v_cmp_nlt_f32_e32 vcc, s3, v2
	v_cndmask_b32_e32 v1, v19, v1, vcc
	v_add_f32_e32 v0, v0, v1
	v_mul_f32_e32 v1, 0x3fb8aa3b, v3
	v_fma_f32 v2, v3, s2, -v1
	v_rndne_f32_e32 v17, v1
	v_fmac_f32_e32 v2, 0x32a5705f, v3
	v_sub_f32_e32 v1, v1, v17
	v_add_f32_e32 v1, v1, v2
	v_exp_f32_e32 v1, v1
	v_cvt_i32_f32_e32 v2, v17
	v_cmp_ngt_f32_e32 vcc, s4, v3
	v_sub_f32_e32 v5, v5, v25
	v_sub_f32_e32 v6, v6, v25
	v_ldexp_f32 v1, v1, v2
	v_cndmask_b32_e32 v1, 0, v1, vcc
	v_cmp_nlt_f32_e32 vcc, s3, v3
	;; [unrolled: 16-line block ×5, first 2 shown]
	v_cndmask_b32_e32 v1, v19, v1, vcc
	v_add_f32_e32 v0, v0, v1
	v_mul_f32_e32 v1, 0x3fb8aa3b, v7
	v_fma_f32 v2, v7, s2, -v1
	v_rndne_f32_e32 v3, v1
	v_fmac_f32_e32 v2, 0x32a5705f, v7
	v_sub_f32_e32 v1, v1, v3
	v_add_f32_e32 v1, v1, v2
	v_exp_f32_e32 v1, v1
	v_cvt_i32_f32_e32 v2, v3
	v_cmp_ngt_f32_e32 vcc, s4, v7
	v_ldexp_f32 v1, v1, v2
	v_mul_f32_e32 v2, 0x3fb8aa3b, v8
	v_fma_f32 v3, v8, s2, -v2
	v_rndne_f32_e32 v4, v2
	v_fmac_f32_e32 v3, 0x32a5705f, v8
	v_sub_f32_e32 v2, v2, v4
	v_add_f32_e32 v2, v2, v3
	v_exp_f32_e32 v2, v2
	v_cvt_i32_f32_e32 v3, v4
	v_cndmask_b32_e32 v1, 0, v1, vcc
	v_cmp_nlt_f32_e32 vcc, s3, v7
	v_cndmask_b32_e32 v1, v19, v1, vcc
	v_add_f32_e32 v0, v0, v1
	v_ldexp_f32 v1, v2, v3
	v_mul_f32_e32 v2, 0x3fb8aa3b, v9
	v_fma_f32 v3, v9, s2, -v2
	v_rndne_f32_e32 v4, v2
	v_fmac_f32_e32 v3, 0x32a5705f, v9
	v_sub_f32_e32 v2, v2, v4
	v_add_f32_e32 v2, v2, v3
	v_exp_f32_e32 v2, v2
	v_cvt_i32_f32_e32 v3, v4
	v_cmp_ngt_f32_e32 vcc, s4, v8
	v_cndmask_b32_e32 v1, 0, v1, vcc
	v_cmp_nlt_f32_e32 vcc, s3, v8
	v_cndmask_b32_e32 v1, v19, v1, vcc
	v_add_f32_e32 v0, v0, v1
	v_ldexp_f32 v1, v2, v3
	v_mul_f32_e32 v2, 0x3fb8aa3b, v10
	v_fma_f32 v3, v10, s2, -v2
	v_rndne_f32_e32 v4, v2
	v_fmac_f32_e32 v3, 0x32a5705f, v10
	v_sub_f32_e32 v2, v2, v4
	v_add_f32_e32 v2, v2, v3
	v_exp_f32_e32 v2, v2
	v_cvt_i32_f32_e32 v3, v4
	v_cmp_ngt_f32_e32 vcc, s4, v9
	;; [unrolled: 14-line block ×4, first 2 shown]
	v_cndmask_b32_e32 v1, 0, v1, vcc
	v_cmp_nlt_f32_e32 vcc, s3, v11
	v_cndmask_b32_e32 v1, v19, v1, vcc
	v_add_f32_e32 v0, v0, v1
	v_ldexp_f32 v1, v2, v3
	v_sub_f32_e32 v2, v13, v25
	v_mul_f32_e32 v3, 0x3fb8aa3b, v2
	v_fma_f32 v4, v2, s2, -v3
	v_rndne_f32_e32 v5, v3
	v_fmac_f32_e32 v4, 0x32a5705f, v2
	v_sub_f32_e32 v3, v3, v5
	v_add_f32_e32 v3, v3, v4
	v_exp_f32_e32 v3, v3
	v_cvt_i32_f32_e32 v4, v5
	v_cmp_ngt_f32_e32 vcc, s4, v12
	v_cndmask_b32_e32 v1, 0, v1, vcc
	v_cmp_nlt_f32_e32 vcc, s3, v12
	v_cndmask_b32_e32 v1, v19, v1, vcc
	v_add_f32_e32 v0, v0, v1
	v_ldexp_f32 v1, v3, v4
	v_sub_f32_e32 v3, v14, v25
	v_mul_f32_e32 v4, 0x3fb8aa3b, v3
	v_fma_f32 v5, v3, s2, -v4
	v_rndne_f32_e32 v6, v4
	v_fmac_f32_e32 v5, 0x32a5705f, v3
	v_sub_f32_e32 v4, v4, v6
	v_add_f32_e32 v4, v4, v5
	v_exp_f32_e32 v4, v4
	v_cvt_i32_f32_e32 v5, v6
	v_cmp_ngt_f32_e32 vcc, s4, v2
	v_cndmask_b32_e32 v1, 0, v1, vcc
	v_cmp_nlt_f32_e32 vcc, s3, v2
	v_cndmask_b32_e32 v1, v19, v1, vcc
	v_sub_f32_e32 v2, v15, v25
	v_add_f32_e32 v0, v0, v1
	v_ldexp_f32 v1, v4, v5
	v_mul_f32_e32 v4, 0x3fb8aa3b, v2
	v_fma_f32 v5, v2, s2, -v4
	v_rndne_f32_e32 v6, v4
	v_fmac_f32_e32 v5, 0x32a5705f, v2
	v_sub_f32_e32 v4, v4, v6
	v_add_f32_e32 v4, v4, v5
	v_exp_f32_e32 v4, v4
	v_cvt_i32_f32_e32 v5, v6
	v_cmp_ngt_f32_e32 vcc, s4, v3
	v_cndmask_b32_e32 v1, 0, v1, vcc
	v_cmp_nlt_f32_e32 vcc, s3, v3
	v_cndmask_b32_e32 v1, v19, v1, vcc
	v_add_f32_e32 v0, v0, v1
	v_ldexp_f32 v1, v4, v5
	v_cmp_ngt_f32_e32 vcc, s4, v2
	v_cndmask_b32_e32 v1, 0, v1, vcc
	v_cmp_nlt_f32_e32 vcc, s3, v2
	v_cndmask_b32_e32 v1, v19, v1, vcc
	v_add_f32_e32 v0, v0, v1
	v_cmp_eq_u32_e32 vcc, 0, v24
	s_nop 0
	v_mov_b32_dpp v1, v0 quad_perm:[1,0,3,2] row_mask:0xf bank_mask:0xf
	v_add_f32_e32 v0, v0, v1
	s_nop 1
	v_mov_b32_dpp v1, v0 quad_perm:[2,3,0,1] row_mask:0xf bank_mask:0xf
	v_add_f32_e32 v0, v0, v1
	s_nop 1
	v_mov_b32_dpp v1, v0 row_half_mirror row_mask:0xf bank_mask:0xf
	s_and_b64 exec, exec, vcc
	s_cbranch_execz .LBB287_29
; %bb.17:
	v_add_f32_e32 v0, v0, v1
	v_add_f32_e32 v0, v26, v0
	v_cmp_neq_f32_e32 vcc, 0, v0
	s_and_b64 exec, exec, vcc
	s_cbranch_execz .LBB287_29
; %bb.18:
	s_andn2_b64 vcc, exec, s[44:45]
	s_cbranch_vccnz .LBB287_29
; %bb.19:
	v_div_scale_f32 v1, s[0:1], v0, v0, 1.0
	v_rcp_f32_e32 v2, v1
	v_div_scale_f32 v3, vcc, 1.0, v0, 1.0
	s_cmp_gt_u32 s36, 3
	v_fma_f32 v4, -v1, v2, 1.0
	v_fmac_f32_e32 v2, v4, v2
	v_mul_f32_e32 v4, v3, v2
	v_fma_f32 v5, -v1, v4, v3
	v_fmac_f32_e32 v4, v5, v2
	v_fma_f32 v1, -v1, v4, v3
	v_div_fmas_f32 v1, v1, v2, v4
	v_div_fixup_f32 v0, v1, v0, 1.0
	v_ashrrev_i32_e32 v17, 31, v16
	s_cbranch_scc0 .LBB287_23
; %bb.20:
	v_lshlrev_b64 v[2:3], 2, v[16:17]
	v_mov_b32_e32 v4, s35
	v_add_co_u32_e32 v2, vcc, s34, v2
	v_addc_co_u32_e32 v3, vcc, v3, v4, vcc
	s_and_b32 s4, s36, 0x7ffffffc
	v_add_co_u32_e32 v2, vcc, 8, v2
	v_mov_b32_e32 v1, v0
	v_addc_co_u32_e32 v3, vcc, 0, v3, vcc
	s_mov_b32 s0, s4
.LBB287_21:                             ; =>This Inner Loop Header: Depth=1
	global_load_dwordx4 v[4:7], v[2:3], off offset:-8
	s_add_i32 s0, s0, -4
	s_cmp_lg_u32 s0, 0
	s_waitcnt vmcnt(0)
	v_pk_mul_f32 v[4:5], v[0:1], v[4:5]
	v_pk_mul_f32 v[6:7], v[0:1], v[6:7]
	global_store_dwordx4 v[2:3], v[4:7], off offset:-8
	v_add_co_u32_e32 v2, vcc, 16, v2
	v_addc_co_u32_e32 v3, vcc, 0, v3, vcc
	s_cbranch_scc1 .LBB287_21
; %bb.22:
	s_cmp_lg_u32 s4, s36
	s_mov_b64 s[2:3], 0
	s_cselect_b64 s[0:1], -1, 0
	s_branch .LBB287_24
.LBB287_23:
	s_mov_b64 s[2:3], -1
	s_mov_b64 s[0:1], 0
                                        ; implicit-def: $sgpr4
.LBB287_24:
	s_and_b64 vcc, exec, s[2:3]
	s_cbranch_vccz .LBB287_26
; %bb.25:
	s_mov_b64 s[0:1], -1
	s_mov_b32 s4, 0
.LBB287_26:
	s_andn2_b64 vcc, exec, s[0:1]
	s_cbranch_vccnz .LBB287_29
; %bb.27:
	v_add_co_u32_e32 v2, vcc, s4, v16
	v_addc_co_u32_e32 v3, vcc, 0, v17, vcc
	v_lshlrev_b64 v[2:3], 2, v[2:3]
	v_mov_b32_e32 v1, s35
	v_add_co_u32_e32 v2, vcc, s34, v2
	s_sub_i32 s0, s36, s4
	v_addc_co_u32_e32 v3, vcc, v1, v3, vcc
.LBB287_28:                             ; =>This Inner Loop Header: Depth=1
	global_load_dword v1, v[2:3], off
	s_add_i32 s0, s0, -1
	s_cmp_lg_u32 s0, 0
	s_waitcnt vmcnt(0)
	v_mul_f32_e32 v1, v0, v1
	global_store_dword v[2:3], v1, off
	v_add_co_u32_e32 v2, vcc, 4, v2
	v_addc_co_u32_e32 v3, vcc, 0, v3, vcc
	s_cbranch_scc1 .LBB287_28
.LBB287_29:
	s_endpgm
	.section	.rodata,"a",@progbits
	.p2align	6, 0x0
	.amdhsa_kernel _ZN4vllm3moe17topkGatingSoftmaxItLi16ELi128ELi8ELi32ELb0ELi8ELNS0_23SharedExpertScoringFuncE1EEEvPKT_PKbPfiPiS9_iiiiii
		.amdhsa_group_segment_fixed_size 0
		.amdhsa_private_segment_fixed_size 0
		.amdhsa_kernarg_size 72
		.amdhsa_user_sgpr_count 6
		.amdhsa_user_sgpr_private_segment_buffer 1
		.amdhsa_user_sgpr_dispatch_ptr 0
		.amdhsa_user_sgpr_queue_ptr 0
		.amdhsa_user_sgpr_kernarg_segment_ptr 1
		.amdhsa_user_sgpr_dispatch_id 0
		.amdhsa_user_sgpr_flat_scratch_init 0
		.amdhsa_user_sgpr_kernarg_preload_length 0
		.amdhsa_user_sgpr_kernarg_preload_offset 0
		.amdhsa_user_sgpr_private_segment_size 0
		.amdhsa_uses_dynamic_stack 0
		.amdhsa_system_sgpr_private_segment_wavefront_offset 0
		.amdhsa_system_sgpr_workgroup_id_x 1
		.amdhsa_system_sgpr_workgroup_id_y 0
		.amdhsa_system_sgpr_workgroup_id_z 0
		.amdhsa_system_sgpr_workgroup_info 0
		.amdhsa_system_vgpr_workitem_id 1
		.amdhsa_next_free_vgpr 50
		.amdhsa_next_free_sgpr 53
		.amdhsa_accum_offset 52
		.amdhsa_reserve_vcc 1
		.amdhsa_reserve_flat_scratch 0
		.amdhsa_float_round_mode_32 0
		.amdhsa_float_round_mode_16_64 0
		.amdhsa_float_denorm_mode_32 3
		.amdhsa_float_denorm_mode_16_64 3
		.amdhsa_dx10_clamp 1
		.amdhsa_ieee_mode 1
		.amdhsa_fp16_overflow 0
		.amdhsa_tg_split 0
		.amdhsa_exception_fp_ieee_invalid_op 0
		.amdhsa_exception_fp_denorm_src 0
		.amdhsa_exception_fp_ieee_div_zero 0
		.amdhsa_exception_fp_ieee_overflow 0
		.amdhsa_exception_fp_ieee_underflow 0
		.amdhsa_exception_fp_ieee_inexact 0
		.amdhsa_exception_int_div_zero 0
	.end_amdhsa_kernel
	.section	.text._ZN4vllm3moe17topkGatingSoftmaxItLi16ELi128ELi8ELi32ELb0ELi8ELNS0_23SharedExpertScoringFuncE1EEEvPKT_PKbPfiPiS9_iiiiii,"axG",@progbits,_ZN4vllm3moe17topkGatingSoftmaxItLi16ELi128ELi8ELi32ELb0ELi8ELNS0_23SharedExpertScoringFuncE1EEEvPKT_PKbPfiPiS9_iiiiii,comdat
.Lfunc_end287:
	.size	_ZN4vllm3moe17topkGatingSoftmaxItLi16ELi128ELi8ELi32ELb0ELi8ELNS0_23SharedExpertScoringFuncE1EEEvPKT_PKbPfiPiS9_iiiiii, .Lfunc_end287-_ZN4vllm3moe17topkGatingSoftmaxItLi16ELi128ELi8ELi32ELb0ELi8ELNS0_23SharedExpertScoringFuncE1EEEvPKT_PKbPfiPiS9_iiiiii
                                        ; -- End function
	.section	.AMDGPU.csdata,"",@progbits
; Kernel info:
; codeLenInByte = 4684
; NumSgprs: 57
; NumVgprs: 50
; NumAgprs: 0
; TotalNumVgprs: 50
; ScratchSize: 0
; MemoryBound: 0
; FloatMode: 240
; IeeeMode: 1
; LDSByteSize: 0 bytes/workgroup (compile time only)
; SGPRBlocks: 7
; VGPRBlocks: 6
; NumSGPRsForWavesPerEU: 57
; NumVGPRsForWavesPerEU: 50
; AccumOffset: 52
; Occupancy: 8
; WaveLimiterHint : 0
; COMPUTE_PGM_RSRC2:SCRATCH_EN: 0
; COMPUTE_PGM_RSRC2:USER_SGPR: 6
; COMPUTE_PGM_RSRC2:TRAP_HANDLER: 0
; COMPUTE_PGM_RSRC2:TGID_X_EN: 1
; COMPUTE_PGM_RSRC2:TGID_Y_EN: 0
; COMPUTE_PGM_RSRC2:TGID_Z_EN: 0
; COMPUTE_PGM_RSRC2:TIDIG_COMP_CNT: 1
; COMPUTE_PGM_RSRC3_GFX90A:ACCUM_OFFSET: 12
; COMPUTE_PGM_RSRC3_GFX90A:TG_SPLIT: 0
	.section	.text._ZN4vllm3moe17topkGatingSoftmaxItLi16ELi256ELi8ELi32ELb1ELi0ELNS0_23SharedExpertScoringFuncE0EEEvPKT_PKbPfiPiS9_iiiiii,"axG",@progbits,_ZN4vllm3moe17topkGatingSoftmaxItLi16ELi256ELi8ELi32ELb1ELi0ELNS0_23SharedExpertScoringFuncE0EEEvPKT_PKbPfiPiS9_iiiiii,comdat
	.protected	_ZN4vllm3moe17topkGatingSoftmaxItLi16ELi256ELi8ELi32ELb1ELi0ELNS0_23SharedExpertScoringFuncE0EEEvPKT_PKbPfiPiS9_iiiiii ; -- Begin function _ZN4vllm3moe17topkGatingSoftmaxItLi16ELi256ELi8ELi32ELb1ELi0ELNS0_23SharedExpertScoringFuncE0EEEvPKT_PKbPfiPiS9_iiiiii
	.globl	_ZN4vllm3moe17topkGatingSoftmaxItLi16ELi256ELi8ELi32ELb1ELi0ELNS0_23SharedExpertScoringFuncE0EEEvPKT_PKbPfiPiS9_iiiiii
	.p2align	8
	.type	_ZN4vllm3moe17topkGatingSoftmaxItLi16ELi256ELi8ELi32ELb1ELi0ELNS0_23SharedExpertScoringFuncE0EEEvPKT_PKbPfiPiS9_iiiiii,@function
_ZN4vllm3moe17topkGatingSoftmaxItLi16ELi256ELi8ELi32ELb1ELi0ELNS0_23SharedExpertScoringFuncE0EEEvPKT_PKbPfiPiS9_iiiiii: ; @_ZN4vllm3moe17topkGatingSoftmaxItLi16ELi256ELi8ELi32ELb1ELi0ELNS0_23SharedExpertScoringFuncE0EEEvPKT_PKbPfiPiS9_iiiiii
; %bb.0:
	s_load_dword s33, s[4:5], 0x18
	v_bfe_u32 v1, v0, 10, 10
	v_and_b32_e32 v0, 0x3ff, v0
	s_lshl_b32 s50, s6, 5
	v_lshlrev_b32_e32 v42, 2, v1
	v_lshrrev_b32_e32 v43, 4, v0
	v_add3_u32 v22, s50, v42, v43
	s_waitcnt lgkmcnt(0)
	v_cmp_gt_i32_e32 vcc, s33, v22
	s_and_saveexec_b64 s[0:1], vcc
	s_cbranch_execz .LBB288_27
; %bb.1:
	s_load_dwordx4 s[0:3], s[4:5], 0x0
	s_load_dwordx2 s[34:35], s[4:5], 0x10
	s_waitcnt lgkmcnt(0)
	s_cmp_eq_u64 s[2:3], 0
	s_cbranch_scc1 .LBB288_3
; %bb.2:
	v_ashrrev_i32_e32 v1, 31, v22
	v_mov_b32_e32 v3, s3
	v_add_co_u32_e32 v2, vcc, s2, v22
	v_addc_co_u32_e32 v3, vcc, v3, v1, vcc
	global_load_ubyte v1, v[2:3], off
	s_waitcnt vmcnt(0)
	v_and_b32_e32 v1, 1, v1
	v_cmp_eq_u32_e32 vcc, 1, v1
	s_xor_b64 s[2:3], vcc, -1
	s_orn2_b64 s[44:45], s[2:3], exec
	s_branch .LBB288_4
.LBB288_3:
	s_mov_b64 s[44:45], -1
.LBB288_4:
	s_load_dwordx2 s[8:9], s[4:5], 0x40
	s_load_dwordx4 s[36:39], s[4:5], 0x30
	v_mov_b32_e32 v1, s1
	v_and_b32_e32 v23, 15, v0
	v_lshlrev_b32_e32 v0, 5, v23
	s_waitcnt lgkmcnt(0)
	v_mul_lo_u32 v2, v22, s9
	v_ashrrev_i32_e32 v3, 31, v2
	v_lshlrev_b64 v[2:3], 1, v[2:3]
	v_add_co_u32_e32 v2, vcc, s0, v2
	v_addc_co_u32_e32 v1, vcc, v1, v3, vcc
	v_add_co_u32_e32 v8, vcc, v2, v0
	v_addc_co_u32_e32 v9, vcc, 0, v1, vcc
	global_load_dwordx4 v[4:7], v[8:9], off
	global_load_dwordx4 v[12:15], v[8:9], off offset:16
	v_lshlrev_b32_e32 v24, 4, v23
	v_or_b32_e32 v25, 1, v24
	v_or_b32_e32 v26, 2, v24
	;; [unrolled: 1-line block ×15, first 2 shown]
	v_mov_b32_e32 v40, 0
	s_waitcnt vmcnt(1)
	v_cvt_f32_u32_sdwa v1, v4 dst_sel:DWORD dst_unused:UNUSED_PAD src0_sel:WORD_1
	v_cvt_f32_u32_sdwa v0, v4 dst_sel:DWORD dst_unused:UNUSED_PAD src0_sel:WORD_0
	v_cvt_f32_u32_sdwa v2, v5 dst_sel:DWORD dst_unused:UNUSED_PAD src0_sel:WORD_0
	s_waitcnt vmcnt(0)
	v_cvt_f32_u32_sdwa v8, v12 dst_sel:DWORD dst_unused:UNUSED_PAD src0_sel:WORD_0
	v_cvt_f32_u32_sdwa v9, v12 dst_sel:DWORD dst_unused:UNUSED_PAD src0_sel:WORD_1
	v_cmp_lt_f32_e32 vcc, v0, v1
	v_cndmask_b32_e32 v4, v0, v1, vcc
	v_cndmask_b32_e32 v3, v24, v25, vcc
	v_cmp_lt_f32_e32 vcc, v4, v2
	v_cndmask_b32_e32 v10, v3, v26, vcc
	v_cvt_f32_u32_sdwa v3, v5 dst_sel:DWORD dst_unused:UNUSED_PAD src0_sel:WORD_1
	v_cndmask_b32_e32 v4, v4, v2, vcc
	v_cmp_lt_f32_e32 vcc, v4, v3
	v_cndmask_b32_e32 v5, v10, v27, vcc
	v_cndmask_b32_e32 v10, v4, v3, vcc
	v_cvt_f32_u32_sdwa v4, v6 dst_sel:DWORD dst_unused:UNUSED_PAD src0_sel:WORD_0
	v_cmp_lt_f32_e32 vcc, v10, v4
	v_cndmask_b32_e32 v11, v5, v28, vcc
	v_cvt_f32_u32_sdwa v5, v6 dst_sel:DWORD dst_unused:UNUSED_PAD src0_sel:WORD_1
	v_cvt_f32_u32_sdwa v6, v7 dst_sel:DWORD dst_unused:UNUSED_PAD src0_sel:WORD_0
	v_cndmask_b32_e32 v10, v10, v4, vcc
	v_cvt_f32_u32_sdwa v7, v7 dst_sel:DWORD dst_unused:UNUSED_PAD src0_sel:WORD_1
	v_cmp_lt_f32_e32 vcc, v10, v5
	v_cndmask_b32_e32 v10, v10, v5, vcc
	v_cndmask_b32_e32 v11, v11, v29, vcc
	v_cmp_lt_f32_e32 vcc, v10, v6
	v_cndmask_b32_e32 v10, v10, v6, vcc
	v_cndmask_b32_e32 v11, v11, v30, vcc
	;; [unrolled: 3-line block ×4, first 2 shown]
	v_cmp_lt_f32_e32 vcc, v10, v9
	v_cndmask_b32_e32 v12, v10, v9, vcc
	v_cvt_f32_u32_sdwa v10, v13 dst_sel:DWORD dst_unused:UNUSED_PAD src0_sel:WORD_0
	v_cndmask_b32_e32 v11, v11, v33, vcc
	v_cmp_lt_f32_e32 vcc, v12, v10
	v_cndmask_b32_e32 v16, v11, v34, vcc
	v_cvt_f32_u32_sdwa v11, v13 dst_sel:DWORD dst_unused:UNUSED_PAD src0_sel:WORD_1
	v_cndmask_b32_e32 v12, v12, v10, vcc
	v_cmp_lt_f32_e32 vcc, v12, v11
	v_cndmask_b32_e32 v13, v16, v35, vcc
	v_cndmask_b32_e32 v16, v12, v11, vcc
	v_cvt_f32_u32_sdwa v12, v14 dst_sel:DWORD dst_unused:UNUSED_PAD src0_sel:WORD_0
	v_cmp_lt_f32_e32 vcc, v16, v12
	v_cndmask_b32_e32 v17, v13, v36, vcc
	v_cvt_f32_u32_sdwa v13, v14 dst_sel:DWORD dst_unused:UNUSED_PAD src0_sel:WORD_1
	v_cvt_f32_u32_sdwa v14, v15 dst_sel:DWORD dst_unused:UNUSED_PAD src0_sel:WORD_0
	v_cndmask_b32_e32 v16, v16, v12, vcc
	v_cvt_f32_u32_sdwa v15, v15 dst_sel:DWORD dst_unused:UNUSED_PAD src0_sel:WORD_1
	v_cmp_lt_f32_e32 vcc, v16, v13
	v_cndmask_b32_e32 v16, v16, v13, vcc
	v_cndmask_b32_e32 v17, v17, v37, vcc
	v_cmp_lt_f32_e32 vcc, v16, v14
	v_cndmask_b32_e32 v16, v16, v14, vcc
	v_cndmask_b32_e32 v17, v17, v38, vcc
	;; [unrolled: 3-line block ×3, first 2 shown]
	s_nop 0
	v_mov_b32_dpp v18, v17 quad_perm:[1,0,3,2] row_mask:0xf bank_mask:0xf
	v_mov_b32_dpp v19, v16 quad_perm:[1,0,3,2] row_mask:0xf bank_mask:0xf
	v_cmp_lt_i32_e32 vcc, v18, v17
	v_cmp_eq_f32_e64 s[2:3], v16, v19
	v_cmp_lt_f32_e64 s[0:1], v16, v19
	s_and_b64 s[2:3], s[2:3], vcc
	s_or_b64 vcc, s[0:1], s[2:3]
	v_cndmask_b32_e32 v16, v16, v19, vcc
	v_cndmask_b32_e32 v17, v17, v18, vcc
	s_nop 0
	v_mov_b32_dpp v18, v16 quad_perm:[2,3,0,1] row_mask:0xf bank_mask:0xf
	v_mov_b32_dpp v19, v17 quad_perm:[2,3,0,1] row_mask:0xf bank_mask:0xf
	v_cmp_eq_f32_e64 s[0:1], v16, v18
	v_cmp_lt_i32_e64 s[2:3], v19, v17
	v_cmp_lt_f32_e32 vcc, v16, v18
	s_and_b64 s[0:1], s[0:1], s[2:3]
	s_or_b64 vcc, vcc, s[0:1]
	v_cndmask_b32_e32 v16, v16, v18, vcc
	v_cndmask_b32_e32 v17, v17, v19, vcc
	s_nop 0
	v_mov_b32_dpp v18, v16 row_half_mirror row_mask:0xf bank_mask:0xf
	v_mov_b32_dpp v19, v17 row_half_mirror row_mask:0xf bank_mask:0xf
	v_cmp_eq_f32_e64 s[0:1], v16, v18
	v_cmp_lt_i32_e64 s[2:3], v19, v17
	v_cmp_lt_f32_e32 vcc, v16, v18
	s_and_b64 s[0:1], s[0:1], s[2:3]
	s_or_b64 vcc, vcc, s[0:1]
	v_cndmask_b32_e32 v16, v16, v18, vcc
	v_cndmask_b32_e32 v17, v17, v19, vcc
	s_cmp_gt_i32 s36, 0
	v_cmp_eq_u32_e32 vcc, 0, v23
	s_cselect_b64 s[46:47], -1, 0
	s_cmp_lt_i32 s36, 1
	v_mov_b32_dpp v18, v17 row_mirror row_mask:0xf bank_mask:0xf
	v_mov_b32_dpp v19, v16 row_mirror row_mask:0xf bank_mask:0xf
	s_cbranch_scc1 .LBB288_16
; %bb.5:
	s_load_dwordx4 s[40:43], s[4:5], 0x20
	v_cmp_eq_f32_e64 s[2:3], v16, v19
	v_cmp_lt_i32_e64 s[6:7], v18, v17
	v_cmp_lt_f32_e64 s[0:1], v16, v19
	s_and_b64 s[2:3], s[2:3], s[6:7]
	s_or_b64 s[0:1], s[0:1], s[2:3]
	v_cndmask_b32_e64 v44, v17, v18, s[0:1]
	v_cndmask_b32_e64 v41, v16, v19, s[0:1]
	v_mul_lo_u32 v20, v22, s39
	v_mul_lo_u32 v18, v22, s8
	;; [unrolled: 1-line block ×3, first 2 shown]
	v_mov_b32_e32 v40, 0
	s_and_saveexec_b64 s[4:5], vcc
	s_cbranch_execz .LBB288_7
; %bb.6:
	v_sub_f32_e32 v17, v41, v41
	v_mul_f32_e32 v19, 0x3fb8aa3b, v17
	s_mov_b32 s0, 0x3fb8aa3b
	v_rndne_f32_e32 v21, v19
	v_sub_f32_e32 v40, v19, v21
	v_fma_f32 v19, v17, s0, -v19
	v_fmac_f32_e32 v19, 0x32a5705f, v17
	v_add_f32_e32 v19, v40, v19
	v_exp_f32_e32 v19, v19
	v_cvt_i32_f32_e32 v21, v21
	v_cmp_le_i32_e64 s[0:1], s37, v44
	v_cmp_gt_i32_e64 s[2:3], s38, v44
	s_and_b64 s[2:3], s[0:1], s[2:3]
	s_mov_b32 s0, 0xc2ce8ed0
	v_ldexp_f32 v19, v19, v21
	v_cmp_ngt_f32_e64 s[0:1], s0, v17
	v_cndmask_b32_e64 v19, 0, v19, s[0:1]
	s_mov_b32 s0, 0x42b17218
	v_mov_b32_e32 v21, 0x7f800000
	v_cmp_nlt_f32_e64 s[0:1], s0, v17
	v_cndmask_b32_e64 v40, v21, v19, s[0:1]
	v_ashrrev_i32_e32 v21, 31, v20
	v_lshlrev_b64 v[46:47], 2, v[20:21]
	v_mov_b32_e32 v17, s35
	v_add_co_u32_e64 v46, s[0:1], s34, v46
	v_addc_co_u32_e64 v47, s[0:1], v17, v47, s[0:1]
	v_subrev_u32_e32 v17, s37, v44
	v_mov_b32_e32 v19, 0x100
	s_and_b64 s[0:1], s[44:45], s[2:3]
	v_cndmask_b32_e64 v17, v19, v17, s[0:1]
	v_ashrrev_i32_e32 v19, 31, v18
	global_store_dword v[46:47], v40, off
	v_lshlrev_b64 v[46:47], 2, v[18:19]
	s_waitcnt lgkmcnt(0)
	v_mov_b32_e32 v19, s41
	v_add_co_u32_e64 v46, s[0:1], s40, v46
	v_addc_co_u32_e64 v47, s[0:1], v19, v47, s[0:1]
	global_store_dword v[46:47], v17, off
	v_ashrrev_i32_e32 v17, 31, v16
	v_lshlrev_b64 v[46:47], 2, v[16:17]
	v_mov_b32_e32 v17, s43
	v_add_co_u32_e64 v46, s[0:1], s42, v46
	v_addc_co_u32_e64 v47, s[0:1], v17, v47, s[0:1]
	global_store_dword v[46:47], v22, off
.LBB288_7:
	s_or_b64 exec, exec, s[4:5]
	v_ashrrev_i32_e32 v17, 31, v44
	v_lshrrev_b32_e32 v19, 28, v17
	v_add_u32_e32 v19, v44, v19
	v_ashrrev_i32_e32 v19, 4, v19
	v_lshrrev_b32_e32 v21, 28, v19
	v_add_u32_e32 v21, v19, v21
	v_and_b32_e32 v21, -16, v21
	v_sub_u32_e32 v21, v19, v21
	v_cmp_eq_u32_e64 s[0:1], v23, v21
	s_and_saveexec_b64 s[48:49], s[0:1]
	s_cbranch_execz .LBB288_9
; %bb.8:
	v_add_u32_sdwa v17, v44, v17 dst_sel:DWORD dst_unused:UNUSED_PAD src0_sel:DWORD src1_sel:BYTE_3
	v_lshlrev_b32_e32 v19, 4, v19
	v_sub_u32_e32 v19, v44, v19
	v_ashrrev_i32_e32 v17, 8, v17
	v_lshl_add_u32 v17, v17, 4, v19
	v_mov_b32_e32 v19, 0xff800000
	v_cmp_ne_u32_e64 s[0:1], 14, v17
	v_cmp_ne_u32_e64 s[2:3], 13, v17
	;; [unrolled: 1-line block ×16, first 2 shown]
	v_cndmask_b32_e64 v15, v19, v15, s[30:31]
	v_cndmask_b32_e64 v14, v19, v14, s[0:1]
	;; [unrolled: 1-line block ×16, first 2 shown]
.LBB288_9:
	s_or_b64 exec, exec, s[48:49]
	s_cmp_eq_u32 s36, 1
	s_cbranch_scc1 .LBB288_16
; %bb.10:
	s_add_i32 s50, s50, s33
	s_add_i32 s51, s36, -1
	v_add3_u32 v42, s50, v43, v42
	v_add_u32_e32 v16, 1, v16
	v_add_u32_e32 v18, 1, v18
	;; [unrolled: 1-line block ×3, first 2 shown]
	s_mov_b32 s50, 0x3fb8aa3b
	s_mov_b32 s52, 0xc2ce8ed0
	;; [unrolled: 1-line block ×3, first 2 shown]
	v_mov_b32_e32 v43, 0x7f800000
	v_mov_b32_e32 v44, 0x100
	;; [unrolled: 1-line block ×3, first 2 shown]
	s_branch .LBB288_12
.LBB288_11:                             ;   in Loop: Header=BB288_12 Depth=1
	s_or_b64 exec, exec, s[48:49]
	s_add_i32 s51, s51, -1
	v_add_u32_e32 v42, s33, v42
	v_add_u32_e32 v16, 1, v16
	;; [unrolled: 1-line block ×3, first 2 shown]
	s_cmp_eq_u32 s51, 0
	v_add_u32_e32 v20, 1, v20
	s_cbranch_scc1 .LBB288_16
.LBB288_12:                             ; =>This Inner Loop Header: Depth=1
	v_cmp_gt_f32_e64 s[0:1], v1, v0
	v_cndmask_b32_e64 v19, v0, v1, s[0:1]
	v_cndmask_b32_e64 v17, v24, v25, s[0:1]
	v_cmp_gt_f32_e64 s[0:1], v2, v19
	v_cndmask_b32_e64 v19, v19, v2, s[0:1]
	v_cndmask_b32_e64 v17, v17, v26, s[0:1]
	;; [unrolled: 3-line block ×15, first 2 shown]
	s_nop 0
	v_mov_b32_dpp v46, v17 quad_perm:[1,0,3,2] row_mask:0xf bank_mask:0xf
	v_mov_b32_dpp v21, v19 quad_perm:[1,0,3,2] row_mask:0xf bank_mask:0xf
	v_cmp_eq_f32_e64 s[2:3], v19, v21
	v_cmp_lt_i32_e64 s[4:5], v46, v17
	v_cmp_lt_f32_e64 s[0:1], v19, v21
	s_and_b64 s[2:3], s[2:3], s[4:5]
	s_or_b64 s[0:1], s[0:1], s[2:3]
	v_cndmask_b32_e64 v19, v19, v21, s[0:1]
	v_cndmask_b32_e64 v17, v17, v46, s[0:1]
	s_nop 0
	v_mov_b32_dpp v21, v19 quad_perm:[2,3,0,1] row_mask:0xf bank_mask:0xf
	v_mov_b32_dpp v46, v17 quad_perm:[2,3,0,1] row_mask:0xf bank_mask:0xf
	v_cmp_eq_f32_e64 s[2:3], v19, v21
	v_cmp_lt_i32_e64 s[4:5], v46, v17
	v_cmp_lt_f32_e64 s[0:1], v19, v21
	s_and_b64 s[2:3], s[2:3], s[4:5]
	s_or_b64 s[0:1], s[0:1], s[2:3]
	v_cndmask_b32_e64 v19, v19, v21, s[0:1]
	v_cndmask_b32_e64 v21, v17, v46, s[0:1]
	s_nop 0
	v_mov_b32_dpp v17, v19 row_half_mirror row_mask:0xf bank_mask:0xf
	v_mov_b32_dpp v46, v21 row_half_mirror row_mask:0xf bank_mask:0xf
	v_cmp_eq_f32_e64 s[2:3], v19, v17
	v_cmp_lt_i32_e64 s[4:5], v46, v21
	v_cmp_lt_f32_e64 s[0:1], v19, v17
	s_and_b64 s[2:3], s[2:3], s[4:5]
	s_or_b64 s[0:1], s[0:1], s[2:3]
	v_cndmask_b32_e64 v17, v19, v17, s[0:1]
	v_cndmask_b32_e64 v21, v21, v46, s[0:1]
	s_nop 0
	v_mov_b32_dpp v19, v17 row_mirror row_mask:0xf bank_mask:0xf
	v_mov_b32_dpp v46, v21 row_mirror row_mask:0xf bank_mask:0xf
	v_cmp_eq_f32_e64 s[2:3], v17, v19
	v_cmp_lt_i32_e64 s[4:5], v46, v21
	v_cmp_lt_f32_e64 s[0:1], v17, v19
	s_and_b64 s[2:3], s[2:3], s[4:5]
	s_or_b64 s[0:1], s[0:1], s[2:3]
	v_cndmask_b32_e64 v46, v21, v46, s[0:1]
	s_and_saveexec_b64 s[4:5], vcc
	s_cbranch_execz .LBB288_14
; %bb.13:                               ;   in Loop: Header=BB288_12 Depth=1
	v_cndmask_b32_e64 v17, v17, v19, s[0:1]
	v_sub_f32_e32 v17, v17, v41
	v_mul_f32_e32 v19, 0x3fb8aa3b, v17
	v_fma_f32 v21, v17, s50, -v19
	v_rndne_f32_e32 v47, v19
	v_fmac_f32_e32 v21, 0x32a5705f, v17
	v_sub_f32_e32 v19, v19, v47
	v_add_f32_e32 v19, v19, v21
	v_exp_f32_e32 v19, v19
	v_cvt_i32_f32_e32 v21, v47
	v_cmp_le_i32_e64 s[0:1], s37, v46
	v_cmp_gt_i32_e64 s[2:3], s38, v46
	s_and_b64 s[2:3], s[0:1], s[2:3]
	v_ldexp_f32 v19, v19, v21
	v_cmp_ngt_f32_e64 s[0:1], s52, v17
	v_ashrrev_i32_e32 v21, 31, v20
	v_cndmask_b32_e64 v19, 0, v19, s[0:1]
	v_cmp_nlt_f32_e64 s[0:1], s53, v17
	v_lshlrev_b64 v[48:49], 2, v[20:21]
	v_cndmask_b32_e64 v47, v43, v19, s[0:1]
	v_mov_b32_e32 v17, s35
	v_add_co_u32_e64 v48, s[0:1], s34, v48
	v_addc_co_u32_e64 v49, s[0:1], v17, v49, s[0:1]
	v_ashrrev_i32_e32 v19, 31, v18
	global_store_dword v[48:49], v47, off
	v_subrev_u32_e32 v17, s37, v46
	s_and_b64 s[0:1], s[44:45], s[2:3]
	v_lshlrev_b64 v[48:49], 2, v[18:19]
	v_cndmask_b32_e64 v17, v44, v17, s[0:1]
	s_waitcnt lgkmcnt(0)
	v_mov_b32_e32 v19, s41
	v_add_co_u32_e64 v48, s[0:1], s40, v48
	v_addc_co_u32_e64 v49, s[0:1], v19, v49, s[0:1]
	global_store_dword v[48:49], v17, off
	v_ashrrev_i32_e32 v17, 31, v16
	v_lshlrev_b64 v[48:49], 2, v[16:17]
	v_mov_b32_e32 v17, s43
	v_add_co_u32_e64 v48, s[0:1], s42, v48
	v_addc_co_u32_e64 v49, s[0:1], v17, v49, s[0:1]
	v_add_f32_e32 v40, v40, v47
	global_store_dword v[48:49], v42, off
.LBB288_14:                             ;   in Loop: Header=BB288_12 Depth=1
	s_or_b64 exec, exec, s[4:5]
	v_ashrrev_i32_e32 v17, 31, v46
	v_lshrrev_b32_e32 v19, 28, v17
	v_add_u32_e32 v19, v46, v19
	v_ashrrev_i32_e32 v19, 4, v19
	v_lshrrev_b32_e32 v21, 28, v19
	v_add_u32_e32 v21, v19, v21
	v_and_b32_e32 v21, -16, v21
	v_sub_u32_e32 v21, v19, v21
	v_cmp_eq_u32_e64 s[0:1], v23, v21
	s_and_saveexec_b64 s[48:49], s[0:1]
	s_cbranch_execz .LBB288_11
; %bb.15:                               ;   in Loop: Header=BB288_12 Depth=1
	v_add_u32_sdwa v17, v46, v17 dst_sel:DWORD dst_unused:UNUSED_PAD src0_sel:DWORD src1_sel:BYTE_3
	v_lshlrev_b32_e32 v19, 4, v19
	v_sub_u32_e32 v19, v46, v19
	v_ashrrev_i32_e32 v17, 8, v17
	v_lshl_add_u32 v17, v17, 4, v19
	v_cmp_ne_u32_e64 s[0:1], 14, v17
	v_cmp_ne_u32_e64 s[2:3], 13, v17
	v_cmp_ne_u32_e64 s[4:5], 12, v17
	v_cmp_ne_u32_e64 s[6:7], 11, v17
	v_cmp_ne_u32_e64 s[8:9], 10, v17
	v_cmp_ne_u32_e64 s[10:11], 9, v17
	v_cmp_ne_u32_e64 s[12:13], 8, v17
	v_cmp_ne_u32_e64 s[14:15], 7, v17
	v_cmp_ne_u32_e64 s[16:17], 6, v17
	v_cmp_ne_u32_e64 s[18:19], 5, v17
	v_cmp_ne_u32_e64 s[20:21], 4, v17
	v_cmp_ne_u32_e64 s[22:23], 3, v17
	v_cmp_ne_u32_e64 s[24:25], 2, v17
	v_cmp_ne_u32_e64 s[26:27], 1, v17
	v_cmp_ne_u32_e64 s[28:29], 0, v17
	v_cmp_ne_u32_e64 s[30:31], 15, v17
	v_cndmask_b32_e64 v15, v45, v15, s[30:31]
	v_cndmask_b32_e64 v14, v45, v14, s[0:1]
	v_cndmask_b32_e64 v13, v45, v13, s[2:3]
	v_cndmask_b32_e64 v12, v45, v12, s[4:5]
	v_cndmask_b32_e64 v11, v45, v11, s[6:7]
	v_cndmask_b32_e64 v10, v45, v10, s[8:9]
	v_cndmask_b32_e64 v9, v45, v9, s[10:11]
	v_cndmask_b32_e64 v8, v45, v8, s[12:13]
	v_cndmask_b32_e64 v7, v45, v7, s[14:15]
	v_cndmask_b32_e64 v6, v45, v6, s[16:17]
	v_cndmask_b32_e64 v5, v45, v5, s[18:19]
	v_cndmask_b32_e64 v4, v45, v4, s[20:21]
	v_cndmask_b32_e64 v3, v45, v3, s[22:23]
	v_cndmask_b32_e64 v2, v45, v2, s[24:25]
	v_cndmask_b32_e64 v1, v45, v1, s[26:27]
	v_cndmask_b32_e64 v0, v45, v0, s[28:29]
	s_branch .LBB288_11
.LBB288_16:
	v_cmp_eq_u32_e32 vcc, 0, v23
	v_cmp_neq_f32_e64 s[0:1], 0, v40
	s_and_b64 s[0:1], vcc, s[0:1]
	s_and_b64 exec, exec, s[0:1]
	s_cbranch_execz .LBB288_27
; %bb.17:
	s_andn2_b64 vcc, exec, s[46:47]
	s_cbranch_vccnz .LBB288_27
; %bb.18:
	v_div_scale_f32 v0, s[0:1], v40, v40, 1.0
	v_rcp_f32_e32 v1, v0
	v_div_scale_f32 v2, vcc, 1.0, v40, 1.0
	s_cmp_gt_u32 s36, 3
	v_fma_f32 v3, -v0, v1, 1.0
	v_fmac_f32_e32 v1, v3, v1
	v_mul_f32_e32 v3, v2, v1
	v_fma_f32 v4, -v0, v3, v2
	v_fmac_f32_e32 v3, v4, v1
	v_fma_f32 v0, -v0, v3, v2
	v_div_fmas_f32 v0, v0, v1, v3
	v_mul_lo_u32 v2, v22, s39
	v_div_fixup_f32 v0, v0, v40, 1.0
	v_ashrrev_i32_e32 v3, 31, v2
	s_cbranch_scc0 .LBB288_22
; %bb.19:
	v_lshlrev_b64 v[4:5], 2, v[2:3]
	v_mov_b32_e32 v6, s35
	v_add_co_u32_e32 v4, vcc, s34, v4
	v_addc_co_u32_e32 v5, vcc, v5, v6, vcc
	s_and_b32 s4, s36, 0x7ffffffc
	v_add_co_u32_e32 v4, vcc, 8, v4
	v_mov_b32_e32 v1, v0
	v_addc_co_u32_e32 v5, vcc, 0, v5, vcc
	s_mov_b32 s0, s4
.LBB288_20:                             ; =>This Inner Loop Header: Depth=1
	global_load_dwordx4 v[6:9], v[4:5], off offset:-8
	s_add_i32 s0, s0, -4
	s_cmp_lg_u32 s0, 0
	s_waitcnt vmcnt(0)
	v_pk_mul_f32 v[6:7], v[0:1], v[6:7]
	v_pk_mul_f32 v[8:9], v[0:1], v[8:9]
	global_store_dwordx4 v[4:5], v[6:9], off offset:-8
	v_add_co_u32_e32 v4, vcc, 16, v4
	v_addc_co_u32_e32 v5, vcc, 0, v5, vcc
	s_cbranch_scc1 .LBB288_20
; %bb.21:
	s_cmp_lg_u32 s4, s36
	s_cselect_b64 s[0:1], -1, 0
	s_branch .LBB288_24
.LBB288_22:
	s_mov_b64 s[0:1], 0
                                        ; implicit-def: $sgpr4
	s_cbranch_execz .LBB288_24
; %bb.23:
	s_mov_b64 s[0:1], -1
	s_mov_b32 s4, 0
.LBB288_24:
	s_andn2_b64 vcc, exec, s[0:1]
	s_cbranch_vccnz .LBB288_27
; %bb.25:
	v_add_co_u32_e32 v2, vcc, s4, v2
	v_addc_co_u32_e32 v3, vcc, 0, v3, vcc
	v_lshlrev_b64 v[2:3], 2, v[2:3]
	v_mov_b32_e32 v1, s35
	v_add_co_u32_e32 v2, vcc, s34, v2
	s_sub_i32 s0, s36, s4
	v_addc_co_u32_e32 v3, vcc, v1, v3, vcc
.LBB288_26:                             ; =>This Inner Loop Header: Depth=1
	global_load_dword v1, v[2:3], off
	s_add_i32 s0, s0, -1
	s_cmp_lg_u32 s0, 0
	s_waitcnt vmcnt(0)
	v_mul_f32_e32 v1, v0, v1
	global_store_dword v[2:3], v1, off
	v_add_co_u32_e32 v2, vcc, 4, v2
	v_addc_co_u32_e32 v3, vcc, 0, v3, vcc
	s_cbranch_scc1 .LBB288_26
.LBB288_27:
	s_endpgm
	.section	.rodata,"a",@progbits
	.p2align	6, 0x0
	.amdhsa_kernel _ZN4vllm3moe17topkGatingSoftmaxItLi16ELi256ELi8ELi32ELb1ELi0ELNS0_23SharedExpertScoringFuncE0EEEvPKT_PKbPfiPiS9_iiiiii
		.amdhsa_group_segment_fixed_size 0
		.amdhsa_private_segment_fixed_size 0
		.amdhsa_kernarg_size 72
		.amdhsa_user_sgpr_count 6
		.amdhsa_user_sgpr_private_segment_buffer 1
		.amdhsa_user_sgpr_dispatch_ptr 0
		.amdhsa_user_sgpr_queue_ptr 0
		.amdhsa_user_sgpr_kernarg_segment_ptr 1
		.amdhsa_user_sgpr_dispatch_id 0
		.amdhsa_user_sgpr_flat_scratch_init 0
		.amdhsa_user_sgpr_kernarg_preload_length 0
		.amdhsa_user_sgpr_kernarg_preload_offset 0
		.amdhsa_user_sgpr_private_segment_size 0
		.amdhsa_uses_dynamic_stack 0
		.amdhsa_system_sgpr_private_segment_wavefront_offset 0
		.amdhsa_system_sgpr_workgroup_id_x 1
		.amdhsa_system_sgpr_workgroup_id_y 0
		.amdhsa_system_sgpr_workgroup_id_z 0
		.amdhsa_system_sgpr_workgroup_info 0
		.amdhsa_system_vgpr_workitem_id 1
		.amdhsa_next_free_vgpr 50
		.amdhsa_next_free_sgpr 54
		.amdhsa_accum_offset 52
		.amdhsa_reserve_vcc 1
		.amdhsa_reserve_flat_scratch 0
		.amdhsa_float_round_mode_32 0
		.amdhsa_float_round_mode_16_64 0
		.amdhsa_float_denorm_mode_32 3
		.amdhsa_float_denorm_mode_16_64 3
		.amdhsa_dx10_clamp 1
		.amdhsa_ieee_mode 1
		.amdhsa_fp16_overflow 0
		.amdhsa_tg_split 0
		.amdhsa_exception_fp_ieee_invalid_op 0
		.amdhsa_exception_fp_denorm_src 0
		.amdhsa_exception_fp_ieee_div_zero 0
		.amdhsa_exception_fp_ieee_overflow 0
		.amdhsa_exception_fp_ieee_underflow 0
		.amdhsa_exception_fp_ieee_inexact 0
		.amdhsa_exception_int_div_zero 0
	.end_amdhsa_kernel
	.section	.text._ZN4vllm3moe17topkGatingSoftmaxItLi16ELi256ELi8ELi32ELb1ELi0ELNS0_23SharedExpertScoringFuncE0EEEvPKT_PKbPfiPiS9_iiiiii,"axG",@progbits,_ZN4vllm3moe17topkGatingSoftmaxItLi16ELi256ELi8ELi32ELb1ELi0ELNS0_23SharedExpertScoringFuncE0EEEvPKT_PKbPfiPiS9_iiiiii,comdat
.Lfunc_end288:
	.size	_ZN4vllm3moe17topkGatingSoftmaxItLi16ELi256ELi8ELi32ELb1ELi0ELNS0_23SharedExpertScoringFuncE0EEEvPKT_PKbPfiPiS9_iiiiii, .Lfunc_end288-_ZN4vllm3moe17topkGatingSoftmaxItLi16ELi256ELi8ELi32ELb1ELi0ELNS0_23SharedExpertScoringFuncE0EEEvPKT_PKbPfiPiS9_iiiiii
                                        ; -- End function
	.section	.AMDGPU.csdata,"",@progbits
; Kernel info:
; codeLenInByte = 3232
; NumSgprs: 58
; NumVgprs: 50
; NumAgprs: 0
; TotalNumVgprs: 50
; ScratchSize: 0
; MemoryBound: 0
; FloatMode: 240
; IeeeMode: 1
; LDSByteSize: 0 bytes/workgroup (compile time only)
; SGPRBlocks: 7
; VGPRBlocks: 6
; NumSGPRsForWavesPerEU: 58
; NumVGPRsForWavesPerEU: 50
; AccumOffset: 52
; Occupancy: 8
; WaveLimiterHint : 0
; COMPUTE_PGM_RSRC2:SCRATCH_EN: 0
; COMPUTE_PGM_RSRC2:USER_SGPR: 6
; COMPUTE_PGM_RSRC2:TRAP_HANDLER: 0
; COMPUTE_PGM_RSRC2:TGID_X_EN: 1
; COMPUTE_PGM_RSRC2:TGID_Y_EN: 0
; COMPUTE_PGM_RSRC2:TGID_Z_EN: 0
; COMPUTE_PGM_RSRC2:TIDIG_COMP_CNT: 1
; COMPUTE_PGM_RSRC3_GFX90A:ACCUM_OFFSET: 12
; COMPUTE_PGM_RSRC3_GFX90A:TG_SPLIT: 0
	.section	.text._ZN4vllm3moe17topkGatingSoftmaxItLi16ELi256ELi8ELi32ELb0ELi0ELNS0_23SharedExpertScoringFuncE0EEEvPKT_PKbPfiPiS9_iiiiii,"axG",@progbits,_ZN4vllm3moe17topkGatingSoftmaxItLi16ELi256ELi8ELi32ELb0ELi0ELNS0_23SharedExpertScoringFuncE0EEEvPKT_PKbPfiPiS9_iiiiii,comdat
	.protected	_ZN4vllm3moe17topkGatingSoftmaxItLi16ELi256ELi8ELi32ELb0ELi0ELNS0_23SharedExpertScoringFuncE0EEEvPKT_PKbPfiPiS9_iiiiii ; -- Begin function _ZN4vllm3moe17topkGatingSoftmaxItLi16ELi256ELi8ELi32ELb0ELi0ELNS0_23SharedExpertScoringFuncE0EEEvPKT_PKbPfiPiS9_iiiiii
	.globl	_ZN4vllm3moe17topkGatingSoftmaxItLi16ELi256ELi8ELi32ELb0ELi0ELNS0_23SharedExpertScoringFuncE0EEEvPKT_PKbPfiPiS9_iiiiii
	.p2align	8
	.type	_ZN4vllm3moe17topkGatingSoftmaxItLi16ELi256ELi8ELi32ELb0ELi0ELNS0_23SharedExpertScoringFuncE0EEEvPKT_PKbPfiPiS9_iiiiii,@function
_ZN4vllm3moe17topkGatingSoftmaxItLi16ELi256ELi8ELi32ELb0ELi0ELNS0_23SharedExpertScoringFuncE0EEEvPKT_PKbPfiPiS9_iiiiii: ; @_ZN4vllm3moe17topkGatingSoftmaxItLi16ELi256ELi8ELi32ELb0ELi0ELNS0_23SharedExpertScoringFuncE0EEEvPKT_PKbPfiPiS9_iiiiii
; %bb.0:
	s_load_dword s33, s[4:5], 0x18
	v_bfe_u32 v1, v0, 10, 10
	v_and_b32_e32 v0, 0x3ff, v0
	s_lshl_b32 s50, s6, 5
	v_lshlrev_b32_e32 v42, 2, v1
	v_lshrrev_b32_e32 v43, 4, v0
	v_add3_u32 v22, s50, v42, v43
	s_waitcnt lgkmcnt(0)
	v_cmp_gt_i32_e32 vcc, s33, v22
	s_and_saveexec_b64 s[0:1], vcc
	s_cbranch_execz .LBB289_29
; %bb.1:
	s_load_dwordx4 s[0:3], s[4:5], 0x0
	s_load_dwordx2 s[34:35], s[4:5], 0x10
	s_waitcnt lgkmcnt(0)
	s_cmp_eq_u64 s[2:3], 0
	s_cbranch_scc1 .LBB289_3
; %bb.2:
	v_ashrrev_i32_e32 v1, 31, v22
	v_mov_b32_e32 v3, s3
	v_add_co_u32_e32 v2, vcc, s2, v22
	v_addc_co_u32_e32 v3, vcc, v3, v1, vcc
	global_load_ubyte v1, v[2:3], off
	s_waitcnt vmcnt(0)
	v_and_b32_e32 v1, 1, v1
	v_cmp_eq_u32_e32 vcc, 1, v1
	s_xor_b64 s[2:3], vcc, -1
	s_orn2_b64 s[46:47], s[2:3], exec
	s_branch .LBB289_4
.LBB289_3:
	s_mov_b64 s[46:47], -1
.LBB289_4:
	s_load_dwordx2 s[6:7], s[4:5], 0x40
	s_load_dwordx4 s[36:39], s[4:5], 0x30
	v_mov_b32_e32 v1, s1
	v_and_b32_e32 v23, 15, v0
	v_lshlrev_b32_e32 v0, 5, v23
	s_waitcnt lgkmcnt(0)
	v_mul_lo_u32 v2, v22, s7
	v_ashrrev_i32_e32 v3, 31, v2
	v_lshlrev_b64 v[2:3], 1, v[2:3]
	v_add_co_u32_e32 v2, vcc, s0, v2
	v_addc_co_u32_e32 v1, vcc, v1, v3, vcc
	v_add_co_u32_e32 v8, vcc, v2, v0
	v_addc_co_u32_e32 v9, vcc, 0, v1, vcc
	global_load_dwordx4 v[4:7], v[8:9], off
	global_load_dwordx4 v[12:15], v[8:9], off offset:16
	v_lshlrev_b32_e32 v26, 4, v23
	v_or_b32_e32 v27, 1, v26
	v_or_b32_e32 v28, 2, v26
	v_or_b32_e32 v29, 3, v26
	v_or_b32_e32 v30, 4, v26
	v_or_b32_e32 v31, 5, v26
	v_or_b32_e32 v32, 6, v26
	v_or_b32_e32 v33, 7, v26
	v_or_b32_e32 v34, 8, v26
	v_or_b32_e32 v35, 9, v26
	v_or_b32_e32 v36, 10, v26
	v_or_b32_e32 v37, 11, v26
	v_or_b32_e32 v38, 12, v26
	v_or_b32_e32 v39, 13, v26
	v_or_b32_e32 v40, 14, v26
	v_or_b32_e32 v41, 15, v26
	v_mov_b32_e32 v25, 0
	s_waitcnt vmcnt(1)
	v_cvt_f32_u32_sdwa v1, v4 dst_sel:DWORD dst_unused:UNUSED_PAD src0_sel:WORD_1
	v_cvt_f32_u32_sdwa v0, v4 dst_sel:DWORD dst_unused:UNUSED_PAD src0_sel:WORD_0
	v_cvt_f32_u32_sdwa v2, v5 dst_sel:DWORD dst_unused:UNUSED_PAD src0_sel:WORD_0
	s_waitcnt vmcnt(0)
	v_cvt_f32_u32_sdwa v8, v12 dst_sel:DWORD dst_unused:UNUSED_PAD src0_sel:WORD_0
	v_cvt_f32_u32_sdwa v9, v12 dst_sel:DWORD dst_unused:UNUSED_PAD src0_sel:WORD_1
	v_cmp_lt_f32_e32 vcc, v0, v1
	v_cndmask_b32_e32 v4, v0, v1, vcc
	v_cndmask_b32_e32 v3, v26, v27, vcc
	v_cmp_lt_f32_e32 vcc, v4, v2
	v_cndmask_b32_e32 v10, v3, v28, vcc
	v_cvt_f32_u32_sdwa v3, v5 dst_sel:DWORD dst_unused:UNUSED_PAD src0_sel:WORD_1
	v_cndmask_b32_e32 v4, v4, v2, vcc
	v_cmp_lt_f32_e32 vcc, v4, v3
	v_cndmask_b32_e32 v5, v10, v29, vcc
	v_cndmask_b32_e32 v10, v4, v3, vcc
	v_cvt_f32_u32_sdwa v4, v6 dst_sel:DWORD dst_unused:UNUSED_PAD src0_sel:WORD_0
	v_cmp_lt_f32_e32 vcc, v10, v4
	v_cndmask_b32_e32 v11, v5, v30, vcc
	v_cvt_f32_u32_sdwa v5, v6 dst_sel:DWORD dst_unused:UNUSED_PAD src0_sel:WORD_1
	v_cvt_f32_u32_sdwa v6, v7 dst_sel:DWORD dst_unused:UNUSED_PAD src0_sel:WORD_0
	v_cndmask_b32_e32 v10, v10, v4, vcc
	v_cvt_f32_u32_sdwa v7, v7 dst_sel:DWORD dst_unused:UNUSED_PAD src0_sel:WORD_1
	v_cmp_lt_f32_e32 vcc, v10, v5
	v_cndmask_b32_e32 v10, v10, v5, vcc
	v_cndmask_b32_e32 v11, v11, v31, vcc
	v_cmp_lt_f32_e32 vcc, v10, v6
	v_cndmask_b32_e32 v10, v10, v6, vcc
	v_cndmask_b32_e32 v11, v11, v32, vcc
	;; [unrolled: 3-line block ×4, first 2 shown]
	v_cmp_lt_f32_e32 vcc, v10, v9
	v_cndmask_b32_e32 v12, v10, v9, vcc
	v_cvt_f32_u32_sdwa v10, v13 dst_sel:DWORD dst_unused:UNUSED_PAD src0_sel:WORD_0
	v_cndmask_b32_e32 v11, v11, v35, vcc
	v_cmp_lt_f32_e32 vcc, v12, v10
	v_cndmask_b32_e32 v16, v11, v36, vcc
	v_cvt_f32_u32_sdwa v11, v13 dst_sel:DWORD dst_unused:UNUSED_PAD src0_sel:WORD_1
	v_cndmask_b32_e32 v12, v12, v10, vcc
	v_cmp_lt_f32_e32 vcc, v12, v11
	v_cndmask_b32_e32 v13, v16, v37, vcc
	v_cndmask_b32_e32 v16, v12, v11, vcc
	v_cvt_f32_u32_sdwa v12, v14 dst_sel:DWORD dst_unused:UNUSED_PAD src0_sel:WORD_0
	v_cmp_lt_f32_e32 vcc, v16, v12
	v_cndmask_b32_e32 v17, v13, v38, vcc
	v_cvt_f32_u32_sdwa v13, v14 dst_sel:DWORD dst_unused:UNUSED_PAD src0_sel:WORD_1
	v_cvt_f32_u32_sdwa v14, v15 dst_sel:DWORD dst_unused:UNUSED_PAD src0_sel:WORD_0
	v_cndmask_b32_e32 v16, v16, v12, vcc
	v_cvt_f32_u32_sdwa v15, v15 dst_sel:DWORD dst_unused:UNUSED_PAD src0_sel:WORD_1
	v_cmp_lt_f32_e32 vcc, v16, v13
	v_cndmask_b32_e32 v16, v16, v13, vcc
	v_cndmask_b32_e32 v17, v17, v39, vcc
	v_cmp_lt_f32_e32 vcc, v16, v14
	v_cndmask_b32_e32 v16, v16, v14, vcc
	v_cndmask_b32_e32 v17, v17, v40, vcc
	;; [unrolled: 3-line block ×3, first 2 shown]
	s_nop 0
	v_mov_b32_dpp v18, v17 quad_perm:[1,0,3,2] row_mask:0xf bank_mask:0xf
	v_mov_b32_dpp v19, v16 quad_perm:[1,0,3,2] row_mask:0xf bank_mask:0xf
	v_cmp_lt_i32_e32 vcc, v18, v17
	v_cmp_eq_f32_e64 s[2:3], v16, v19
	v_cmp_lt_f32_e64 s[0:1], v16, v19
	s_and_b64 s[2:3], s[2:3], vcc
	s_or_b64 vcc, s[0:1], s[2:3]
	v_cndmask_b32_e32 v16, v16, v19, vcc
	v_cndmask_b32_e32 v17, v17, v18, vcc
	s_nop 0
	v_mov_b32_dpp v18, v16 quad_perm:[2,3,0,1] row_mask:0xf bank_mask:0xf
	v_mov_b32_dpp v19, v17 quad_perm:[2,3,0,1] row_mask:0xf bank_mask:0xf
	v_cmp_eq_f32_e64 s[0:1], v16, v18
	v_cmp_lt_i32_e64 s[2:3], v19, v17
	v_cmp_lt_f32_e32 vcc, v16, v18
	s_and_b64 s[0:1], s[0:1], s[2:3]
	s_or_b64 vcc, vcc, s[0:1]
	v_cndmask_b32_e32 v16, v16, v18, vcc
	v_cndmask_b32_e32 v17, v17, v19, vcc
	s_nop 0
	v_mov_b32_dpp v18, v16 row_half_mirror row_mask:0xf bank_mask:0xf
	v_mov_b32_dpp v19, v17 row_half_mirror row_mask:0xf bank_mask:0xf
	v_cmp_eq_f32_e64 s[0:1], v16, v18
	v_cmp_lt_i32_e64 s[2:3], v19, v17
	v_cmp_lt_f32_e32 vcc, v16, v18
	s_and_b64 s[0:1], s[0:1], s[2:3]
	s_or_b64 vcc, vcc, s[0:1]
	v_cndmask_b32_e32 v18, v16, v18, vcc
	v_cndmask_b32_e32 v16, v17, v19, vcc
	s_nop 0
	v_mov_b32_dpp v19, v18 row_mirror row_mask:0xf bank_mask:0xf
	v_mov_b32_dpp v17, v16 row_mirror row_mask:0xf bank_mask:0xf
	v_cmp_eq_f32_e64 s[0:1], v18, v19
	v_cmp_lt_i32_e64 s[2:3], v17, v16
	v_cmp_lt_f32_e32 vcc, v18, v19
	s_and_b64 s[0:1], s[0:1], s[2:3]
	s_or_b64 s[0:1], vcc, s[0:1]
	s_cmp_gt_i32 s36, 0
	v_cndmask_b32_e64 v24, v18, v19, s[0:1]
	s_cselect_b64 s[44:45], -1, 0
	s_cmp_lt_i32 s36, 1
	v_cmp_eq_u32_e32 vcc, 0, v23
	s_cbranch_scc1 .LBB289_16
; %bb.5:
	s_load_dwordx4 s[40:43], s[4:5], 0x20
	v_cndmask_b32_e64 v44, v16, v17, s[0:1]
	v_mul_lo_u32 v20, v22, s39
	v_mul_lo_u32 v18, v22, s6
	;; [unrolled: 1-line block ×3, first 2 shown]
	v_mov_b32_e32 v25, 0
	s_and_saveexec_b64 s[4:5], vcc
	s_cbranch_execz .LBB289_7
; %bb.6:
	v_sub_f32_e32 v17, v24, v24
	v_mul_f32_e32 v19, 0x3fb8aa3b, v17
	s_mov_b32 s0, 0x3fb8aa3b
	v_rndne_f32_e32 v21, v19
	v_sub_f32_e32 v25, v19, v21
	v_fma_f32 v19, v17, s0, -v19
	v_fmac_f32_e32 v19, 0x32a5705f, v17
	v_add_f32_e32 v19, v25, v19
	v_exp_f32_e32 v19, v19
	v_cvt_i32_f32_e32 v21, v21
	v_cmp_le_i32_e64 s[0:1], s37, v44
	v_cmp_gt_i32_e64 s[2:3], s38, v44
	s_and_b64 s[2:3], s[0:1], s[2:3]
	s_mov_b32 s0, 0xc2ce8ed0
	v_ldexp_f32 v19, v19, v21
	v_cmp_ngt_f32_e64 s[0:1], s0, v17
	v_cndmask_b32_e64 v19, 0, v19, s[0:1]
	s_mov_b32 s0, 0x42b17218
	v_mov_b32_e32 v21, 0x7f800000
	v_cmp_nlt_f32_e64 s[0:1], s0, v17
	v_cndmask_b32_e64 v25, v21, v19, s[0:1]
	v_ashrrev_i32_e32 v21, 31, v20
	v_lshlrev_b64 v[46:47], 2, v[20:21]
	v_mov_b32_e32 v17, s35
	v_add_co_u32_e64 v46, s[0:1], s34, v46
	v_addc_co_u32_e64 v47, s[0:1], v17, v47, s[0:1]
	v_subrev_u32_e32 v17, s37, v44
	v_mov_b32_e32 v19, 0x100
	s_and_b64 s[0:1], s[46:47], s[2:3]
	v_cndmask_b32_e64 v17, v19, v17, s[0:1]
	v_ashrrev_i32_e32 v19, 31, v18
	global_store_dword v[46:47], v25, off
	v_lshlrev_b64 v[46:47], 2, v[18:19]
	s_waitcnt lgkmcnt(0)
	v_mov_b32_e32 v19, s41
	v_add_co_u32_e64 v46, s[0:1], s40, v46
	v_addc_co_u32_e64 v47, s[0:1], v19, v47, s[0:1]
	global_store_dword v[46:47], v17, off
	v_ashrrev_i32_e32 v17, 31, v16
	v_lshlrev_b64 v[46:47], 2, v[16:17]
	v_mov_b32_e32 v17, s43
	v_add_co_u32_e64 v46, s[0:1], s42, v46
	v_addc_co_u32_e64 v47, s[0:1], v17, v47, s[0:1]
	global_store_dword v[46:47], v22, off
.LBB289_7:
	s_or_b64 exec, exec, s[4:5]
	v_ashrrev_i32_e32 v17, 31, v44
	v_lshrrev_b32_e32 v19, 28, v17
	v_add_u32_e32 v19, v44, v19
	v_ashrrev_i32_e32 v19, 4, v19
	v_lshrrev_b32_e32 v21, 28, v19
	v_add_u32_e32 v21, v19, v21
	v_and_b32_e32 v21, -16, v21
	v_sub_u32_e32 v21, v19, v21
	v_cmp_eq_u32_e64 s[0:1], v23, v21
	s_and_saveexec_b64 s[48:49], s[0:1]
	s_cbranch_execz .LBB289_9
; %bb.8:
	v_add_u32_sdwa v17, v44, v17 dst_sel:DWORD dst_unused:UNUSED_PAD src0_sel:DWORD src1_sel:BYTE_3
	v_lshlrev_b32_e32 v19, 4, v19
	v_sub_u32_e32 v19, v44, v19
	v_ashrrev_i32_e32 v17, 8, v17
	v_lshl_add_u32 v17, v17, 4, v19
	v_mov_b32_e32 v19, 0xff800000
	v_cmp_ne_u32_e64 s[0:1], 14, v17
	v_cmp_ne_u32_e64 s[2:3], 13, v17
	v_cmp_ne_u32_e64 s[4:5], 12, v17
	v_cmp_ne_u32_e64 s[6:7], 11, v17
	v_cmp_ne_u32_e64 s[8:9], 10, v17
	v_cmp_ne_u32_e64 s[10:11], 9, v17
	v_cmp_ne_u32_e64 s[12:13], 8, v17
	v_cmp_ne_u32_e64 s[14:15], 7, v17
	v_cmp_ne_u32_e64 s[16:17], 6, v17
	v_cmp_ne_u32_e64 s[18:19], 5, v17
	v_cmp_ne_u32_e64 s[20:21], 4, v17
	v_cmp_ne_u32_e64 s[22:23], 3, v17
	v_cmp_ne_u32_e64 s[24:25], 2, v17
	v_cmp_ne_u32_e64 s[26:27], 1, v17
	v_cmp_ne_u32_e64 s[28:29], 0, v17
	v_cmp_ne_u32_e64 s[30:31], 15, v17
	v_cndmask_b32_e64 v15, v19, v15, s[30:31]
	v_cndmask_b32_e64 v14, v19, v14, s[0:1]
	;; [unrolled: 1-line block ×16, first 2 shown]
.LBB289_9:
	s_or_b64 exec, exec, s[48:49]
	s_cmp_eq_u32 s36, 1
	s_cbranch_scc1 .LBB289_16
; %bb.10:
	s_add_i32 s50, s50, s33
	s_add_i32 s51, s36, -1
	v_add3_u32 v42, s50, v43, v42
	v_add_u32_e32 v16, 1, v16
	v_add_u32_e32 v18, 1, v18
	;; [unrolled: 1-line block ×3, first 2 shown]
	s_mov_b32 s50, 0x3fb8aa3b
	s_mov_b32 s52, 0xc2ce8ed0
	;; [unrolled: 1-line block ×3, first 2 shown]
	v_mov_b32_e32 v43, 0x7f800000
	v_mov_b32_e32 v44, 0x100
	;; [unrolled: 1-line block ×3, first 2 shown]
	s_branch .LBB289_12
.LBB289_11:                             ;   in Loop: Header=BB289_12 Depth=1
	s_or_b64 exec, exec, s[48:49]
	s_add_i32 s51, s51, -1
	v_add_u32_e32 v42, s33, v42
	v_add_u32_e32 v16, 1, v16
	;; [unrolled: 1-line block ×3, first 2 shown]
	s_cmp_eq_u32 s51, 0
	v_add_u32_e32 v20, 1, v20
	s_cbranch_scc1 .LBB289_16
.LBB289_12:                             ; =>This Inner Loop Header: Depth=1
	v_cmp_gt_f32_e64 s[0:1], v1, v0
	v_cndmask_b32_e64 v19, v0, v1, s[0:1]
	v_cndmask_b32_e64 v17, v26, v27, s[0:1]
	v_cmp_gt_f32_e64 s[0:1], v2, v19
	v_cndmask_b32_e64 v19, v19, v2, s[0:1]
	v_cndmask_b32_e64 v17, v17, v28, s[0:1]
	;; [unrolled: 3-line block ×15, first 2 shown]
	s_nop 0
	v_mov_b32_dpp v46, v17 quad_perm:[1,0,3,2] row_mask:0xf bank_mask:0xf
	v_mov_b32_dpp v21, v19 quad_perm:[1,0,3,2] row_mask:0xf bank_mask:0xf
	v_cmp_eq_f32_e64 s[2:3], v19, v21
	v_cmp_lt_i32_e64 s[4:5], v46, v17
	v_cmp_lt_f32_e64 s[0:1], v19, v21
	s_and_b64 s[2:3], s[2:3], s[4:5]
	s_or_b64 s[0:1], s[0:1], s[2:3]
	v_cndmask_b32_e64 v19, v19, v21, s[0:1]
	v_cndmask_b32_e64 v17, v17, v46, s[0:1]
	s_nop 0
	v_mov_b32_dpp v21, v19 quad_perm:[2,3,0,1] row_mask:0xf bank_mask:0xf
	v_mov_b32_dpp v46, v17 quad_perm:[2,3,0,1] row_mask:0xf bank_mask:0xf
	v_cmp_eq_f32_e64 s[2:3], v19, v21
	v_cmp_lt_i32_e64 s[4:5], v46, v17
	v_cmp_lt_f32_e64 s[0:1], v19, v21
	s_and_b64 s[2:3], s[2:3], s[4:5]
	s_or_b64 s[0:1], s[0:1], s[2:3]
	v_cndmask_b32_e64 v19, v19, v21, s[0:1]
	v_cndmask_b32_e64 v21, v17, v46, s[0:1]
	s_nop 0
	v_mov_b32_dpp v17, v19 row_half_mirror row_mask:0xf bank_mask:0xf
	v_mov_b32_dpp v46, v21 row_half_mirror row_mask:0xf bank_mask:0xf
	v_cmp_eq_f32_e64 s[2:3], v19, v17
	v_cmp_lt_i32_e64 s[4:5], v46, v21
	v_cmp_lt_f32_e64 s[0:1], v19, v17
	s_and_b64 s[2:3], s[2:3], s[4:5]
	s_or_b64 s[0:1], s[0:1], s[2:3]
	v_cndmask_b32_e64 v17, v19, v17, s[0:1]
	v_cndmask_b32_e64 v21, v21, v46, s[0:1]
	s_nop 0
	v_mov_b32_dpp v19, v17 row_mirror row_mask:0xf bank_mask:0xf
	v_mov_b32_dpp v46, v21 row_mirror row_mask:0xf bank_mask:0xf
	v_cmp_eq_f32_e64 s[2:3], v17, v19
	v_cmp_lt_i32_e64 s[4:5], v46, v21
	v_cmp_lt_f32_e64 s[0:1], v17, v19
	s_and_b64 s[2:3], s[2:3], s[4:5]
	s_or_b64 s[0:1], s[0:1], s[2:3]
	v_cndmask_b32_e64 v46, v21, v46, s[0:1]
	s_and_saveexec_b64 s[4:5], vcc
	s_cbranch_execz .LBB289_14
; %bb.13:                               ;   in Loop: Header=BB289_12 Depth=1
	v_cndmask_b32_e64 v17, v17, v19, s[0:1]
	v_sub_f32_e32 v17, v17, v24
	v_mul_f32_e32 v19, 0x3fb8aa3b, v17
	v_fma_f32 v21, v17, s50, -v19
	v_rndne_f32_e32 v47, v19
	v_fmac_f32_e32 v21, 0x32a5705f, v17
	v_sub_f32_e32 v19, v19, v47
	v_add_f32_e32 v19, v19, v21
	v_exp_f32_e32 v19, v19
	v_cvt_i32_f32_e32 v21, v47
	v_cmp_le_i32_e64 s[0:1], s37, v46
	v_cmp_gt_i32_e64 s[2:3], s38, v46
	s_and_b64 s[2:3], s[0:1], s[2:3]
	v_ldexp_f32 v19, v19, v21
	v_cmp_ngt_f32_e64 s[0:1], s52, v17
	v_ashrrev_i32_e32 v21, 31, v20
	v_cndmask_b32_e64 v19, 0, v19, s[0:1]
	v_cmp_nlt_f32_e64 s[0:1], s53, v17
	v_lshlrev_b64 v[48:49], 2, v[20:21]
	v_cndmask_b32_e64 v47, v43, v19, s[0:1]
	v_mov_b32_e32 v17, s35
	v_add_co_u32_e64 v48, s[0:1], s34, v48
	v_addc_co_u32_e64 v49, s[0:1], v17, v49, s[0:1]
	v_ashrrev_i32_e32 v19, 31, v18
	global_store_dword v[48:49], v47, off
	v_subrev_u32_e32 v17, s37, v46
	s_and_b64 s[0:1], s[46:47], s[2:3]
	v_lshlrev_b64 v[48:49], 2, v[18:19]
	v_cndmask_b32_e64 v17, v44, v17, s[0:1]
	s_waitcnt lgkmcnt(0)
	v_mov_b32_e32 v19, s41
	v_add_co_u32_e64 v48, s[0:1], s40, v48
	v_addc_co_u32_e64 v49, s[0:1], v19, v49, s[0:1]
	global_store_dword v[48:49], v17, off
	v_ashrrev_i32_e32 v17, 31, v16
	v_lshlrev_b64 v[48:49], 2, v[16:17]
	v_mov_b32_e32 v17, s43
	v_add_co_u32_e64 v48, s[0:1], s42, v48
	v_addc_co_u32_e64 v49, s[0:1], v17, v49, s[0:1]
	v_add_f32_e32 v25, v25, v47
	global_store_dword v[48:49], v42, off
.LBB289_14:                             ;   in Loop: Header=BB289_12 Depth=1
	s_or_b64 exec, exec, s[4:5]
	v_ashrrev_i32_e32 v17, 31, v46
	v_lshrrev_b32_e32 v19, 28, v17
	v_add_u32_e32 v19, v46, v19
	v_ashrrev_i32_e32 v19, 4, v19
	v_lshrrev_b32_e32 v21, 28, v19
	v_add_u32_e32 v21, v19, v21
	v_and_b32_e32 v21, -16, v21
	v_sub_u32_e32 v21, v19, v21
	v_cmp_eq_u32_e64 s[0:1], v23, v21
	s_and_saveexec_b64 s[48:49], s[0:1]
	s_cbranch_execz .LBB289_11
; %bb.15:                               ;   in Loop: Header=BB289_12 Depth=1
	v_add_u32_sdwa v17, v46, v17 dst_sel:DWORD dst_unused:UNUSED_PAD src0_sel:DWORD src1_sel:BYTE_3
	v_lshlrev_b32_e32 v19, 4, v19
	v_sub_u32_e32 v19, v46, v19
	v_ashrrev_i32_e32 v17, 8, v17
	v_lshl_add_u32 v17, v17, 4, v19
	v_cmp_ne_u32_e64 s[0:1], 14, v17
	v_cmp_ne_u32_e64 s[2:3], 13, v17
	v_cmp_ne_u32_e64 s[4:5], 12, v17
	v_cmp_ne_u32_e64 s[6:7], 11, v17
	v_cmp_ne_u32_e64 s[8:9], 10, v17
	v_cmp_ne_u32_e64 s[10:11], 9, v17
	v_cmp_ne_u32_e64 s[12:13], 8, v17
	v_cmp_ne_u32_e64 s[14:15], 7, v17
	v_cmp_ne_u32_e64 s[16:17], 6, v17
	v_cmp_ne_u32_e64 s[18:19], 5, v17
	v_cmp_ne_u32_e64 s[20:21], 4, v17
	v_cmp_ne_u32_e64 s[22:23], 3, v17
	v_cmp_ne_u32_e64 s[24:25], 2, v17
	v_cmp_ne_u32_e64 s[26:27], 1, v17
	v_cmp_ne_u32_e64 s[28:29], 0, v17
	v_cmp_ne_u32_e64 s[30:31], 15, v17
	v_cndmask_b32_e64 v15, v45, v15, s[30:31]
	v_cndmask_b32_e64 v14, v45, v14, s[0:1]
	;; [unrolled: 1-line block ×16, first 2 shown]
	s_branch .LBB289_11
.LBB289_16:
	v_sub_f32_e32 v0, v0, v24
	s_mov_b32 s2, 0x3fb8aa3b
	v_mul_f32_e32 v16, 0x3fb8aa3b, v0
	v_fma_f32 v17, v0, s2, -v16
	v_rndne_f32_e32 v18, v16
	v_fmac_f32_e32 v17, 0x32a5705f, v0
	v_sub_f32_e32 v16, v16, v18
	v_add_f32_e32 v16, v16, v17
	v_exp_f32_e32 v16, v16
	v_cvt_i32_f32_e32 v17, v18
	v_sub_f32_e32 v1, v1, v24
	s_mov_b32 s4, 0xc2ce8ed0
	s_mov_b32 s3, 0x42b17218
	v_ldexp_f32 v16, v16, v17
	v_mul_f32_e32 v17, 0x3fb8aa3b, v1
	v_fma_f32 v18, v1, s2, -v17
	v_rndne_f32_e32 v19, v17
	v_fmac_f32_e32 v18, 0x32a5705f, v1
	v_sub_f32_e32 v17, v17, v19
	v_add_f32_e32 v17, v17, v18
	v_exp_f32_e32 v17, v17
	v_cvt_i32_f32_e32 v18, v19
	v_cmp_ngt_f32_e32 vcc, s4, v1
	v_cmp_ngt_f32_e64 s[0:1], s4, v0
	v_sub_f32_e32 v2, v2, v24
	v_ldexp_f32 v17, v17, v18
	v_cndmask_b32_e32 v17, 0, v17, vcc
	v_mov_b32_e32 v18, 0x7f800000
	v_cmp_nlt_f32_e32 vcc, s3, v1
	v_cndmask_b32_e64 v1, 0, v16, s[0:1]
	v_cmp_nlt_f32_e64 s[0:1], s3, v0
	v_cndmask_b32_e64 v0, v18, v1, s[0:1]
	v_cndmask_b32_e32 v1, v18, v17, vcc
	v_add_f32_e32 v0, v0, v1
	v_mul_f32_e32 v1, 0x3fb8aa3b, v2
	v_fma_f32 v16, v2, s2, -v1
	v_rndne_f32_e32 v17, v1
	v_fmac_f32_e32 v16, 0x32a5705f, v2
	v_sub_f32_e32 v1, v1, v17
	v_add_f32_e32 v1, v1, v16
	v_exp_f32_e32 v1, v1
	v_cvt_i32_f32_e32 v16, v17
	v_cmp_ngt_f32_e32 vcc, s4, v2
	v_sub_f32_e32 v3, v3, v24
	v_sub_f32_e32 v4, v4, v24
	v_ldexp_f32 v1, v1, v16
	v_cndmask_b32_e32 v1, 0, v1, vcc
	v_cmp_nlt_f32_e32 vcc, s3, v2
	v_cndmask_b32_e32 v1, v18, v1, vcc
	v_add_f32_e32 v0, v0, v1
	v_mul_f32_e32 v1, 0x3fb8aa3b, v3
	v_fma_f32 v2, v3, s2, -v1
	v_rndne_f32_e32 v16, v1
	v_fmac_f32_e32 v2, 0x32a5705f, v3
	v_sub_f32_e32 v1, v1, v16
	v_add_f32_e32 v1, v1, v2
	v_exp_f32_e32 v1, v1
	v_cvt_i32_f32_e32 v2, v16
	v_cmp_ngt_f32_e32 vcc, s4, v3
	v_sub_f32_e32 v5, v5, v24
	v_sub_f32_e32 v6, v6, v24
	v_ldexp_f32 v1, v1, v2
	v_cndmask_b32_e32 v1, 0, v1, vcc
	v_cmp_nlt_f32_e32 vcc, s3, v3
	;; [unrolled: 16-line block ×5, first 2 shown]
	v_cndmask_b32_e32 v1, v18, v1, vcc
	v_add_f32_e32 v0, v0, v1
	v_mul_f32_e32 v1, 0x3fb8aa3b, v7
	v_fma_f32 v2, v7, s2, -v1
	v_rndne_f32_e32 v3, v1
	v_fmac_f32_e32 v2, 0x32a5705f, v7
	v_sub_f32_e32 v1, v1, v3
	v_add_f32_e32 v1, v1, v2
	v_exp_f32_e32 v1, v1
	v_cvt_i32_f32_e32 v2, v3
	v_cmp_ngt_f32_e32 vcc, s4, v7
	v_ldexp_f32 v1, v1, v2
	v_mul_f32_e32 v2, 0x3fb8aa3b, v8
	v_fma_f32 v3, v8, s2, -v2
	v_rndne_f32_e32 v4, v2
	v_fmac_f32_e32 v3, 0x32a5705f, v8
	v_sub_f32_e32 v2, v2, v4
	v_add_f32_e32 v2, v2, v3
	v_exp_f32_e32 v2, v2
	v_cvt_i32_f32_e32 v3, v4
	v_cndmask_b32_e32 v1, 0, v1, vcc
	v_cmp_nlt_f32_e32 vcc, s3, v7
	v_cndmask_b32_e32 v1, v18, v1, vcc
	v_add_f32_e32 v0, v0, v1
	v_ldexp_f32 v1, v2, v3
	v_mul_f32_e32 v2, 0x3fb8aa3b, v9
	v_fma_f32 v3, v9, s2, -v2
	v_rndne_f32_e32 v4, v2
	v_fmac_f32_e32 v3, 0x32a5705f, v9
	v_sub_f32_e32 v2, v2, v4
	v_add_f32_e32 v2, v2, v3
	v_exp_f32_e32 v2, v2
	v_cvt_i32_f32_e32 v3, v4
	v_cmp_ngt_f32_e32 vcc, s4, v8
	v_cndmask_b32_e32 v1, 0, v1, vcc
	v_cmp_nlt_f32_e32 vcc, s3, v8
	v_cndmask_b32_e32 v1, v18, v1, vcc
	v_add_f32_e32 v0, v0, v1
	v_ldexp_f32 v1, v2, v3
	v_mul_f32_e32 v2, 0x3fb8aa3b, v10
	v_fma_f32 v3, v10, s2, -v2
	v_rndne_f32_e32 v4, v2
	v_fmac_f32_e32 v3, 0x32a5705f, v10
	v_sub_f32_e32 v2, v2, v4
	v_add_f32_e32 v2, v2, v3
	v_exp_f32_e32 v2, v2
	v_cvt_i32_f32_e32 v3, v4
	v_cmp_ngt_f32_e32 vcc, s4, v9
	;; [unrolled: 14-line block ×4, first 2 shown]
	v_cndmask_b32_e32 v1, 0, v1, vcc
	v_cmp_nlt_f32_e32 vcc, s3, v11
	v_cndmask_b32_e32 v1, v18, v1, vcc
	v_add_f32_e32 v0, v0, v1
	v_ldexp_f32 v1, v2, v3
	v_sub_f32_e32 v2, v13, v24
	v_mul_f32_e32 v3, 0x3fb8aa3b, v2
	v_fma_f32 v4, v2, s2, -v3
	v_rndne_f32_e32 v5, v3
	v_fmac_f32_e32 v4, 0x32a5705f, v2
	v_sub_f32_e32 v3, v3, v5
	v_add_f32_e32 v3, v3, v4
	v_exp_f32_e32 v3, v3
	v_cvt_i32_f32_e32 v4, v5
	v_cmp_ngt_f32_e32 vcc, s4, v12
	v_cndmask_b32_e32 v1, 0, v1, vcc
	v_cmp_nlt_f32_e32 vcc, s3, v12
	v_cndmask_b32_e32 v1, v18, v1, vcc
	v_add_f32_e32 v0, v0, v1
	v_ldexp_f32 v1, v3, v4
	v_sub_f32_e32 v3, v14, v24
	v_mul_f32_e32 v4, 0x3fb8aa3b, v3
	v_fma_f32 v5, v3, s2, -v4
	v_rndne_f32_e32 v6, v4
	v_fmac_f32_e32 v5, 0x32a5705f, v3
	v_sub_f32_e32 v4, v4, v6
	v_add_f32_e32 v4, v4, v5
	v_exp_f32_e32 v4, v4
	v_cvt_i32_f32_e32 v5, v6
	v_cmp_ngt_f32_e32 vcc, s4, v2
	v_cndmask_b32_e32 v1, 0, v1, vcc
	v_cmp_nlt_f32_e32 vcc, s3, v2
	v_cndmask_b32_e32 v1, v18, v1, vcc
	v_sub_f32_e32 v2, v15, v24
	v_add_f32_e32 v0, v0, v1
	v_ldexp_f32 v1, v4, v5
	v_mul_f32_e32 v4, 0x3fb8aa3b, v2
	v_fma_f32 v5, v2, s2, -v4
	v_rndne_f32_e32 v6, v4
	v_fmac_f32_e32 v5, 0x32a5705f, v2
	v_sub_f32_e32 v4, v4, v6
	v_add_f32_e32 v4, v4, v5
	v_exp_f32_e32 v4, v4
	v_cvt_i32_f32_e32 v5, v6
	v_cmp_ngt_f32_e32 vcc, s4, v3
	v_cndmask_b32_e32 v1, 0, v1, vcc
	v_cmp_nlt_f32_e32 vcc, s3, v3
	v_cndmask_b32_e32 v1, v18, v1, vcc
	v_add_f32_e32 v0, v0, v1
	v_ldexp_f32 v1, v4, v5
	v_cmp_ngt_f32_e32 vcc, s4, v2
	v_cndmask_b32_e32 v1, 0, v1, vcc
	v_cmp_nlt_f32_e32 vcc, s3, v2
	v_cndmask_b32_e32 v1, v18, v1, vcc
	v_add_f32_e32 v0, v0, v1
	v_cmp_eq_u32_e32 vcc, 0, v23
	s_nop 0
	v_mov_b32_dpp v1, v0 quad_perm:[1,0,3,2] row_mask:0xf bank_mask:0xf
	v_add_f32_e32 v0, v0, v1
	s_nop 1
	v_mov_b32_dpp v1, v0 quad_perm:[2,3,0,1] row_mask:0xf bank_mask:0xf
	v_add_f32_e32 v0, v0, v1
	s_nop 1
	v_mov_b32_dpp v1, v0 row_half_mirror row_mask:0xf bank_mask:0xf
	v_add_f32_e32 v0, v0, v1
	s_nop 1
	v_mov_b32_dpp v1, v0 row_mirror row_mask:0xf bank_mask:0xf
	s_and_b64 exec, exec, vcc
	s_cbranch_execz .LBB289_29
; %bb.17:
	v_add_f32_e32 v0, v0, v1
	v_add_f32_e32 v0, v25, v0
	v_cmp_neq_f32_e32 vcc, 0, v0
	s_and_b64 exec, exec, vcc
	s_cbranch_execz .LBB289_29
; %bb.18:
	s_andn2_b64 vcc, exec, s[44:45]
	s_cbranch_vccnz .LBB289_29
; %bb.19:
	v_div_scale_f32 v1, s[0:1], v0, v0, 1.0
	v_rcp_f32_e32 v2, v1
	v_div_scale_f32 v3, vcc, 1.0, v0, 1.0
	s_cmp_gt_u32 s36, 3
	v_fma_f32 v4, -v1, v2, 1.0
	v_fmac_f32_e32 v2, v4, v2
	v_mul_f32_e32 v4, v3, v2
	v_fma_f32 v5, -v1, v4, v3
	v_fmac_f32_e32 v4, v5, v2
	v_fma_f32 v1, -v1, v4, v3
	v_div_fmas_f32 v1, v1, v2, v4
	v_mul_lo_u32 v2, v22, s39
	v_div_fixup_f32 v0, v1, v0, 1.0
	v_ashrrev_i32_e32 v3, 31, v2
	s_cbranch_scc0 .LBB289_23
; %bb.20:
	v_lshlrev_b64 v[4:5], 2, v[2:3]
	v_mov_b32_e32 v6, s35
	v_add_co_u32_e32 v4, vcc, s34, v4
	v_addc_co_u32_e32 v5, vcc, v5, v6, vcc
	s_and_b32 s4, s36, 0x7ffffffc
	v_add_co_u32_e32 v4, vcc, 8, v4
	v_mov_b32_e32 v1, v0
	v_addc_co_u32_e32 v5, vcc, 0, v5, vcc
	s_mov_b32 s0, s4
.LBB289_21:                             ; =>This Inner Loop Header: Depth=1
	global_load_dwordx4 v[6:9], v[4:5], off offset:-8
	s_add_i32 s0, s0, -4
	s_cmp_lg_u32 s0, 0
	s_waitcnt vmcnt(0)
	v_pk_mul_f32 v[6:7], v[0:1], v[6:7]
	v_pk_mul_f32 v[8:9], v[0:1], v[8:9]
	global_store_dwordx4 v[4:5], v[6:9], off offset:-8
	v_add_co_u32_e32 v4, vcc, 16, v4
	v_addc_co_u32_e32 v5, vcc, 0, v5, vcc
	s_cbranch_scc1 .LBB289_21
; %bb.22:
	s_cmp_lg_u32 s4, s36
	s_mov_b64 s[2:3], 0
	s_cselect_b64 s[0:1], -1, 0
	s_branch .LBB289_24
.LBB289_23:
	s_mov_b64 s[2:3], -1
	s_mov_b64 s[0:1], 0
                                        ; implicit-def: $sgpr4
.LBB289_24:
	s_and_b64 vcc, exec, s[2:3]
	s_cbranch_vccz .LBB289_26
; %bb.25:
	s_mov_b64 s[0:1], -1
	s_mov_b32 s4, 0
.LBB289_26:
	s_andn2_b64 vcc, exec, s[0:1]
	s_cbranch_vccnz .LBB289_29
; %bb.27:
	v_add_co_u32_e32 v2, vcc, s4, v2
	v_addc_co_u32_e32 v3, vcc, 0, v3, vcc
	v_lshlrev_b64 v[2:3], 2, v[2:3]
	v_mov_b32_e32 v1, s35
	v_add_co_u32_e32 v2, vcc, s34, v2
	s_sub_i32 s0, s36, s4
	v_addc_co_u32_e32 v3, vcc, v1, v3, vcc
.LBB289_28:                             ; =>This Inner Loop Header: Depth=1
	global_load_dword v1, v[2:3], off
	s_add_i32 s0, s0, -1
	s_cmp_lg_u32 s0, 0
	s_waitcnt vmcnt(0)
	v_mul_f32_e32 v1, v0, v1
	global_store_dword v[2:3], v1, off
	v_add_co_u32_e32 v2, vcc, 4, v2
	v_addc_co_u32_e32 v3, vcc, 0, v3, vcc
	s_cbranch_scc1 .LBB289_28
.LBB289_29:
	s_endpgm
	.section	.rodata,"a",@progbits
	.p2align	6, 0x0
	.amdhsa_kernel _ZN4vllm3moe17topkGatingSoftmaxItLi16ELi256ELi8ELi32ELb0ELi0ELNS0_23SharedExpertScoringFuncE0EEEvPKT_PKbPfiPiS9_iiiiii
		.amdhsa_group_segment_fixed_size 0
		.amdhsa_private_segment_fixed_size 0
		.amdhsa_kernarg_size 72
		.amdhsa_user_sgpr_count 6
		.amdhsa_user_sgpr_private_segment_buffer 1
		.amdhsa_user_sgpr_dispatch_ptr 0
		.amdhsa_user_sgpr_queue_ptr 0
		.amdhsa_user_sgpr_kernarg_segment_ptr 1
		.amdhsa_user_sgpr_dispatch_id 0
		.amdhsa_user_sgpr_flat_scratch_init 0
		.amdhsa_user_sgpr_kernarg_preload_length 0
		.amdhsa_user_sgpr_kernarg_preload_offset 0
		.amdhsa_user_sgpr_private_segment_size 0
		.amdhsa_uses_dynamic_stack 0
		.amdhsa_system_sgpr_private_segment_wavefront_offset 0
		.amdhsa_system_sgpr_workgroup_id_x 1
		.amdhsa_system_sgpr_workgroup_id_y 0
		.amdhsa_system_sgpr_workgroup_id_z 0
		.amdhsa_system_sgpr_workgroup_info 0
		.amdhsa_system_vgpr_workitem_id 1
		.amdhsa_next_free_vgpr 50
		.amdhsa_next_free_sgpr 54
		.amdhsa_accum_offset 52
		.amdhsa_reserve_vcc 1
		.amdhsa_reserve_flat_scratch 0
		.amdhsa_float_round_mode_32 0
		.amdhsa_float_round_mode_16_64 0
		.amdhsa_float_denorm_mode_32 3
		.amdhsa_float_denorm_mode_16_64 3
		.amdhsa_dx10_clamp 1
		.amdhsa_ieee_mode 1
		.amdhsa_fp16_overflow 0
		.amdhsa_tg_split 0
		.amdhsa_exception_fp_ieee_invalid_op 0
		.amdhsa_exception_fp_denorm_src 0
		.amdhsa_exception_fp_ieee_div_zero 0
		.amdhsa_exception_fp_ieee_overflow 0
		.amdhsa_exception_fp_ieee_underflow 0
		.amdhsa_exception_fp_ieee_inexact 0
		.amdhsa_exception_int_div_zero 0
	.end_amdhsa_kernel
	.section	.text._ZN4vllm3moe17topkGatingSoftmaxItLi16ELi256ELi8ELi32ELb0ELi0ELNS0_23SharedExpertScoringFuncE0EEEvPKT_PKbPfiPiS9_iiiiii,"axG",@progbits,_ZN4vllm3moe17topkGatingSoftmaxItLi16ELi256ELi8ELi32ELb0ELi0ELNS0_23SharedExpertScoringFuncE0EEEvPKT_PKbPfiPiS9_iiiiii,comdat
.Lfunc_end289:
	.size	_ZN4vllm3moe17topkGatingSoftmaxItLi16ELi256ELi8ELi32ELb0ELi0ELNS0_23SharedExpertScoringFuncE0EEEvPKT_PKbPfiPiS9_iiiiii, .Lfunc_end289-_ZN4vllm3moe17topkGatingSoftmaxItLi16ELi256ELi8ELi32ELb0ELi0ELNS0_23SharedExpertScoringFuncE0EEEvPKT_PKbPfiPiS9_iiiiii
                                        ; -- End function
	.section	.AMDGPU.csdata,"",@progbits
; Kernel info:
; codeLenInByte = 4572
; NumSgprs: 58
; NumVgprs: 50
; NumAgprs: 0
; TotalNumVgprs: 50
; ScratchSize: 0
; MemoryBound: 0
; FloatMode: 240
; IeeeMode: 1
; LDSByteSize: 0 bytes/workgroup (compile time only)
; SGPRBlocks: 7
; VGPRBlocks: 6
; NumSGPRsForWavesPerEU: 58
; NumVGPRsForWavesPerEU: 50
; AccumOffset: 52
; Occupancy: 8
; WaveLimiterHint : 0
; COMPUTE_PGM_RSRC2:SCRATCH_EN: 0
; COMPUTE_PGM_RSRC2:USER_SGPR: 6
; COMPUTE_PGM_RSRC2:TRAP_HANDLER: 0
; COMPUTE_PGM_RSRC2:TGID_X_EN: 1
; COMPUTE_PGM_RSRC2:TGID_Y_EN: 0
; COMPUTE_PGM_RSRC2:TGID_Z_EN: 0
; COMPUTE_PGM_RSRC2:TIDIG_COMP_CNT: 1
; COMPUTE_PGM_RSRC3_GFX90A:ACCUM_OFFSET: 12
; COMPUTE_PGM_RSRC3_GFX90A:TG_SPLIT: 0
	.section	.text._ZN4vllm3moe17topkGatingSoftmaxItLi16ELi256ELi8ELi32ELb1ELi1ELNS0_23SharedExpertScoringFuncE1EEEvPKT_PKbPfiPiS9_iiiiii,"axG",@progbits,_ZN4vllm3moe17topkGatingSoftmaxItLi16ELi256ELi8ELi32ELb1ELi1ELNS0_23SharedExpertScoringFuncE1EEEvPKT_PKbPfiPiS9_iiiiii,comdat
	.protected	_ZN4vllm3moe17topkGatingSoftmaxItLi16ELi256ELi8ELi32ELb1ELi1ELNS0_23SharedExpertScoringFuncE1EEEvPKT_PKbPfiPiS9_iiiiii ; -- Begin function _ZN4vllm3moe17topkGatingSoftmaxItLi16ELi256ELi8ELi32ELb1ELi1ELNS0_23SharedExpertScoringFuncE1EEEvPKT_PKbPfiPiS9_iiiiii
	.globl	_ZN4vllm3moe17topkGatingSoftmaxItLi16ELi256ELi8ELi32ELb1ELi1ELNS0_23SharedExpertScoringFuncE1EEEvPKT_PKbPfiPiS9_iiiiii
	.p2align	8
	.type	_ZN4vllm3moe17topkGatingSoftmaxItLi16ELi256ELi8ELi32ELb1ELi1ELNS0_23SharedExpertScoringFuncE1EEEvPKT_PKbPfiPiS9_iiiiii,@function
_ZN4vllm3moe17topkGatingSoftmaxItLi16ELi256ELi8ELi32ELb1ELi1ELNS0_23SharedExpertScoringFuncE1EEEvPKT_PKbPfiPiS9_iiiiii: ; @_ZN4vllm3moe17topkGatingSoftmaxItLi16ELi256ELi8ELi32ELb1ELi1ELNS0_23SharedExpertScoringFuncE1EEEvPKT_PKbPfiPiS9_iiiiii
; %bb.0:
	s_load_dword s33, s[4:5], 0x18
	v_bfe_u32 v1, v0, 10, 10
	v_and_b32_e32 v2, 0x3ff, v0
	s_lshl_b32 s50, s6, 5
	v_lshlrev_b32_e32 v41, 2, v1
	v_lshrrev_b32_e32 v42, 4, v2
	v_add3_u32 v22, s50, v41, v42
	s_waitcnt lgkmcnt(0)
	v_cmp_gt_i32_e32 vcc, s33, v22
	s_and_saveexec_b64 s[0:1], vcc
	s_cbranch_execz .LBB290_29
; %bb.1:
	s_load_dwordx4 s[0:3], s[4:5], 0x0
	s_load_dwordx2 s[34:35], s[4:5], 0x10
	s_waitcnt lgkmcnt(0)
	s_cmp_eq_u64 s[2:3], 0
	s_cbranch_scc1 .LBB290_3
; %bb.2:
	v_ashrrev_i32_e32 v1, 31, v22
	v_mov_b32_e32 v3, s3
	v_add_co_u32_e32 v0, vcc, s2, v22
	v_addc_co_u32_e32 v1, vcc, v3, v1, vcc
	global_load_ubyte v0, v[0:1], off
	s_waitcnt vmcnt(0)
	v_and_b32_e32 v0, 1, v0
	v_cmp_eq_u32_e32 vcc, 1, v0
	s_xor_b64 s[2:3], vcc, -1
	s_orn2_b64 s[44:45], s[2:3], exec
	s_branch .LBB290_4
.LBB290_3:
	s_mov_b64 s[44:45], -1
.LBB290_4:
	s_load_dwordx2 s[8:9], s[4:5], 0x40
	s_load_dwordx4 s[36:39], s[4:5], 0x30
	v_mov_b32_e32 v3, s1
	v_and_b32_e32 v23, 15, v2
	v_lshlrev_b32_e32 v2, 5, v23
	s_waitcnt lgkmcnt(0)
	v_mul_lo_u32 v0, v22, s9
	v_ashrrev_i32_e32 v1, 31, v0
	v_lshlrev_b64 v[0:1], 1, v[0:1]
	v_add_co_u32_e32 v0, vcc, s0, v0
	v_addc_co_u32_e32 v1, vcc, v3, v1, vcc
	v_add_co_u32_e32 v2, vcc, v0, v2
	v_addc_co_u32_e32 v3, vcc, 0, v1, vcc
	global_load_dwordx4 v[12:15], v[2:3], off offset:16
	global_load_dwordx4 v[4:7], v[2:3], off
	v_lshlrev_b32_e32 v25, 4, v23
	v_mov_b32_e32 v24, 0
	v_cmp_eq_u32_e64 s[0:1], 0, v23
	s_and_saveexec_b64 s[2:3], s[0:1]
	s_cbranch_execz .LBB290_6
; %bb.5:
	global_load_ushort v0, v[0:1], off offset:512
	s_mov_b32 s6, 0xbfb8aa3b
	s_mov_b32 s7, 0x42ce8ed0
	s_mov_b32 s9, 0xc2b17218
	v_mov_b32_e32 v3, 0x7f800000
	v_mov_b32_e32 v10, s35
	s_waitcnt vmcnt(0)
	v_cvt_f32_u32_e32 v2, v0
	v_mul_lo_u32 v0, v22, s39
	v_add_u32_e32 v0, s36, v0
	v_mul_f32_e32 v1, 0xbfb8aa3b, v2
	v_rndne_f32_e32 v8, v1
	v_fma_f32 v9, v2, s6, -v1
	v_sub_f32_e32 v1, v1, v8
	v_fmac_f32_e32 v9, 0xb2a5705f, v2
	v_add_f32_e32 v1, v1, v9
	v_cvt_i32_f32_e32 v8, v8
	v_exp_f32_e32 v9, v1
	v_cmp_nlt_f32_e32 vcc, s7, v2
	v_ashrrev_i32_e32 v1, 31, v0
	v_lshlrev_b64 v[0:1], 2, v[0:1]
	v_ldexp_f32 v8, v9, v8
	v_cndmask_b32_e32 v8, 0, v8, vcc
	v_cmp_ngt_f32_e32 vcc, s9, v2
	v_cndmask_b32_e32 v2, v3, v8, vcc
	v_add_f32_e32 v2, 1.0, v2
	v_div_scale_f32 v3, s[6:7], v2, v2, 1.0
	v_rcp_f32_e32 v8, v3
	v_div_scale_f32 v9, vcc, 1.0, v2, 1.0
	v_fma_f32 v11, -v3, v8, 1.0
	v_fmac_f32_e32 v8, v11, v8
	v_mul_f32_e32 v11, v9, v8
	v_fma_f32 v16, -v3, v11, v9
	v_fmac_f32_e32 v11, v16, v8
	v_fma_f32 v3, -v3, v11, v9
	v_div_fmas_f32 v3, v3, v8, v11
	v_add_co_u32_e32 v0, vcc, s34, v0
	v_div_fixup_f32 v2, v3, v2, 1.0
	v_addc_co_u32_e32 v1, vcc, v10, v1, vcc
	global_store_dword v[0:1], v2, off
.LBB290_6:
	s_or_b64 exec, exec, s[2:3]
	s_waitcnt vmcnt(0)
	v_cvt_f32_u32_sdwa v1, v4 dst_sel:DWORD dst_unused:UNUSED_PAD src0_sel:WORD_1
	v_cvt_f32_u32_sdwa v0, v4 dst_sel:DWORD dst_unused:UNUSED_PAD src0_sel:WORD_0
	v_cvt_f32_u32_sdwa v2, v5 dst_sel:DWORD dst_unused:UNUSED_PAD src0_sel:WORD_0
	v_or_b32_e32 v26, 1, v25
	v_or_b32_e32 v27, 2, v25
	v_cmp_lt_f32_e32 vcc, v0, v1
	v_cndmask_b32_e32 v4, v0, v1, vcc
	v_cndmask_b32_e32 v3, v25, v26, vcc
	v_cmp_lt_f32_e32 vcc, v4, v2
	v_cndmask_b32_e32 v8, v3, v27, vcc
	v_cvt_f32_u32_sdwa v3, v5 dst_sel:DWORD dst_unused:UNUSED_PAD src0_sel:WORD_1
	v_cndmask_b32_e32 v4, v4, v2, vcc
	v_or_b32_e32 v28, 3, v25
	v_or_b32_e32 v29, 4, v25
	v_cmp_lt_f32_e32 vcc, v4, v3
	v_cndmask_b32_e32 v5, v8, v28, vcc
	v_cndmask_b32_e32 v8, v4, v3, vcc
	v_cvt_f32_u32_sdwa v4, v6 dst_sel:DWORD dst_unused:UNUSED_PAD src0_sel:WORD_0
	v_or_b32_e32 v30, 5, v25
	v_or_b32_e32 v31, 6, v25
	;; [unrolled: 1-line block ×3, first 2 shown]
	v_cmp_lt_f32_e32 vcc, v8, v4
	v_cndmask_b32_e32 v9, v5, v29, vcc
	v_cvt_f32_u32_sdwa v5, v6 dst_sel:DWORD dst_unused:UNUSED_PAD src0_sel:WORD_1
	v_cvt_f32_u32_sdwa v6, v7 dst_sel:DWORD dst_unused:UNUSED_PAD src0_sel:WORD_0
	v_cndmask_b32_e32 v8, v8, v4, vcc
	v_cvt_f32_u32_sdwa v7, v7 dst_sel:DWORD dst_unused:UNUSED_PAD src0_sel:WORD_1
	v_cmp_lt_f32_e32 vcc, v8, v5
	v_cndmask_b32_e32 v8, v8, v5, vcc
	v_cndmask_b32_e32 v9, v9, v30, vcc
	v_cmp_lt_f32_e32 vcc, v8, v6
	v_cndmask_b32_e32 v8, v8, v6, vcc
	v_cndmask_b32_e32 v9, v9, v31, vcc
	v_cmp_lt_f32_e32 vcc, v8, v7
	v_cndmask_b32_e32 v10, v8, v7, vcc
	v_cvt_f32_u32_sdwa v8, v12 dst_sel:DWORD dst_unused:UNUSED_PAD src0_sel:WORD_0
	v_cndmask_b32_e32 v9, v9, v32, vcc
	v_or_b32_e32 v33, 8, v25
	v_or_b32_e32 v34, 9, v25
	v_cmp_lt_f32_e32 vcc, v10, v8
	v_cndmask_b32_e32 v11, v9, v33, vcc
	v_cvt_f32_u32_sdwa v9, v12 dst_sel:DWORD dst_unused:UNUSED_PAD src0_sel:WORD_1
	v_cndmask_b32_e32 v10, v10, v8, vcc
	v_or_b32_e32 v35, 10, v25
	v_or_b32_e32 v36, 11, v25
	v_cmp_lt_f32_e32 vcc, v10, v9
	v_cndmask_b32_e32 v12, v10, v9, vcc
	v_cvt_f32_u32_sdwa v10, v13 dst_sel:DWORD dst_unused:UNUSED_PAD src0_sel:WORD_0
	v_cndmask_b32_e32 v11, v11, v34, vcc
	v_or_b32_e32 v37, 12, v25
	v_or_b32_e32 v38, 13, v25
	v_cmp_lt_f32_e32 vcc, v12, v10
	v_cndmask_b32_e32 v16, v11, v35, vcc
	v_cvt_f32_u32_sdwa v11, v13 dst_sel:DWORD dst_unused:UNUSED_PAD src0_sel:WORD_1
	v_cndmask_b32_e32 v12, v12, v10, vcc
	v_or_b32_e32 v39, 14, v25
	v_or_b32_e32 v40, 15, v25
	v_cmp_lt_f32_e32 vcc, v12, v11
	v_cndmask_b32_e32 v13, v16, v36, vcc
	v_cndmask_b32_e32 v16, v12, v11, vcc
	v_cvt_f32_u32_sdwa v12, v14 dst_sel:DWORD dst_unused:UNUSED_PAD src0_sel:WORD_0
	v_cmp_lt_f32_e32 vcc, v16, v12
	v_cndmask_b32_e32 v17, v13, v37, vcc
	v_cvt_f32_u32_sdwa v13, v14 dst_sel:DWORD dst_unused:UNUSED_PAD src0_sel:WORD_1
	v_cvt_f32_u32_sdwa v14, v15 dst_sel:DWORD dst_unused:UNUSED_PAD src0_sel:WORD_0
	v_cndmask_b32_e32 v16, v16, v12, vcc
	v_cvt_f32_u32_sdwa v15, v15 dst_sel:DWORD dst_unused:UNUSED_PAD src0_sel:WORD_1
	v_cmp_lt_f32_e32 vcc, v16, v13
	v_cndmask_b32_e32 v16, v16, v13, vcc
	v_cndmask_b32_e32 v17, v17, v38, vcc
	v_cmp_lt_f32_e32 vcc, v16, v14
	v_cndmask_b32_e32 v16, v16, v14, vcc
	v_cndmask_b32_e32 v17, v17, v39, vcc
	;; [unrolled: 3-line block ×3, first 2 shown]
	s_nop 0
	v_mov_b32_dpp v19, v17 quad_perm:[1,0,3,2] row_mask:0xf bank_mask:0xf
	v_mov_b32_dpp v18, v16 quad_perm:[1,0,3,2] row_mask:0xf bank_mask:0xf
	v_cmp_eq_f32_e64 s[2:3], v16, v18
	v_cmp_lt_i32_e64 s[6:7], v19, v17
	v_cmp_lt_f32_e32 vcc, v16, v18
	s_and_b64 s[2:3], s[2:3], s[6:7]
	s_or_b64 vcc, vcc, s[2:3]
	v_cndmask_b32_e32 v16, v16, v18, vcc
	v_cndmask_b32_e32 v17, v17, v19, vcc
	s_nop 0
	v_mov_b32_dpp v18, v16 quad_perm:[2,3,0,1] row_mask:0xf bank_mask:0xf
	v_mov_b32_dpp v19, v17 quad_perm:[2,3,0,1] row_mask:0xf bank_mask:0xf
	v_cmp_eq_f32_e64 s[2:3], v16, v18
	v_cmp_lt_i32_e64 s[6:7], v19, v17
	v_cmp_lt_f32_e32 vcc, v16, v18
	s_and_b64 s[2:3], s[2:3], s[6:7]
	s_or_b64 vcc, vcc, s[2:3]
	v_cndmask_b32_e32 v16, v16, v18, vcc
	v_cndmask_b32_e32 v17, v17, v19, vcc
	s_nop 0
	v_mov_b32_dpp v18, v16 row_half_mirror row_mask:0xf bank_mask:0xf
	v_mov_b32_dpp v19, v17 row_half_mirror row_mask:0xf bank_mask:0xf
	v_cmp_eq_f32_e64 s[2:3], v16, v18
	v_cmp_lt_i32_e64 s[6:7], v19, v17
	v_cmp_lt_f32_e32 vcc, v16, v18
	s_and_b64 s[2:3], s[2:3], s[6:7]
	s_or_b64 vcc, vcc, s[2:3]
	s_cmp_gt_i32 s36, 0
	v_cndmask_b32_e32 v16, v16, v18, vcc
	v_cndmask_b32_e32 v17, v17, v19, vcc
	s_cselect_b64 s[46:47], -1, 0
	s_and_b64 vcc, exec, s[46:47]
	v_mov_b32_dpp v18, v17 row_mirror row_mask:0xf bank_mask:0xf
	v_mov_b32_dpp v19, v16 row_mirror row_mask:0xf bank_mask:0xf
	s_cbranch_vccz .LBB290_18
; %bb.7:
	s_load_dwordx4 s[40:43], s[4:5], 0x20
	v_cmp_eq_f32_e64 s[2:3], v16, v19
	v_cmp_lt_i32_e64 s[6:7], v18, v17
	v_cmp_lt_f32_e32 vcc, v16, v19
	s_and_b64 s[2:3], s[2:3], s[6:7]
	s_or_b64 vcc, vcc, s[2:3]
	v_cndmask_b32_e32 v44, v17, v18, vcc
	v_cndmask_b32_e32 v43, v16, v19, vcc
	v_mul_lo_u32 v20, v22, s39
	v_mul_lo_u32 v18, v22, s8
	;; [unrolled: 1-line block ×3, first 2 shown]
	v_mov_b32_e32 v24, 0
	s_and_saveexec_b64 s[4:5], s[0:1]
	s_cbranch_execz .LBB290_9
; %bb.8:
	v_sub_f32_e32 v17, v43, v43
	v_mul_f32_e32 v19, 0x3fb8aa3b, v17
	s_mov_b32 s2, 0x3fb8aa3b
	v_rndne_f32_e32 v21, v19
	v_sub_f32_e32 v24, v19, v21
	v_fma_f32 v19, v17, s2, -v19
	v_fmac_f32_e32 v19, 0x32a5705f, v17
	v_add_f32_e32 v19, v24, v19
	v_exp_f32_e32 v19, v19
	v_cvt_i32_f32_e32 v21, v21
	v_cmp_le_i32_e32 vcc, s37, v44
	v_cmp_gt_i32_e64 s[2:3], s38, v44
	s_mov_b32 s6, 0xc2ce8ed0
	s_and_b64 s[2:3], vcc, s[2:3]
	v_ldexp_f32 v19, v19, v21
	v_cmp_ngt_f32_e32 vcc, s6, v17
	s_mov_b32 s6, 0x42b17218
	v_cndmask_b32_e32 v19, 0, v19, vcc
	v_mov_b32_e32 v21, 0x7f800000
	v_cmp_nlt_f32_e32 vcc, s6, v17
	v_cndmask_b32_e32 v24, v21, v19, vcc
	v_ashrrev_i32_e32 v21, 31, v20
	v_lshlrev_b64 v[46:47], 2, v[20:21]
	v_mov_b32_e32 v17, s35
	v_add_co_u32_e32 v46, vcc, s34, v46
	v_addc_co_u32_e32 v47, vcc, v17, v47, vcc
	v_subrev_u32_e32 v17, s37, v44
	v_mov_b32_e32 v19, 0x100
	s_and_b64 vcc, s[44:45], s[2:3]
	v_cndmask_b32_e32 v17, v19, v17, vcc
	v_ashrrev_i32_e32 v19, 31, v18
	global_store_dword v[46:47], v24, off
	v_lshlrev_b64 v[46:47], 2, v[18:19]
	s_waitcnt lgkmcnt(0)
	v_mov_b32_e32 v19, s41
	v_add_co_u32_e32 v46, vcc, s40, v46
	v_addc_co_u32_e32 v47, vcc, v19, v47, vcc
	global_store_dword v[46:47], v17, off
	v_ashrrev_i32_e32 v17, 31, v16
	v_lshlrev_b64 v[46:47], 2, v[16:17]
	v_mov_b32_e32 v17, s43
	v_add_co_u32_e32 v46, vcc, s42, v46
	v_addc_co_u32_e32 v47, vcc, v17, v47, vcc
	global_store_dword v[46:47], v22, off
.LBB290_9:
	s_or_b64 exec, exec, s[4:5]
	v_ashrrev_i32_e32 v17, 31, v44
	v_lshrrev_b32_e32 v19, 28, v17
	v_add_u32_e32 v19, v44, v19
	v_ashrrev_i32_e32 v19, 4, v19
	v_lshrrev_b32_e32 v21, 28, v19
	v_add_u32_e32 v21, v19, v21
	v_and_b32_e32 v21, -16, v21
	v_sub_u32_e32 v21, v19, v21
	v_cmp_eq_u32_e32 vcc, v23, v21
	s_and_saveexec_b64 s[48:49], vcc
	s_cbranch_execz .LBB290_11
; %bb.10:
	v_add_u32_sdwa v17, v44, v17 dst_sel:DWORD dst_unused:UNUSED_PAD src0_sel:DWORD src1_sel:BYTE_3
	v_lshlrev_b32_e32 v19, 4, v19
	v_sub_u32_e32 v19, v44, v19
	v_ashrrev_i32_e32 v17, 8, v17
	v_lshl_add_u32 v17, v17, 4, v19
	v_mov_b32_e32 v19, 0xff800000
	v_cmp_ne_u32_e32 vcc, 14, v17
	v_cmp_ne_u32_e64 s[2:3], 13, v17
	v_cmp_ne_u32_e64 s[4:5], 12, v17
	;; [unrolled: 1-line block ×15, first 2 shown]
	v_cndmask_b32_e64 v15, v19, v15, s[30:31]
	v_cndmask_b32_e32 v14, v19, v14, vcc
	v_cndmask_b32_e64 v13, v19, v13, s[2:3]
	v_cndmask_b32_e64 v12, v19, v12, s[4:5]
	;; [unrolled: 1-line block ×14, first 2 shown]
.LBB290_11:
	s_or_b64 exec, exec, s[48:49]
	s_cmp_eq_u32 s36, 1
	s_cbranch_scc1 .LBB290_18
; %bb.12:
	s_add_i32 s50, s50, s33
	s_add_i32 s51, s36, -1
	v_add3_u32 v41, s50, v42, v41
	v_add_u32_e32 v16, 1, v16
	v_add_u32_e32 v18, 1, v18
	;; [unrolled: 1-line block ×3, first 2 shown]
	s_mov_b32 s50, 0x3fb8aa3b
	s_mov_b32 s52, 0xc2ce8ed0
	;; [unrolled: 1-line block ×3, first 2 shown]
	v_mov_b32_e32 v42, 0x7f800000
	v_mov_b32_e32 v44, 0x100
	;; [unrolled: 1-line block ×3, first 2 shown]
	s_branch .LBB290_14
.LBB290_13:                             ;   in Loop: Header=BB290_14 Depth=1
	s_or_b64 exec, exec, s[48:49]
	s_add_i32 s51, s51, -1
	v_add_u32_e32 v41, s33, v41
	v_add_u32_e32 v16, 1, v16
	v_add_u32_e32 v18, 1, v18
	s_cmp_eq_u32 s51, 0
	v_add_u32_e32 v20, 1, v20
	s_cbranch_scc1 .LBB290_18
.LBB290_14:                             ; =>This Inner Loop Header: Depth=1
	v_cmp_gt_f32_e32 vcc, v1, v0
	v_cndmask_b32_e32 v19, v0, v1, vcc
	v_cndmask_b32_e32 v17, v25, v26, vcc
	v_cmp_gt_f32_e32 vcc, v2, v19
	v_cndmask_b32_e32 v19, v19, v2, vcc
	v_cndmask_b32_e32 v17, v17, v27, vcc
	v_cmp_gt_f32_e32 vcc, v3, v19
	v_cndmask_b32_e32 v19, v19, v3, vcc
	v_cndmask_b32_e32 v17, v17, v28, vcc
	v_cmp_gt_f32_e32 vcc, v4, v19
	v_cndmask_b32_e32 v19, v19, v4, vcc
	v_cndmask_b32_e32 v17, v17, v29, vcc
	v_cmp_gt_f32_e32 vcc, v5, v19
	v_cndmask_b32_e32 v19, v19, v5, vcc
	v_cndmask_b32_e32 v17, v17, v30, vcc
	v_cmp_gt_f32_e32 vcc, v6, v19
	v_cndmask_b32_e32 v19, v19, v6, vcc
	v_cndmask_b32_e32 v17, v17, v31, vcc
	v_cmp_gt_f32_e32 vcc, v7, v19
	v_cndmask_b32_e32 v19, v19, v7, vcc
	v_cndmask_b32_e32 v17, v17, v32, vcc
	v_cmp_gt_f32_e32 vcc, v8, v19
	v_cndmask_b32_e32 v19, v19, v8, vcc
	v_cndmask_b32_e32 v17, v17, v33, vcc
	v_cmp_gt_f32_e32 vcc, v9, v19
	v_cndmask_b32_e32 v19, v19, v9, vcc
	v_cndmask_b32_e32 v17, v17, v34, vcc
	v_cmp_gt_f32_e32 vcc, v10, v19
	v_cndmask_b32_e32 v19, v19, v10, vcc
	v_cndmask_b32_e32 v17, v17, v35, vcc
	v_cmp_gt_f32_e32 vcc, v11, v19
	v_cndmask_b32_e32 v19, v19, v11, vcc
	v_cndmask_b32_e32 v17, v17, v36, vcc
	v_cmp_gt_f32_e32 vcc, v12, v19
	v_cndmask_b32_e32 v19, v19, v12, vcc
	v_cndmask_b32_e32 v17, v17, v37, vcc
	v_cmp_gt_f32_e32 vcc, v13, v19
	v_cndmask_b32_e32 v19, v19, v13, vcc
	v_cndmask_b32_e32 v17, v17, v38, vcc
	v_cmp_gt_f32_e32 vcc, v14, v19
	v_cndmask_b32_e32 v19, v19, v14, vcc
	v_cndmask_b32_e32 v17, v17, v39, vcc
	v_cmp_gt_f32_e32 vcc, v15, v19
	v_cndmask_b32_e32 v17, v17, v40, vcc
	v_cndmask_b32_e32 v19, v19, v15, vcc
	s_nop 0
	v_mov_b32_dpp v46, v17 quad_perm:[1,0,3,2] row_mask:0xf bank_mask:0xf
	v_mov_b32_dpp v21, v19 quad_perm:[1,0,3,2] row_mask:0xf bank_mask:0xf
	v_cmp_eq_f32_e64 s[2:3], v19, v21
	v_cmp_lt_i32_e64 s[4:5], v46, v17
	v_cmp_lt_f32_e32 vcc, v19, v21
	s_and_b64 s[2:3], s[2:3], s[4:5]
	s_or_b64 vcc, vcc, s[2:3]
	v_cndmask_b32_e32 v19, v19, v21, vcc
	v_cndmask_b32_e32 v17, v17, v46, vcc
	s_nop 0
	v_mov_b32_dpp v21, v19 quad_perm:[2,3,0,1] row_mask:0xf bank_mask:0xf
	v_mov_b32_dpp v46, v17 quad_perm:[2,3,0,1] row_mask:0xf bank_mask:0xf
	v_cmp_eq_f32_e64 s[2:3], v19, v21
	v_cmp_lt_i32_e64 s[4:5], v46, v17
	v_cmp_lt_f32_e32 vcc, v19, v21
	s_and_b64 s[2:3], s[2:3], s[4:5]
	s_or_b64 vcc, vcc, s[2:3]
	v_cndmask_b32_e32 v19, v19, v21, vcc
	v_cndmask_b32_e32 v21, v17, v46, vcc
	s_nop 0
	v_mov_b32_dpp v17, v19 row_half_mirror row_mask:0xf bank_mask:0xf
	v_mov_b32_dpp v46, v21 row_half_mirror row_mask:0xf bank_mask:0xf
	v_cmp_eq_f32_e64 s[2:3], v19, v17
	v_cmp_lt_i32_e64 s[4:5], v46, v21
	v_cmp_lt_f32_e32 vcc, v19, v17
	s_and_b64 s[2:3], s[2:3], s[4:5]
	s_or_b64 vcc, vcc, s[2:3]
	v_cndmask_b32_e32 v17, v19, v17, vcc
	v_cndmask_b32_e32 v21, v21, v46, vcc
	s_nop 0
	v_mov_b32_dpp v19, v17 row_mirror row_mask:0xf bank_mask:0xf
	v_mov_b32_dpp v46, v21 row_mirror row_mask:0xf bank_mask:0xf
	v_cmp_eq_f32_e64 s[2:3], v17, v19
	v_cmp_lt_i32_e64 s[4:5], v46, v21
	v_cmp_lt_f32_e32 vcc, v17, v19
	s_and_b64 s[2:3], s[2:3], s[4:5]
	s_or_b64 vcc, vcc, s[2:3]
	v_cndmask_b32_e32 v46, v21, v46, vcc
	s_and_saveexec_b64 s[4:5], s[0:1]
	s_cbranch_execz .LBB290_16
; %bb.15:                               ;   in Loop: Header=BB290_14 Depth=1
	v_cndmask_b32_e32 v17, v17, v19, vcc
	v_sub_f32_e32 v17, v17, v43
	v_mul_f32_e32 v19, 0x3fb8aa3b, v17
	v_fma_f32 v21, v17, s50, -v19
	v_rndne_f32_e32 v47, v19
	v_fmac_f32_e32 v21, 0x32a5705f, v17
	v_sub_f32_e32 v19, v19, v47
	v_add_f32_e32 v19, v19, v21
	v_exp_f32_e32 v19, v19
	v_cvt_i32_f32_e32 v21, v47
	v_cmp_le_i32_e32 vcc, s37, v46
	v_cmp_gt_i32_e64 s[2:3], s38, v46
	s_and_b64 s[2:3], vcc, s[2:3]
	v_ldexp_f32 v19, v19, v21
	v_cmp_ngt_f32_e32 vcc, s52, v17
	v_ashrrev_i32_e32 v21, 31, v20
	v_cndmask_b32_e32 v19, 0, v19, vcc
	v_cmp_nlt_f32_e32 vcc, s53, v17
	v_lshlrev_b64 v[48:49], 2, v[20:21]
	v_cndmask_b32_e32 v47, v42, v19, vcc
	v_mov_b32_e32 v17, s35
	v_add_co_u32_e32 v48, vcc, s34, v48
	v_addc_co_u32_e32 v49, vcc, v17, v49, vcc
	v_ashrrev_i32_e32 v19, 31, v18
	global_store_dword v[48:49], v47, off
	v_subrev_u32_e32 v17, s37, v46
	s_and_b64 vcc, s[44:45], s[2:3]
	v_lshlrev_b64 v[48:49], 2, v[18:19]
	v_cndmask_b32_e32 v17, v44, v17, vcc
	s_waitcnt lgkmcnt(0)
	v_mov_b32_e32 v19, s41
	v_add_co_u32_e32 v48, vcc, s40, v48
	v_addc_co_u32_e32 v49, vcc, v19, v49, vcc
	global_store_dword v[48:49], v17, off
	v_ashrrev_i32_e32 v17, 31, v16
	v_lshlrev_b64 v[48:49], 2, v[16:17]
	v_mov_b32_e32 v17, s43
	v_add_co_u32_e32 v48, vcc, s42, v48
	v_addc_co_u32_e32 v49, vcc, v17, v49, vcc
	v_add_f32_e32 v24, v24, v47
	global_store_dword v[48:49], v41, off
.LBB290_16:                             ;   in Loop: Header=BB290_14 Depth=1
	s_or_b64 exec, exec, s[4:5]
	v_ashrrev_i32_e32 v17, 31, v46
	v_lshrrev_b32_e32 v19, 28, v17
	v_add_u32_e32 v19, v46, v19
	v_ashrrev_i32_e32 v19, 4, v19
	v_lshrrev_b32_e32 v21, 28, v19
	v_add_u32_e32 v21, v19, v21
	v_and_b32_e32 v21, -16, v21
	v_sub_u32_e32 v21, v19, v21
	v_cmp_eq_u32_e32 vcc, v23, v21
	s_and_saveexec_b64 s[48:49], vcc
	s_cbranch_execz .LBB290_13
; %bb.17:                               ;   in Loop: Header=BB290_14 Depth=1
	v_add_u32_sdwa v17, v46, v17 dst_sel:DWORD dst_unused:UNUSED_PAD src0_sel:DWORD src1_sel:BYTE_3
	v_lshlrev_b32_e32 v19, 4, v19
	v_sub_u32_e32 v19, v46, v19
	v_ashrrev_i32_e32 v17, 8, v17
	v_lshl_add_u32 v17, v17, 4, v19
	v_cmp_ne_u32_e32 vcc, 14, v17
	v_cmp_ne_u32_e64 s[2:3], 13, v17
	v_cmp_ne_u32_e64 s[4:5], 12, v17
	;; [unrolled: 1-line block ×15, first 2 shown]
	v_cndmask_b32_e64 v15, v45, v15, s[30:31]
	v_cndmask_b32_e32 v14, v45, v14, vcc
	v_cndmask_b32_e64 v13, v45, v13, s[2:3]
	v_cndmask_b32_e64 v12, v45, v12, s[4:5]
	;; [unrolled: 1-line block ×14, first 2 shown]
	s_branch .LBB290_13
.LBB290_18:
	v_cmp_neq_f32_e32 vcc, 0, v24
	s_and_b64 s[0:1], s[0:1], vcc
	s_and_b64 exec, exec, s[0:1]
	s_cbranch_execz .LBB290_29
; %bb.19:
	s_andn2_b64 vcc, exec, s[46:47]
	s_cbranch_vccnz .LBB290_29
; %bb.20:
	v_div_scale_f32 v0, s[0:1], v24, v24, 1.0
	v_rcp_f32_e32 v1, v0
	v_div_scale_f32 v2, vcc, 1.0, v24, 1.0
	s_cmp_gt_u32 s36, 3
	v_fma_f32 v3, -v0, v1, 1.0
	v_fmac_f32_e32 v1, v3, v1
	v_mul_f32_e32 v3, v2, v1
	v_fma_f32 v4, -v0, v3, v2
	v_fmac_f32_e32 v3, v4, v1
	v_fma_f32 v0, -v0, v3, v2
	v_div_fmas_f32 v0, v0, v1, v3
	v_mul_lo_u32 v2, v22, s39
	v_div_fixup_f32 v0, v0, v24, 1.0
	v_ashrrev_i32_e32 v3, 31, v2
	s_cbranch_scc0 .LBB290_24
; %bb.21:
	v_lshlrev_b64 v[4:5], 2, v[2:3]
	v_mov_b32_e32 v6, s35
	v_add_co_u32_e32 v4, vcc, s34, v4
	v_addc_co_u32_e32 v5, vcc, v5, v6, vcc
	s_and_b32 s4, s36, 0x7ffffffc
	v_add_co_u32_e32 v4, vcc, 8, v4
	v_mov_b32_e32 v1, v0
	v_addc_co_u32_e32 v5, vcc, 0, v5, vcc
	s_mov_b32 s0, s4
.LBB290_22:                             ; =>This Inner Loop Header: Depth=1
	global_load_dwordx4 v[6:9], v[4:5], off offset:-8
	s_add_i32 s0, s0, -4
	s_cmp_lg_u32 s0, 0
	s_waitcnt vmcnt(0)
	v_pk_mul_f32 v[6:7], v[0:1], v[6:7]
	v_pk_mul_f32 v[8:9], v[0:1], v[8:9]
	global_store_dwordx4 v[4:5], v[6:9], off offset:-8
	v_add_co_u32_e32 v4, vcc, 16, v4
	v_addc_co_u32_e32 v5, vcc, 0, v5, vcc
	s_cbranch_scc1 .LBB290_22
; %bb.23:
	s_cmp_lg_u32 s4, s36
	s_cselect_b64 s[0:1], -1, 0
	s_branch .LBB290_26
.LBB290_24:
	s_mov_b64 s[0:1], 0
                                        ; implicit-def: $sgpr4
	s_cbranch_execz .LBB290_26
; %bb.25:
	s_mov_b64 s[0:1], -1
	s_mov_b32 s4, 0
.LBB290_26:
	s_andn2_b64 vcc, exec, s[0:1]
	s_cbranch_vccnz .LBB290_29
; %bb.27:
	v_add_co_u32_e32 v2, vcc, s4, v2
	v_addc_co_u32_e32 v3, vcc, 0, v3, vcc
	v_lshlrev_b64 v[2:3], 2, v[2:3]
	v_mov_b32_e32 v1, s35
	v_add_co_u32_e32 v2, vcc, s34, v2
	s_sub_i32 s0, s36, s4
	v_addc_co_u32_e32 v3, vcc, v1, v3, vcc
.LBB290_28:                             ; =>This Inner Loop Header: Depth=1
	global_load_dword v1, v[2:3], off
	s_add_i32 s0, s0, -1
	s_cmp_lg_u32 s0, 0
	s_waitcnt vmcnt(0)
	v_mul_f32_e32 v1, v0, v1
	global_store_dword v[2:3], v1, off
	v_add_co_u32_e32 v2, vcc, 4, v2
	v_addc_co_u32_e32 v3, vcc, 0, v3, vcc
	s_cbranch_scc1 .LBB290_28
.LBB290_29:
	s_endpgm
	.section	.rodata,"a",@progbits
	.p2align	6, 0x0
	.amdhsa_kernel _ZN4vllm3moe17topkGatingSoftmaxItLi16ELi256ELi8ELi32ELb1ELi1ELNS0_23SharedExpertScoringFuncE1EEEvPKT_PKbPfiPiS9_iiiiii
		.amdhsa_group_segment_fixed_size 0
		.amdhsa_private_segment_fixed_size 0
		.amdhsa_kernarg_size 72
		.amdhsa_user_sgpr_count 6
		.amdhsa_user_sgpr_private_segment_buffer 1
		.amdhsa_user_sgpr_dispatch_ptr 0
		.amdhsa_user_sgpr_queue_ptr 0
		.amdhsa_user_sgpr_kernarg_segment_ptr 1
		.amdhsa_user_sgpr_dispatch_id 0
		.amdhsa_user_sgpr_flat_scratch_init 0
		.amdhsa_user_sgpr_kernarg_preload_length 0
		.amdhsa_user_sgpr_kernarg_preload_offset 0
		.amdhsa_user_sgpr_private_segment_size 0
		.amdhsa_uses_dynamic_stack 0
		.amdhsa_system_sgpr_private_segment_wavefront_offset 0
		.amdhsa_system_sgpr_workgroup_id_x 1
		.amdhsa_system_sgpr_workgroup_id_y 0
		.amdhsa_system_sgpr_workgroup_id_z 0
		.amdhsa_system_sgpr_workgroup_info 0
		.amdhsa_system_vgpr_workitem_id 1
		.amdhsa_next_free_vgpr 50
		.amdhsa_next_free_sgpr 54
		.amdhsa_accum_offset 52
		.amdhsa_reserve_vcc 1
		.amdhsa_reserve_flat_scratch 0
		.amdhsa_float_round_mode_32 0
		.amdhsa_float_round_mode_16_64 0
		.amdhsa_float_denorm_mode_32 3
		.amdhsa_float_denorm_mode_16_64 3
		.amdhsa_dx10_clamp 1
		.amdhsa_ieee_mode 1
		.amdhsa_fp16_overflow 0
		.amdhsa_tg_split 0
		.amdhsa_exception_fp_ieee_invalid_op 0
		.amdhsa_exception_fp_denorm_src 0
		.amdhsa_exception_fp_ieee_div_zero 0
		.amdhsa_exception_fp_ieee_overflow 0
		.amdhsa_exception_fp_ieee_underflow 0
		.amdhsa_exception_fp_ieee_inexact 0
		.amdhsa_exception_int_div_zero 0
	.end_amdhsa_kernel
	.section	.text._ZN4vllm3moe17topkGatingSoftmaxItLi16ELi256ELi8ELi32ELb1ELi1ELNS0_23SharedExpertScoringFuncE1EEEvPKT_PKbPfiPiS9_iiiiii,"axG",@progbits,_ZN4vllm3moe17topkGatingSoftmaxItLi16ELi256ELi8ELi32ELb1ELi1ELNS0_23SharedExpertScoringFuncE1EEEvPKT_PKbPfiPiS9_iiiiii,comdat
.Lfunc_end290:
	.size	_ZN4vllm3moe17topkGatingSoftmaxItLi16ELi256ELi8ELi32ELb1ELi1ELNS0_23SharedExpertScoringFuncE1EEEvPKT_PKbPfiPiS9_iiiiii, .Lfunc_end290-_ZN4vllm3moe17topkGatingSoftmaxItLi16ELi256ELi8ELi32ELb1ELi1ELNS0_23SharedExpertScoringFuncE1EEEvPKT_PKbPfiPiS9_iiiiii
                                        ; -- End function
	.section	.AMDGPU.csdata,"",@progbits
; Kernel info:
; codeLenInByte = 3112
; NumSgprs: 58
; NumVgprs: 50
; NumAgprs: 0
; TotalNumVgprs: 50
; ScratchSize: 0
; MemoryBound: 0
; FloatMode: 240
; IeeeMode: 1
; LDSByteSize: 0 bytes/workgroup (compile time only)
; SGPRBlocks: 7
; VGPRBlocks: 6
; NumSGPRsForWavesPerEU: 58
; NumVGPRsForWavesPerEU: 50
; AccumOffset: 52
; Occupancy: 8
; WaveLimiterHint : 0
; COMPUTE_PGM_RSRC2:SCRATCH_EN: 0
; COMPUTE_PGM_RSRC2:USER_SGPR: 6
; COMPUTE_PGM_RSRC2:TRAP_HANDLER: 0
; COMPUTE_PGM_RSRC2:TGID_X_EN: 1
; COMPUTE_PGM_RSRC2:TGID_Y_EN: 0
; COMPUTE_PGM_RSRC2:TGID_Z_EN: 0
; COMPUTE_PGM_RSRC2:TIDIG_COMP_CNT: 1
; COMPUTE_PGM_RSRC3_GFX90A:ACCUM_OFFSET: 12
; COMPUTE_PGM_RSRC3_GFX90A:TG_SPLIT: 0
	.section	.text._ZN4vllm3moe17topkGatingSoftmaxItLi16ELi256ELi8ELi32ELb0ELi1ELNS0_23SharedExpertScoringFuncE1EEEvPKT_PKbPfiPiS9_iiiiii,"axG",@progbits,_ZN4vllm3moe17topkGatingSoftmaxItLi16ELi256ELi8ELi32ELb0ELi1ELNS0_23SharedExpertScoringFuncE1EEEvPKT_PKbPfiPiS9_iiiiii,comdat
	.protected	_ZN4vllm3moe17topkGatingSoftmaxItLi16ELi256ELi8ELi32ELb0ELi1ELNS0_23SharedExpertScoringFuncE1EEEvPKT_PKbPfiPiS9_iiiiii ; -- Begin function _ZN4vllm3moe17topkGatingSoftmaxItLi16ELi256ELi8ELi32ELb0ELi1ELNS0_23SharedExpertScoringFuncE1EEEvPKT_PKbPfiPiS9_iiiiii
	.globl	_ZN4vllm3moe17topkGatingSoftmaxItLi16ELi256ELi8ELi32ELb0ELi1ELNS0_23SharedExpertScoringFuncE1EEEvPKT_PKbPfiPiS9_iiiiii
	.p2align	8
	.type	_ZN4vllm3moe17topkGatingSoftmaxItLi16ELi256ELi8ELi32ELb0ELi1ELNS0_23SharedExpertScoringFuncE1EEEvPKT_PKbPfiPiS9_iiiiii,@function
_ZN4vllm3moe17topkGatingSoftmaxItLi16ELi256ELi8ELi32ELb0ELi1ELNS0_23SharedExpertScoringFuncE1EEEvPKT_PKbPfiPiS9_iiiiii: ; @_ZN4vllm3moe17topkGatingSoftmaxItLi16ELi256ELi8ELi32ELb0ELi1ELNS0_23SharedExpertScoringFuncE1EEEvPKT_PKbPfiPiS9_iiiiii
; %bb.0:
	s_load_dword s33, s[4:5], 0x18
	v_bfe_u32 v1, v0, 10, 10
	v_and_b32_e32 v2, 0x3ff, v0
	s_lshl_b32 s50, s6, 5
	v_lshlrev_b32_e32 v42, 2, v1
	v_lshrrev_b32_e32 v43, 4, v2
	v_add3_u32 v22, s50, v42, v43
	s_waitcnt lgkmcnt(0)
	v_cmp_gt_i32_e32 vcc, s33, v22
	s_and_saveexec_b64 s[0:1], vcc
	s_cbranch_execz .LBB291_31
; %bb.1:
	s_load_dwordx4 s[0:3], s[4:5], 0x0
	s_load_dwordx2 s[34:35], s[4:5], 0x10
	s_waitcnt lgkmcnt(0)
	s_cmp_eq_u64 s[2:3], 0
	s_cbranch_scc1 .LBB291_3
; %bb.2:
	v_ashrrev_i32_e32 v1, 31, v22
	v_mov_b32_e32 v3, s3
	v_add_co_u32_e32 v0, vcc, s2, v22
	v_addc_co_u32_e32 v1, vcc, v3, v1, vcc
	global_load_ubyte v0, v[0:1], off
	s_waitcnt vmcnt(0)
	v_and_b32_e32 v0, 1, v0
	v_cmp_eq_u32_e32 vcc, 1, v0
	s_xor_b64 s[2:3], vcc, -1
	s_orn2_b64 s[46:47], s[2:3], exec
	s_branch .LBB291_4
.LBB291_3:
	s_mov_b64 s[46:47], -1
.LBB291_4:
	s_load_dwordx2 s[8:9], s[4:5], 0x40
	s_load_dwordx4 s[36:39], s[4:5], 0x30
	v_mov_b32_e32 v3, s1
	v_and_b32_e32 v25, 15, v2
	v_lshlrev_b32_e32 v2, 5, v25
	s_waitcnt lgkmcnt(0)
	v_mul_lo_u32 v0, v22, s9
	v_ashrrev_i32_e32 v1, 31, v0
	v_lshlrev_b64 v[0:1], 1, v[0:1]
	v_add_co_u32_e32 v0, vcc, s0, v0
	v_addc_co_u32_e32 v1, vcc, v3, v1, vcc
	v_add_co_u32_e32 v2, vcc, v0, v2
	v_addc_co_u32_e32 v3, vcc, 0, v1, vcc
	global_load_dwordx4 v[12:15], v[2:3], off offset:16
	global_load_dwordx4 v[4:7], v[2:3], off
	v_lshlrev_b32_e32 v26, 4, v25
	v_mov_b32_e32 v23, 0
	v_cmp_eq_u32_e64 s[0:1], 0, v25
	s_and_saveexec_b64 s[2:3], s[0:1]
	s_cbranch_execz .LBB291_6
; %bb.5:
	global_load_ushort v0, v[0:1], off offset:512
	s_mov_b32 s6, 0xbfb8aa3b
	s_mov_b32 s7, 0x42ce8ed0
	;; [unrolled: 1-line block ×3, first 2 shown]
	v_mov_b32_e32 v3, 0x7f800000
	v_mov_b32_e32 v10, s35
	s_waitcnt vmcnt(0)
	v_cvt_f32_u32_e32 v2, v0
	v_mul_lo_u32 v0, v22, s39
	v_add_u32_e32 v0, s36, v0
	v_mul_f32_e32 v1, 0xbfb8aa3b, v2
	v_rndne_f32_e32 v8, v1
	v_fma_f32 v9, v2, s6, -v1
	v_sub_f32_e32 v1, v1, v8
	v_fmac_f32_e32 v9, 0xb2a5705f, v2
	v_add_f32_e32 v1, v1, v9
	v_cvt_i32_f32_e32 v8, v8
	v_exp_f32_e32 v9, v1
	v_cmp_nlt_f32_e32 vcc, s7, v2
	v_ashrrev_i32_e32 v1, 31, v0
	v_lshlrev_b64 v[0:1], 2, v[0:1]
	v_ldexp_f32 v8, v9, v8
	v_cndmask_b32_e32 v8, 0, v8, vcc
	v_cmp_ngt_f32_e32 vcc, s9, v2
	v_cndmask_b32_e32 v2, v3, v8, vcc
	v_add_f32_e32 v2, 1.0, v2
	v_div_scale_f32 v3, s[6:7], v2, v2, 1.0
	v_rcp_f32_e32 v8, v3
	v_div_scale_f32 v9, vcc, 1.0, v2, 1.0
	v_fma_f32 v11, -v3, v8, 1.0
	v_fmac_f32_e32 v8, v11, v8
	v_mul_f32_e32 v11, v9, v8
	v_fma_f32 v16, -v3, v11, v9
	v_fmac_f32_e32 v11, v16, v8
	v_fma_f32 v3, -v3, v11, v9
	v_div_fmas_f32 v3, v3, v8, v11
	v_add_co_u32_e32 v0, vcc, s34, v0
	v_div_fixup_f32 v2, v3, v2, 1.0
	v_addc_co_u32_e32 v1, vcc, v10, v1, vcc
	global_store_dword v[0:1], v2, off
.LBB291_6:
	s_or_b64 exec, exec, s[2:3]
	s_waitcnt vmcnt(0)
	v_cvt_f32_u32_sdwa v1, v4 dst_sel:DWORD dst_unused:UNUSED_PAD src0_sel:WORD_1
	v_cvt_f32_u32_sdwa v0, v4 dst_sel:DWORD dst_unused:UNUSED_PAD src0_sel:WORD_0
	v_cvt_f32_u32_sdwa v2, v5 dst_sel:DWORD dst_unused:UNUSED_PAD src0_sel:WORD_0
	v_or_b32_e32 v27, 1, v26
	v_or_b32_e32 v28, 2, v26
	v_cmp_lt_f32_e32 vcc, v0, v1
	v_cndmask_b32_e32 v4, v0, v1, vcc
	v_cndmask_b32_e32 v3, v26, v27, vcc
	v_cmp_lt_f32_e32 vcc, v4, v2
	v_cndmask_b32_e32 v8, v3, v28, vcc
	v_cvt_f32_u32_sdwa v3, v5 dst_sel:DWORD dst_unused:UNUSED_PAD src0_sel:WORD_1
	v_cndmask_b32_e32 v4, v4, v2, vcc
	v_or_b32_e32 v29, 3, v26
	v_or_b32_e32 v30, 4, v26
	v_cmp_lt_f32_e32 vcc, v4, v3
	v_cndmask_b32_e32 v5, v8, v29, vcc
	v_cndmask_b32_e32 v8, v4, v3, vcc
	v_cvt_f32_u32_sdwa v4, v6 dst_sel:DWORD dst_unused:UNUSED_PAD src0_sel:WORD_0
	v_or_b32_e32 v31, 5, v26
	v_or_b32_e32 v32, 6, v26
	;; [unrolled: 1-line block ×3, first 2 shown]
	v_cmp_lt_f32_e32 vcc, v8, v4
	v_cndmask_b32_e32 v9, v5, v30, vcc
	v_cvt_f32_u32_sdwa v5, v6 dst_sel:DWORD dst_unused:UNUSED_PAD src0_sel:WORD_1
	v_cvt_f32_u32_sdwa v6, v7 dst_sel:DWORD dst_unused:UNUSED_PAD src0_sel:WORD_0
	v_cndmask_b32_e32 v8, v8, v4, vcc
	v_cvt_f32_u32_sdwa v7, v7 dst_sel:DWORD dst_unused:UNUSED_PAD src0_sel:WORD_1
	v_cmp_lt_f32_e32 vcc, v8, v5
	v_cndmask_b32_e32 v8, v8, v5, vcc
	v_cndmask_b32_e32 v9, v9, v31, vcc
	v_cmp_lt_f32_e32 vcc, v8, v6
	v_cndmask_b32_e32 v8, v8, v6, vcc
	v_cndmask_b32_e32 v9, v9, v32, vcc
	v_cmp_lt_f32_e32 vcc, v8, v7
	v_cndmask_b32_e32 v10, v8, v7, vcc
	v_cvt_f32_u32_sdwa v8, v12 dst_sel:DWORD dst_unused:UNUSED_PAD src0_sel:WORD_0
	v_cndmask_b32_e32 v9, v9, v33, vcc
	v_or_b32_e32 v34, 8, v26
	v_or_b32_e32 v35, 9, v26
	v_cmp_lt_f32_e32 vcc, v10, v8
	v_cndmask_b32_e32 v11, v9, v34, vcc
	v_cvt_f32_u32_sdwa v9, v12 dst_sel:DWORD dst_unused:UNUSED_PAD src0_sel:WORD_1
	v_cndmask_b32_e32 v10, v10, v8, vcc
	v_or_b32_e32 v36, 10, v26
	v_or_b32_e32 v37, 11, v26
	v_cmp_lt_f32_e32 vcc, v10, v9
	v_cndmask_b32_e32 v12, v10, v9, vcc
	v_cvt_f32_u32_sdwa v10, v13 dst_sel:DWORD dst_unused:UNUSED_PAD src0_sel:WORD_0
	v_cndmask_b32_e32 v11, v11, v35, vcc
	v_or_b32_e32 v38, 12, v26
	v_or_b32_e32 v39, 13, v26
	v_cmp_lt_f32_e32 vcc, v12, v10
	v_cndmask_b32_e32 v16, v11, v36, vcc
	v_cvt_f32_u32_sdwa v11, v13 dst_sel:DWORD dst_unused:UNUSED_PAD src0_sel:WORD_1
	v_cndmask_b32_e32 v12, v12, v10, vcc
	v_or_b32_e32 v40, 14, v26
	v_or_b32_e32 v41, 15, v26
	v_cmp_lt_f32_e32 vcc, v12, v11
	v_cndmask_b32_e32 v13, v16, v37, vcc
	v_cndmask_b32_e32 v16, v12, v11, vcc
	v_cvt_f32_u32_sdwa v12, v14 dst_sel:DWORD dst_unused:UNUSED_PAD src0_sel:WORD_0
	v_cmp_lt_f32_e32 vcc, v16, v12
	v_cndmask_b32_e32 v17, v13, v38, vcc
	v_cvt_f32_u32_sdwa v13, v14 dst_sel:DWORD dst_unused:UNUSED_PAD src0_sel:WORD_1
	v_cvt_f32_u32_sdwa v14, v15 dst_sel:DWORD dst_unused:UNUSED_PAD src0_sel:WORD_0
	v_cndmask_b32_e32 v16, v16, v12, vcc
	v_cvt_f32_u32_sdwa v15, v15 dst_sel:DWORD dst_unused:UNUSED_PAD src0_sel:WORD_1
	v_cmp_lt_f32_e32 vcc, v16, v13
	v_cndmask_b32_e32 v16, v16, v13, vcc
	v_cndmask_b32_e32 v17, v17, v39, vcc
	v_cmp_lt_f32_e32 vcc, v16, v14
	v_cndmask_b32_e32 v16, v16, v14, vcc
	v_cndmask_b32_e32 v17, v17, v40, vcc
	;; [unrolled: 3-line block ×3, first 2 shown]
	s_nop 0
	v_mov_b32_dpp v19, v17 quad_perm:[1,0,3,2] row_mask:0xf bank_mask:0xf
	v_mov_b32_dpp v18, v16 quad_perm:[1,0,3,2] row_mask:0xf bank_mask:0xf
	v_cmp_eq_f32_e64 s[2:3], v16, v18
	v_cmp_lt_i32_e64 s[6:7], v19, v17
	v_cmp_lt_f32_e32 vcc, v16, v18
	s_and_b64 s[2:3], s[2:3], s[6:7]
	s_or_b64 vcc, vcc, s[2:3]
	v_cndmask_b32_e32 v16, v16, v18, vcc
	v_cndmask_b32_e32 v17, v17, v19, vcc
	s_nop 0
	v_mov_b32_dpp v18, v16 quad_perm:[2,3,0,1] row_mask:0xf bank_mask:0xf
	v_mov_b32_dpp v19, v17 quad_perm:[2,3,0,1] row_mask:0xf bank_mask:0xf
	v_cmp_eq_f32_e64 s[2:3], v16, v18
	v_cmp_lt_i32_e64 s[6:7], v19, v17
	v_cmp_lt_f32_e32 vcc, v16, v18
	s_and_b64 s[2:3], s[2:3], s[6:7]
	s_or_b64 vcc, vcc, s[2:3]
	v_cndmask_b32_e32 v16, v16, v18, vcc
	v_cndmask_b32_e32 v17, v17, v19, vcc
	s_nop 0
	v_mov_b32_dpp v18, v16 row_half_mirror row_mask:0xf bank_mask:0xf
	v_mov_b32_dpp v19, v17 row_half_mirror row_mask:0xf bank_mask:0xf
	v_cmp_eq_f32_e64 s[2:3], v16, v18
	v_cmp_lt_i32_e64 s[6:7], v19, v17
	v_cmp_lt_f32_e32 vcc, v16, v18
	s_and_b64 s[2:3], s[2:3], s[6:7]
	s_or_b64 vcc, vcc, s[2:3]
	v_cndmask_b32_e32 v18, v16, v18, vcc
	v_cndmask_b32_e32 v16, v17, v19, vcc
	s_nop 0
	v_mov_b32_dpp v19, v18 row_mirror row_mask:0xf bank_mask:0xf
	v_mov_b32_dpp v17, v16 row_mirror row_mask:0xf bank_mask:0xf
	v_cmp_eq_f32_e64 s[2:3], v18, v19
	v_cmp_lt_i32_e64 s[6:7], v17, v16
	v_cmp_lt_f32_e32 vcc, v18, v19
	s_and_b64 s[2:3], s[2:3], s[6:7]
	s_or_b64 s[2:3], vcc, s[2:3]
	s_cmp_gt_i32 s36, 0
	s_cselect_b64 s[44:45], -1, 0
	v_cndmask_b32_e64 v24, v18, v19, s[2:3]
	s_and_b64 vcc, exec, s[44:45]
	s_cbranch_vccz .LBB291_18
; %bb.7:
	s_load_dwordx4 s[40:43], s[4:5], 0x20
	v_cndmask_b32_e64 v44, v16, v17, s[2:3]
	v_mul_lo_u32 v20, v22, s39
	v_mul_lo_u32 v18, v22, s8
	v_mul_lo_u32 v16, v22, s36
	v_mov_b32_e32 v23, 0
	s_and_saveexec_b64 s[4:5], s[0:1]
	s_cbranch_execz .LBB291_9
; %bb.8:
	v_sub_f32_e32 v17, v24, v24
	v_mul_f32_e32 v19, 0x3fb8aa3b, v17
	s_mov_b32 s2, 0x3fb8aa3b
	v_rndne_f32_e32 v21, v19
	v_sub_f32_e32 v23, v19, v21
	v_fma_f32 v19, v17, s2, -v19
	v_fmac_f32_e32 v19, 0x32a5705f, v17
	v_add_f32_e32 v19, v23, v19
	v_exp_f32_e32 v19, v19
	v_cvt_i32_f32_e32 v21, v21
	v_cmp_le_i32_e32 vcc, s37, v44
	v_cmp_gt_i32_e64 s[2:3], s38, v44
	s_mov_b32 s6, 0xc2ce8ed0
	s_and_b64 s[2:3], vcc, s[2:3]
	v_ldexp_f32 v19, v19, v21
	v_cmp_ngt_f32_e32 vcc, s6, v17
	s_mov_b32 s6, 0x42b17218
	v_cndmask_b32_e32 v19, 0, v19, vcc
	v_mov_b32_e32 v21, 0x7f800000
	v_cmp_nlt_f32_e32 vcc, s6, v17
	v_cndmask_b32_e32 v23, v21, v19, vcc
	v_ashrrev_i32_e32 v21, 31, v20
	v_lshlrev_b64 v[46:47], 2, v[20:21]
	v_mov_b32_e32 v17, s35
	v_add_co_u32_e32 v46, vcc, s34, v46
	v_addc_co_u32_e32 v47, vcc, v17, v47, vcc
	v_subrev_u32_e32 v17, s37, v44
	v_mov_b32_e32 v19, 0x100
	s_and_b64 vcc, s[46:47], s[2:3]
	v_cndmask_b32_e32 v17, v19, v17, vcc
	v_ashrrev_i32_e32 v19, 31, v18
	global_store_dword v[46:47], v23, off
	v_lshlrev_b64 v[46:47], 2, v[18:19]
	s_waitcnt lgkmcnt(0)
	v_mov_b32_e32 v19, s41
	v_add_co_u32_e32 v46, vcc, s40, v46
	v_addc_co_u32_e32 v47, vcc, v19, v47, vcc
	global_store_dword v[46:47], v17, off
	v_ashrrev_i32_e32 v17, 31, v16
	v_lshlrev_b64 v[46:47], 2, v[16:17]
	v_mov_b32_e32 v17, s43
	v_add_co_u32_e32 v46, vcc, s42, v46
	v_addc_co_u32_e32 v47, vcc, v17, v47, vcc
	global_store_dword v[46:47], v22, off
.LBB291_9:
	s_or_b64 exec, exec, s[4:5]
	v_ashrrev_i32_e32 v17, 31, v44
	v_lshrrev_b32_e32 v19, 28, v17
	v_add_u32_e32 v19, v44, v19
	v_ashrrev_i32_e32 v19, 4, v19
	v_lshrrev_b32_e32 v21, 28, v19
	v_add_u32_e32 v21, v19, v21
	v_and_b32_e32 v21, -16, v21
	v_sub_u32_e32 v21, v19, v21
	v_cmp_eq_u32_e32 vcc, v25, v21
	s_and_saveexec_b64 s[48:49], vcc
	s_cbranch_execz .LBB291_11
; %bb.10:
	v_add_u32_sdwa v17, v44, v17 dst_sel:DWORD dst_unused:UNUSED_PAD src0_sel:DWORD src1_sel:BYTE_3
	v_lshlrev_b32_e32 v19, 4, v19
	v_sub_u32_e32 v19, v44, v19
	v_ashrrev_i32_e32 v17, 8, v17
	v_lshl_add_u32 v17, v17, 4, v19
	v_mov_b32_e32 v19, 0xff800000
	v_cmp_ne_u32_e32 vcc, 14, v17
	v_cmp_ne_u32_e64 s[2:3], 13, v17
	v_cmp_ne_u32_e64 s[4:5], 12, v17
	;; [unrolled: 1-line block ×15, first 2 shown]
	v_cndmask_b32_e64 v15, v19, v15, s[30:31]
	v_cndmask_b32_e32 v14, v19, v14, vcc
	v_cndmask_b32_e64 v13, v19, v13, s[2:3]
	v_cndmask_b32_e64 v12, v19, v12, s[4:5]
	;; [unrolled: 1-line block ×14, first 2 shown]
.LBB291_11:
	s_or_b64 exec, exec, s[48:49]
	s_cmp_eq_u32 s36, 1
	s_cbranch_scc1 .LBB291_18
; %bb.12:
	s_add_i32 s50, s50, s33
	s_add_i32 s51, s36, -1
	v_add3_u32 v42, s50, v43, v42
	v_add_u32_e32 v16, 1, v16
	v_add_u32_e32 v18, 1, v18
	;; [unrolled: 1-line block ×3, first 2 shown]
	s_mov_b32 s50, 0x3fb8aa3b
	s_mov_b32 s52, 0xc2ce8ed0
	s_mov_b32 s53, 0x42b17218
	v_mov_b32_e32 v43, 0x7f800000
	v_mov_b32_e32 v44, 0x100
	;; [unrolled: 1-line block ×3, first 2 shown]
	s_branch .LBB291_14
.LBB291_13:                             ;   in Loop: Header=BB291_14 Depth=1
	s_or_b64 exec, exec, s[48:49]
	s_add_i32 s51, s51, -1
	v_add_u32_e32 v42, s33, v42
	v_add_u32_e32 v16, 1, v16
	v_add_u32_e32 v18, 1, v18
	s_cmp_eq_u32 s51, 0
	v_add_u32_e32 v20, 1, v20
	s_cbranch_scc1 .LBB291_18
.LBB291_14:                             ; =>This Inner Loop Header: Depth=1
	v_cmp_gt_f32_e32 vcc, v1, v0
	v_cndmask_b32_e32 v19, v0, v1, vcc
	v_cndmask_b32_e32 v17, v26, v27, vcc
	v_cmp_gt_f32_e32 vcc, v2, v19
	v_cndmask_b32_e32 v19, v19, v2, vcc
	v_cndmask_b32_e32 v17, v17, v28, vcc
	;; [unrolled: 3-line block ×15, first 2 shown]
	s_nop 0
	v_mov_b32_dpp v46, v17 quad_perm:[1,0,3,2] row_mask:0xf bank_mask:0xf
	v_mov_b32_dpp v21, v19 quad_perm:[1,0,3,2] row_mask:0xf bank_mask:0xf
	v_cmp_eq_f32_e64 s[2:3], v19, v21
	v_cmp_lt_i32_e64 s[4:5], v46, v17
	v_cmp_lt_f32_e32 vcc, v19, v21
	s_and_b64 s[2:3], s[2:3], s[4:5]
	s_or_b64 vcc, vcc, s[2:3]
	v_cndmask_b32_e32 v19, v19, v21, vcc
	v_cndmask_b32_e32 v17, v17, v46, vcc
	s_nop 0
	v_mov_b32_dpp v21, v19 quad_perm:[2,3,0,1] row_mask:0xf bank_mask:0xf
	v_mov_b32_dpp v46, v17 quad_perm:[2,3,0,1] row_mask:0xf bank_mask:0xf
	v_cmp_eq_f32_e64 s[2:3], v19, v21
	v_cmp_lt_i32_e64 s[4:5], v46, v17
	v_cmp_lt_f32_e32 vcc, v19, v21
	s_and_b64 s[2:3], s[2:3], s[4:5]
	s_or_b64 vcc, vcc, s[2:3]
	v_cndmask_b32_e32 v19, v19, v21, vcc
	v_cndmask_b32_e32 v21, v17, v46, vcc
	s_nop 0
	v_mov_b32_dpp v17, v19 row_half_mirror row_mask:0xf bank_mask:0xf
	v_mov_b32_dpp v46, v21 row_half_mirror row_mask:0xf bank_mask:0xf
	v_cmp_eq_f32_e64 s[2:3], v19, v17
	v_cmp_lt_i32_e64 s[4:5], v46, v21
	v_cmp_lt_f32_e32 vcc, v19, v17
	s_and_b64 s[2:3], s[2:3], s[4:5]
	s_or_b64 vcc, vcc, s[2:3]
	v_cndmask_b32_e32 v17, v19, v17, vcc
	v_cndmask_b32_e32 v21, v21, v46, vcc
	s_nop 0
	v_mov_b32_dpp v19, v17 row_mirror row_mask:0xf bank_mask:0xf
	v_mov_b32_dpp v46, v21 row_mirror row_mask:0xf bank_mask:0xf
	v_cmp_eq_f32_e64 s[2:3], v17, v19
	v_cmp_lt_i32_e64 s[4:5], v46, v21
	v_cmp_lt_f32_e32 vcc, v17, v19
	s_and_b64 s[2:3], s[2:3], s[4:5]
	s_or_b64 vcc, vcc, s[2:3]
	v_cndmask_b32_e32 v46, v21, v46, vcc
	s_and_saveexec_b64 s[4:5], s[0:1]
	s_cbranch_execz .LBB291_16
; %bb.15:                               ;   in Loop: Header=BB291_14 Depth=1
	v_cndmask_b32_e32 v17, v17, v19, vcc
	v_sub_f32_e32 v17, v17, v24
	v_mul_f32_e32 v19, 0x3fb8aa3b, v17
	v_fma_f32 v21, v17, s50, -v19
	v_rndne_f32_e32 v47, v19
	v_fmac_f32_e32 v21, 0x32a5705f, v17
	v_sub_f32_e32 v19, v19, v47
	v_add_f32_e32 v19, v19, v21
	v_exp_f32_e32 v19, v19
	v_cvt_i32_f32_e32 v21, v47
	v_cmp_le_i32_e32 vcc, s37, v46
	v_cmp_gt_i32_e64 s[2:3], s38, v46
	s_and_b64 s[2:3], vcc, s[2:3]
	v_ldexp_f32 v19, v19, v21
	v_cmp_ngt_f32_e32 vcc, s52, v17
	v_ashrrev_i32_e32 v21, 31, v20
	v_cndmask_b32_e32 v19, 0, v19, vcc
	v_cmp_nlt_f32_e32 vcc, s53, v17
	v_lshlrev_b64 v[48:49], 2, v[20:21]
	v_cndmask_b32_e32 v47, v43, v19, vcc
	v_mov_b32_e32 v17, s35
	v_add_co_u32_e32 v48, vcc, s34, v48
	v_addc_co_u32_e32 v49, vcc, v17, v49, vcc
	v_ashrrev_i32_e32 v19, 31, v18
	global_store_dword v[48:49], v47, off
	v_subrev_u32_e32 v17, s37, v46
	s_and_b64 vcc, s[46:47], s[2:3]
	v_lshlrev_b64 v[48:49], 2, v[18:19]
	v_cndmask_b32_e32 v17, v44, v17, vcc
	s_waitcnt lgkmcnt(0)
	v_mov_b32_e32 v19, s41
	v_add_co_u32_e32 v48, vcc, s40, v48
	v_addc_co_u32_e32 v49, vcc, v19, v49, vcc
	global_store_dword v[48:49], v17, off
	v_ashrrev_i32_e32 v17, 31, v16
	v_lshlrev_b64 v[48:49], 2, v[16:17]
	v_mov_b32_e32 v17, s43
	v_add_co_u32_e32 v48, vcc, s42, v48
	v_addc_co_u32_e32 v49, vcc, v17, v49, vcc
	v_add_f32_e32 v23, v23, v47
	global_store_dword v[48:49], v42, off
.LBB291_16:                             ;   in Loop: Header=BB291_14 Depth=1
	s_or_b64 exec, exec, s[4:5]
	v_ashrrev_i32_e32 v17, 31, v46
	v_lshrrev_b32_e32 v19, 28, v17
	v_add_u32_e32 v19, v46, v19
	v_ashrrev_i32_e32 v19, 4, v19
	v_lshrrev_b32_e32 v21, 28, v19
	v_add_u32_e32 v21, v19, v21
	v_and_b32_e32 v21, -16, v21
	v_sub_u32_e32 v21, v19, v21
	v_cmp_eq_u32_e32 vcc, v25, v21
	s_and_saveexec_b64 s[48:49], vcc
	s_cbranch_execz .LBB291_13
; %bb.17:                               ;   in Loop: Header=BB291_14 Depth=1
	v_add_u32_sdwa v17, v46, v17 dst_sel:DWORD dst_unused:UNUSED_PAD src0_sel:DWORD src1_sel:BYTE_3
	v_lshlrev_b32_e32 v19, 4, v19
	v_sub_u32_e32 v19, v46, v19
	v_ashrrev_i32_e32 v17, 8, v17
	v_lshl_add_u32 v17, v17, 4, v19
	v_cmp_ne_u32_e32 vcc, 14, v17
	v_cmp_ne_u32_e64 s[2:3], 13, v17
	v_cmp_ne_u32_e64 s[4:5], 12, v17
	v_cmp_ne_u32_e64 s[6:7], 11, v17
	v_cmp_ne_u32_e64 s[8:9], 10, v17
	v_cmp_ne_u32_e64 s[10:11], 9, v17
	v_cmp_ne_u32_e64 s[12:13], 8, v17
	v_cmp_ne_u32_e64 s[14:15], 7, v17
	v_cmp_ne_u32_e64 s[16:17], 6, v17
	v_cmp_ne_u32_e64 s[18:19], 5, v17
	v_cmp_ne_u32_e64 s[20:21], 4, v17
	v_cmp_ne_u32_e64 s[22:23], 3, v17
	v_cmp_ne_u32_e64 s[24:25], 2, v17
	v_cmp_ne_u32_e64 s[26:27], 1, v17
	v_cmp_ne_u32_e64 s[28:29], 0, v17
	v_cmp_ne_u32_e64 s[30:31], 15, v17
	v_cndmask_b32_e64 v15, v45, v15, s[30:31]
	v_cndmask_b32_e32 v14, v45, v14, vcc
	v_cndmask_b32_e64 v13, v45, v13, s[2:3]
	v_cndmask_b32_e64 v12, v45, v12, s[4:5]
	;; [unrolled: 1-line block ×14, first 2 shown]
	s_branch .LBB291_13
.LBB291_18:
	v_sub_f32_e32 v0, v0, v24
	s_mov_b32 s4, 0x3fb8aa3b
	v_mul_f32_e32 v16, 0x3fb8aa3b, v0
	v_fma_f32 v17, v0, s4, -v16
	v_rndne_f32_e32 v18, v16
	v_fmac_f32_e32 v17, 0x32a5705f, v0
	v_sub_f32_e32 v16, v16, v18
	v_add_f32_e32 v16, v16, v17
	v_exp_f32_e32 v16, v16
	v_cvt_i32_f32_e32 v17, v18
	v_sub_f32_e32 v1, v1, v24
	s_mov_b32 s6, 0xc2ce8ed0
	s_mov_b32 s5, 0x42b17218
	v_ldexp_f32 v16, v16, v17
	v_mul_f32_e32 v17, 0x3fb8aa3b, v1
	v_fma_f32 v18, v1, s4, -v17
	v_rndne_f32_e32 v19, v17
	v_fmac_f32_e32 v18, 0x32a5705f, v1
	v_sub_f32_e32 v17, v17, v19
	v_add_f32_e32 v17, v17, v18
	v_exp_f32_e32 v17, v17
	v_cvt_i32_f32_e32 v18, v19
	v_cmp_ngt_f32_e32 vcc, s6, v1
	v_cmp_ngt_f32_e64 s[2:3], s6, v0
	v_sub_f32_e32 v2, v2, v24
	v_ldexp_f32 v17, v17, v18
	v_cndmask_b32_e32 v17, 0, v17, vcc
	v_mov_b32_e32 v18, 0x7f800000
	v_cmp_nlt_f32_e32 vcc, s5, v1
	v_cndmask_b32_e64 v1, 0, v16, s[2:3]
	v_cmp_nlt_f32_e64 s[2:3], s5, v0
	v_cndmask_b32_e64 v0, v18, v1, s[2:3]
	v_cndmask_b32_e32 v1, v18, v17, vcc
	v_add_f32_e32 v0, v0, v1
	v_mul_f32_e32 v1, 0x3fb8aa3b, v2
	v_fma_f32 v16, v2, s4, -v1
	v_rndne_f32_e32 v17, v1
	v_fmac_f32_e32 v16, 0x32a5705f, v2
	v_sub_f32_e32 v1, v1, v17
	v_add_f32_e32 v1, v1, v16
	v_exp_f32_e32 v1, v1
	v_cvt_i32_f32_e32 v16, v17
	v_cmp_ngt_f32_e32 vcc, s6, v2
	v_sub_f32_e32 v3, v3, v24
	v_sub_f32_e32 v4, v4, v24
	v_ldexp_f32 v1, v1, v16
	v_cndmask_b32_e32 v1, 0, v1, vcc
	v_cmp_nlt_f32_e32 vcc, s5, v2
	v_cndmask_b32_e32 v1, v18, v1, vcc
	v_add_f32_e32 v0, v0, v1
	v_mul_f32_e32 v1, 0x3fb8aa3b, v3
	v_fma_f32 v2, v3, s4, -v1
	v_rndne_f32_e32 v16, v1
	v_fmac_f32_e32 v2, 0x32a5705f, v3
	v_sub_f32_e32 v1, v1, v16
	v_add_f32_e32 v1, v1, v2
	v_exp_f32_e32 v1, v1
	v_cvt_i32_f32_e32 v2, v16
	v_cmp_ngt_f32_e32 vcc, s6, v3
	v_sub_f32_e32 v5, v5, v24
	v_sub_f32_e32 v6, v6, v24
	v_ldexp_f32 v1, v1, v2
	v_cndmask_b32_e32 v1, 0, v1, vcc
	v_cmp_nlt_f32_e32 vcc, s5, v3
	;; [unrolled: 16-line block ×4, first 2 shown]
	v_cndmask_b32_e32 v1, v18, v1, vcc
	v_add_f32_e32 v0, v0, v1
	v_mul_f32_e32 v1, 0x3fb8aa3b, v6
	v_fma_f32 v2, v6, s4, -v1
	v_rndne_f32_e32 v3, v1
	v_fmac_f32_e32 v2, 0x32a5705f, v6
	v_sub_f32_e32 v1, v1, v3
	v_add_f32_e32 v1, v1, v2
	v_exp_f32_e32 v1, v1
	v_cvt_i32_f32_e32 v2, v3
	v_cmp_ngt_f32_e32 vcc, s6, v6
	v_sub_f32_e32 v11, v11, v24
	v_sub_f32_e32 v12, v12, v24
	v_ldexp_f32 v1, v1, v2
	v_mul_f32_e32 v2, 0x3fb8aa3b, v7
	v_fma_f32 v3, v7, s4, -v2
	v_rndne_f32_e32 v4, v2
	v_fmac_f32_e32 v3, 0x32a5705f, v7
	v_sub_f32_e32 v2, v2, v4
	v_add_f32_e32 v2, v2, v3
	v_exp_f32_e32 v2, v2
	v_cvt_i32_f32_e32 v3, v4
	v_cndmask_b32_e32 v1, 0, v1, vcc
	v_cmp_nlt_f32_e32 vcc, s5, v6
	v_cndmask_b32_e32 v1, v18, v1, vcc
	v_add_f32_e32 v0, v0, v1
	v_ldexp_f32 v1, v2, v3
	v_mul_f32_e32 v2, 0x3fb8aa3b, v8
	v_fma_f32 v3, v8, s4, -v2
	v_rndne_f32_e32 v4, v2
	v_fmac_f32_e32 v3, 0x32a5705f, v8
	v_sub_f32_e32 v2, v2, v4
	v_add_f32_e32 v2, v2, v3
	v_exp_f32_e32 v2, v2
	v_cvt_i32_f32_e32 v3, v4
	v_cmp_ngt_f32_e32 vcc, s6, v7
	v_cndmask_b32_e32 v1, 0, v1, vcc
	v_cmp_nlt_f32_e32 vcc, s5, v7
	v_cndmask_b32_e32 v1, v18, v1, vcc
	v_add_f32_e32 v0, v0, v1
	v_ldexp_f32 v1, v2, v3
	v_mul_f32_e32 v2, 0x3fb8aa3b, v9
	v_fma_f32 v3, v9, s4, -v2
	v_rndne_f32_e32 v4, v2
	v_fmac_f32_e32 v3, 0x32a5705f, v9
	v_sub_f32_e32 v2, v2, v4
	v_add_f32_e32 v2, v2, v3
	v_exp_f32_e32 v2, v2
	v_cvt_i32_f32_e32 v3, v4
	v_cmp_ngt_f32_e32 vcc, s6, v8
	;; [unrolled: 14-line block ×5, first 2 shown]
	v_cndmask_b32_e32 v1, 0, v1, vcc
	v_cmp_nlt_f32_e32 vcc, s5, v11
	v_cndmask_b32_e32 v1, v18, v1, vcc
	v_add_f32_e32 v0, v0, v1
	v_ldexp_f32 v1, v2, v3
	v_sub_f32_e32 v2, v13, v24
	v_mul_f32_e32 v3, 0x3fb8aa3b, v2
	v_fma_f32 v4, v2, s4, -v3
	v_rndne_f32_e32 v5, v3
	v_fmac_f32_e32 v4, 0x32a5705f, v2
	v_sub_f32_e32 v3, v3, v5
	v_add_f32_e32 v3, v3, v4
	v_exp_f32_e32 v3, v3
	v_cvt_i32_f32_e32 v4, v5
	v_cmp_ngt_f32_e32 vcc, s6, v12
	v_cndmask_b32_e32 v1, 0, v1, vcc
	v_cmp_nlt_f32_e32 vcc, s5, v12
	v_cndmask_b32_e32 v1, v18, v1, vcc
	v_add_f32_e32 v0, v0, v1
	v_ldexp_f32 v1, v3, v4
	v_sub_f32_e32 v3, v14, v24
	v_mul_f32_e32 v4, 0x3fb8aa3b, v3
	v_fma_f32 v5, v3, s4, -v4
	v_rndne_f32_e32 v6, v4
	v_fmac_f32_e32 v5, 0x32a5705f, v3
	v_sub_f32_e32 v4, v4, v6
	v_add_f32_e32 v4, v4, v5
	v_exp_f32_e32 v4, v4
	v_cvt_i32_f32_e32 v5, v6
	v_cmp_ngt_f32_e32 vcc, s6, v2
	v_cndmask_b32_e32 v1, 0, v1, vcc
	v_cmp_nlt_f32_e32 vcc, s5, v2
	v_cndmask_b32_e32 v1, v18, v1, vcc
	v_sub_f32_e32 v2, v15, v24
	v_add_f32_e32 v0, v0, v1
	v_ldexp_f32 v1, v4, v5
	v_mul_f32_e32 v4, 0x3fb8aa3b, v2
	v_fma_f32 v5, v2, s4, -v4
	v_rndne_f32_e32 v6, v4
	v_fmac_f32_e32 v5, 0x32a5705f, v2
	v_sub_f32_e32 v4, v4, v6
	v_add_f32_e32 v4, v4, v5
	v_exp_f32_e32 v4, v4
	v_cvt_i32_f32_e32 v5, v6
	v_cmp_ngt_f32_e32 vcc, s6, v3
	v_cndmask_b32_e32 v1, 0, v1, vcc
	v_cmp_nlt_f32_e32 vcc, s5, v3
	v_cndmask_b32_e32 v1, v18, v1, vcc
	v_add_f32_e32 v0, v0, v1
	v_ldexp_f32 v1, v4, v5
	v_cmp_ngt_f32_e32 vcc, s6, v2
	v_cndmask_b32_e32 v1, 0, v1, vcc
	v_cmp_nlt_f32_e32 vcc, s5, v2
	v_cndmask_b32_e32 v1, v18, v1, vcc
	v_add_f32_e32 v0, v0, v1
	s_nop 1
	v_mov_b32_dpp v1, v0 quad_perm:[1,0,3,2] row_mask:0xf bank_mask:0xf
	v_add_f32_e32 v0, v0, v1
	s_nop 1
	v_mov_b32_dpp v1, v0 quad_perm:[2,3,0,1] row_mask:0xf bank_mask:0xf
	v_add_f32_e32 v0, v0, v1
	s_nop 1
	v_mov_b32_dpp v1, v0 row_half_mirror row_mask:0xf bank_mask:0xf
	v_add_f32_e32 v0, v0, v1
	s_nop 1
	v_mov_b32_dpp v1, v0 row_mirror row_mask:0xf bank_mask:0xf
	s_and_b64 exec, exec, s[0:1]
	s_cbranch_execz .LBB291_31
; %bb.19:
	v_add_f32_e32 v0, v0, v1
	v_add_f32_e32 v0, v23, v0
	v_cmp_neq_f32_e32 vcc, 0, v0
	s_and_b64 exec, exec, vcc
	s_cbranch_execz .LBB291_31
; %bb.20:
	s_andn2_b64 vcc, exec, s[44:45]
	s_cbranch_vccnz .LBB291_31
; %bb.21:
	v_div_scale_f32 v1, s[0:1], v0, v0, 1.0
	v_rcp_f32_e32 v2, v1
	v_div_scale_f32 v3, vcc, 1.0, v0, 1.0
	s_cmp_gt_u32 s36, 3
	v_fma_f32 v4, -v1, v2, 1.0
	v_fmac_f32_e32 v2, v4, v2
	v_mul_f32_e32 v4, v3, v2
	v_fma_f32 v5, -v1, v4, v3
	v_fmac_f32_e32 v4, v5, v2
	v_fma_f32 v1, -v1, v4, v3
	v_div_fmas_f32 v1, v1, v2, v4
	v_mul_lo_u32 v2, v22, s39
	v_div_fixup_f32 v0, v1, v0, 1.0
	v_ashrrev_i32_e32 v3, 31, v2
	s_cbranch_scc0 .LBB291_25
; %bb.22:
	v_lshlrev_b64 v[4:5], 2, v[2:3]
	v_mov_b32_e32 v6, s35
	v_add_co_u32_e32 v4, vcc, s34, v4
	v_addc_co_u32_e32 v5, vcc, v5, v6, vcc
	s_and_b32 s4, s36, 0x7ffffffc
	v_add_co_u32_e32 v4, vcc, 8, v4
	v_mov_b32_e32 v1, v0
	v_addc_co_u32_e32 v5, vcc, 0, v5, vcc
	s_mov_b32 s0, s4
.LBB291_23:                             ; =>This Inner Loop Header: Depth=1
	global_load_dwordx4 v[6:9], v[4:5], off offset:-8
	s_add_i32 s0, s0, -4
	s_cmp_lg_u32 s0, 0
	s_waitcnt vmcnt(0)
	v_pk_mul_f32 v[6:7], v[0:1], v[6:7]
	v_pk_mul_f32 v[8:9], v[0:1], v[8:9]
	global_store_dwordx4 v[4:5], v[6:9], off offset:-8
	v_add_co_u32_e32 v4, vcc, 16, v4
	v_addc_co_u32_e32 v5, vcc, 0, v5, vcc
	s_cbranch_scc1 .LBB291_23
; %bb.24:
	s_cmp_lg_u32 s4, s36
	s_mov_b64 s[2:3], 0
	s_cselect_b64 s[0:1], -1, 0
	s_branch .LBB291_26
.LBB291_25:
	s_mov_b64 s[2:3], -1
	s_mov_b64 s[0:1], 0
                                        ; implicit-def: $sgpr4
.LBB291_26:
	s_and_b64 vcc, exec, s[2:3]
	s_cbranch_vccz .LBB291_28
; %bb.27:
	s_mov_b64 s[0:1], -1
	s_mov_b32 s4, 0
.LBB291_28:
	s_andn2_b64 vcc, exec, s[0:1]
	s_cbranch_vccnz .LBB291_31
; %bb.29:
	v_add_co_u32_e32 v2, vcc, s4, v2
	v_addc_co_u32_e32 v3, vcc, 0, v3, vcc
	v_lshlrev_b64 v[2:3], 2, v[2:3]
	v_mov_b32_e32 v1, s35
	v_add_co_u32_e32 v2, vcc, s34, v2
	s_sub_i32 s0, s36, s4
	v_addc_co_u32_e32 v3, vcc, v1, v3, vcc
.LBB291_30:                             ; =>This Inner Loop Header: Depth=1
	global_load_dword v1, v[2:3], off
	s_add_i32 s0, s0, -1
	s_cmp_lg_u32 s0, 0
	s_waitcnt vmcnt(0)
	v_mul_f32_e32 v1, v0, v1
	global_store_dword v[2:3], v1, off
	v_add_co_u32_e32 v2, vcc, 4, v2
	v_addc_co_u32_e32 v3, vcc, 0, v3, vcc
	s_cbranch_scc1 .LBB291_30
.LBB291_31:
	s_endpgm
	.section	.rodata,"a",@progbits
	.p2align	6, 0x0
	.amdhsa_kernel _ZN4vllm3moe17topkGatingSoftmaxItLi16ELi256ELi8ELi32ELb0ELi1ELNS0_23SharedExpertScoringFuncE1EEEvPKT_PKbPfiPiS9_iiiiii
		.amdhsa_group_segment_fixed_size 0
		.amdhsa_private_segment_fixed_size 0
		.amdhsa_kernarg_size 72
		.amdhsa_user_sgpr_count 6
		.amdhsa_user_sgpr_private_segment_buffer 1
		.amdhsa_user_sgpr_dispatch_ptr 0
		.amdhsa_user_sgpr_queue_ptr 0
		.amdhsa_user_sgpr_kernarg_segment_ptr 1
		.amdhsa_user_sgpr_dispatch_id 0
		.amdhsa_user_sgpr_flat_scratch_init 0
		.amdhsa_user_sgpr_kernarg_preload_length 0
		.amdhsa_user_sgpr_kernarg_preload_offset 0
		.amdhsa_user_sgpr_private_segment_size 0
		.amdhsa_uses_dynamic_stack 0
		.amdhsa_system_sgpr_private_segment_wavefront_offset 0
		.amdhsa_system_sgpr_workgroup_id_x 1
		.amdhsa_system_sgpr_workgroup_id_y 0
		.amdhsa_system_sgpr_workgroup_id_z 0
		.amdhsa_system_sgpr_workgroup_info 0
		.amdhsa_system_vgpr_workitem_id 1
		.amdhsa_next_free_vgpr 50
		.amdhsa_next_free_sgpr 54
		.amdhsa_accum_offset 52
		.amdhsa_reserve_vcc 1
		.amdhsa_reserve_flat_scratch 0
		.amdhsa_float_round_mode_32 0
		.amdhsa_float_round_mode_16_64 0
		.amdhsa_float_denorm_mode_32 3
		.amdhsa_float_denorm_mode_16_64 3
		.amdhsa_dx10_clamp 1
		.amdhsa_ieee_mode 1
		.amdhsa_fp16_overflow 0
		.amdhsa_tg_split 0
		.amdhsa_exception_fp_ieee_invalid_op 0
		.amdhsa_exception_fp_denorm_src 0
		.amdhsa_exception_fp_ieee_div_zero 0
		.amdhsa_exception_fp_ieee_overflow 0
		.amdhsa_exception_fp_ieee_underflow 0
		.amdhsa_exception_fp_ieee_inexact 0
		.amdhsa_exception_int_div_zero 0
	.end_amdhsa_kernel
	.section	.text._ZN4vllm3moe17topkGatingSoftmaxItLi16ELi256ELi8ELi32ELb0ELi1ELNS0_23SharedExpertScoringFuncE1EEEvPKT_PKbPfiPiS9_iiiiii,"axG",@progbits,_ZN4vllm3moe17topkGatingSoftmaxItLi16ELi256ELi8ELi32ELb0ELi1ELNS0_23SharedExpertScoringFuncE1EEEvPKT_PKbPfiPiS9_iiiiii,comdat
.Lfunc_end291:
	.size	_ZN4vllm3moe17topkGatingSoftmaxItLi16ELi256ELi8ELi32ELb0ELi1ELNS0_23SharedExpertScoringFuncE1EEEvPKT_PKbPfiPiS9_iiiiii, .Lfunc_end291-_ZN4vllm3moe17topkGatingSoftmaxItLi16ELi256ELi8ELi32ELb0ELi1ELNS0_23SharedExpertScoringFuncE1EEEvPKT_PKbPfiPiS9_iiiiii
                                        ; -- End function
	.section	.AMDGPU.csdata,"",@progbits
; Kernel info:
; codeLenInByte = 4468
; NumSgprs: 58
; NumVgprs: 50
; NumAgprs: 0
; TotalNumVgprs: 50
; ScratchSize: 0
; MemoryBound: 0
; FloatMode: 240
; IeeeMode: 1
; LDSByteSize: 0 bytes/workgroup (compile time only)
; SGPRBlocks: 7
; VGPRBlocks: 6
; NumSGPRsForWavesPerEU: 58
; NumVGPRsForWavesPerEU: 50
; AccumOffset: 52
; Occupancy: 8
; WaveLimiterHint : 0
; COMPUTE_PGM_RSRC2:SCRATCH_EN: 0
; COMPUTE_PGM_RSRC2:USER_SGPR: 6
; COMPUTE_PGM_RSRC2:TRAP_HANDLER: 0
; COMPUTE_PGM_RSRC2:TGID_X_EN: 1
; COMPUTE_PGM_RSRC2:TGID_Y_EN: 0
; COMPUTE_PGM_RSRC2:TGID_Z_EN: 0
; COMPUTE_PGM_RSRC2:TIDIG_COMP_CNT: 1
; COMPUTE_PGM_RSRC3_GFX90A:ACCUM_OFFSET: 12
; COMPUTE_PGM_RSRC3_GFX90A:TG_SPLIT: 0
	.section	.text._ZN4vllm3moe17topkGatingSoftmaxItLi16ELi256ELi8ELi32ELb1ELi2ELNS0_23SharedExpertScoringFuncE1EEEvPKT_PKbPfiPiS9_iiiiii,"axG",@progbits,_ZN4vllm3moe17topkGatingSoftmaxItLi16ELi256ELi8ELi32ELb1ELi2ELNS0_23SharedExpertScoringFuncE1EEEvPKT_PKbPfiPiS9_iiiiii,comdat
	.protected	_ZN4vllm3moe17topkGatingSoftmaxItLi16ELi256ELi8ELi32ELb1ELi2ELNS0_23SharedExpertScoringFuncE1EEEvPKT_PKbPfiPiS9_iiiiii ; -- Begin function _ZN4vllm3moe17topkGatingSoftmaxItLi16ELi256ELi8ELi32ELb1ELi2ELNS0_23SharedExpertScoringFuncE1EEEvPKT_PKbPfiPiS9_iiiiii
	.globl	_ZN4vllm3moe17topkGatingSoftmaxItLi16ELi256ELi8ELi32ELb1ELi2ELNS0_23SharedExpertScoringFuncE1EEEvPKT_PKbPfiPiS9_iiiiii
	.p2align	8
	.type	_ZN4vllm3moe17topkGatingSoftmaxItLi16ELi256ELi8ELi32ELb1ELi2ELNS0_23SharedExpertScoringFuncE1EEEvPKT_PKbPfiPiS9_iiiiii,@function
_ZN4vllm3moe17topkGatingSoftmaxItLi16ELi256ELi8ELi32ELb1ELi2ELNS0_23SharedExpertScoringFuncE1EEEvPKT_PKbPfiPiS9_iiiiii: ; @_ZN4vllm3moe17topkGatingSoftmaxItLi16ELi256ELi8ELi32ELb1ELi2ELNS0_23SharedExpertScoringFuncE1EEEvPKT_PKbPfiPiS9_iiiiii
; %bb.0:
	s_load_dword s33, s[4:5], 0x18
	v_bfe_u32 v1, v0, 10, 10
	v_and_b32_e32 v0, 0x3ff, v0
	s_lshl_b32 s50, s6, 5
	v_lshlrev_b32_e32 v41, 2, v1
	v_lshrrev_b32_e32 v42, 4, v0
	v_add3_u32 v22, s50, v41, v42
	s_waitcnt lgkmcnt(0)
	v_cmp_gt_i32_e32 vcc, s33, v22
	s_and_saveexec_b64 s[0:1], vcc
	s_cbranch_execz .LBB292_29
; %bb.1:
	s_load_dwordx4 s[0:3], s[4:5], 0x0
	s_load_dwordx2 s[34:35], s[4:5], 0x10
	s_waitcnt lgkmcnt(0)
	s_cmp_eq_u64 s[2:3], 0
	s_cbranch_scc1 .LBB292_3
; %bb.2:
	v_ashrrev_i32_e32 v1, 31, v22
	v_mov_b32_e32 v3, s3
	v_add_co_u32_e32 v2, vcc, s2, v22
	v_addc_co_u32_e32 v3, vcc, v3, v1, vcc
	global_load_ubyte v1, v[2:3], off
	s_waitcnt vmcnt(0)
	v_and_b32_e32 v1, 1, v1
	v_cmp_eq_u32_e32 vcc, 1, v1
	s_xor_b64 s[2:3], vcc, -1
	s_orn2_b64 s[44:45], s[2:3], exec
	s_branch .LBB292_4
.LBB292_3:
	s_mov_b64 s[44:45], -1
.LBB292_4:
	s_load_dwordx2 s[8:9], s[4:5], 0x40
	s_load_dwordx4 s[36:39], s[4:5], 0x30
	v_mov_b32_e32 v4, s1
	v_and_b32_e32 v23, 15, v0
	v_lshlrev_b32_e32 v0, 5, v23
	s_waitcnt lgkmcnt(0)
	v_mul_lo_u32 v2, v22, s9
	v_ashrrev_i32_e32 v3, 31, v2
	v_lshlrev_b64 v[2:3], 1, v[2:3]
	v_add_co_u32_e32 v1, vcc, s0, v2
	v_addc_co_u32_e32 v2, vcc, v4, v3, vcc
	v_add_co_u32_e32 v8, vcc, v1, v0
	v_addc_co_u32_e32 v9, vcc, 0, v2, vcc
	global_load_dwordx4 v[12:15], v[8:9], off offset:16
	global_load_dwordx4 v[4:7], v[8:9], off
	v_lshlrev_b32_e32 v25, 4, v23
	v_mov_b32_e32 v24, 0
	v_cmp_gt_u32_e32 vcc, 2, v23
	s_and_saveexec_b64 s[0:1], vcc
	s_cbranch_execz .LBB292_6
; %bb.5:
	v_lshlrev_b32_e32 v0, 1, v23
	v_add_co_u32_e32 v0, vcc, v1, v0
	v_addc_co_u32_e32 v1, vcc, 0, v2, vcc
	global_load_ushort v0, v[0:1], off offset:512
	s_mov_b32 s2, 0xbfb8aa3b
	s_mov_b32 s3, 0x42ce8ed0
	;; [unrolled: 1-line block ×3, first 2 shown]
	v_mov_b32_e32 v3, 0x7f800000
	v_mul_lo_u32 v1, v22, s39
	v_mov_b32_e32 v10, s35
	s_waitcnt vmcnt(0)
	v_cvt_f32_u32_e32 v2, v0
	v_mul_f32_e32 v0, 0xbfb8aa3b, v2
	v_fma_f32 v8, v2, s2, -v0
	v_rndne_f32_e32 v9, v0
	v_fmac_f32_e32 v8, 0xb2a5705f, v2
	v_sub_f32_e32 v0, v0, v9
	v_add_f32_e32 v0, v0, v8
	v_cvt_i32_f32_e32 v9, v9
	v_exp_f32_e32 v8, v0
	v_cmp_nlt_f32_e32 vcc, s3, v2
	v_add3_u32 v0, v1, s36, v23
	v_ashrrev_i32_e32 v1, 31, v0
	v_ldexp_f32 v8, v8, v9
	v_cndmask_b32_e32 v8, 0, v8, vcc
	v_cmp_ngt_f32_e32 vcc, s6, v2
	v_cndmask_b32_e32 v2, v3, v8, vcc
	v_add_f32_e32 v2, 1.0, v2
	v_div_scale_f32 v3, s[2:3], v2, v2, 1.0
	v_rcp_f32_e32 v8, v3
	v_div_scale_f32 v9, vcc, 1.0, v2, 1.0
	v_lshlrev_b64 v[0:1], 2, v[0:1]
	v_fma_f32 v11, -v3, v8, 1.0
	v_fmac_f32_e32 v8, v11, v8
	v_mul_f32_e32 v11, v9, v8
	v_fma_f32 v16, -v3, v11, v9
	v_fmac_f32_e32 v11, v16, v8
	v_fma_f32 v3, -v3, v11, v9
	v_div_fmas_f32 v3, v3, v8, v11
	v_add_co_u32_e32 v0, vcc, s34, v0
	v_div_fixup_f32 v2, v3, v2, 1.0
	v_addc_co_u32_e32 v1, vcc, v10, v1, vcc
	global_store_dword v[0:1], v2, off
.LBB292_6:
	s_or_b64 exec, exec, s[0:1]
	s_waitcnt vmcnt(0)
	v_cvt_f32_u32_sdwa v1, v4 dst_sel:DWORD dst_unused:UNUSED_PAD src0_sel:WORD_1
	v_cvt_f32_u32_sdwa v0, v4 dst_sel:DWORD dst_unused:UNUSED_PAD src0_sel:WORD_0
	v_cvt_f32_u32_sdwa v2, v5 dst_sel:DWORD dst_unused:UNUSED_PAD src0_sel:WORD_0
	v_or_b32_e32 v26, 1, v25
	v_or_b32_e32 v27, 2, v25
	v_cmp_lt_f32_e32 vcc, v0, v1
	v_cndmask_b32_e32 v4, v0, v1, vcc
	v_cndmask_b32_e32 v3, v25, v26, vcc
	v_cmp_lt_f32_e32 vcc, v4, v2
	v_cndmask_b32_e32 v8, v3, v27, vcc
	v_cvt_f32_u32_sdwa v3, v5 dst_sel:DWORD dst_unused:UNUSED_PAD src0_sel:WORD_1
	v_cndmask_b32_e32 v4, v4, v2, vcc
	v_or_b32_e32 v28, 3, v25
	v_or_b32_e32 v29, 4, v25
	v_cmp_lt_f32_e32 vcc, v4, v3
	v_cndmask_b32_e32 v5, v8, v28, vcc
	v_cndmask_b32_e32 v8, v4, v3, vcc
	v_cvt_f32_u32_sdwa v4, v6 dst_sel:DWORD dst_unused:UNUSED_PAD src0_sel:WORD_0
	v_or_b32_e32 v30, 5, v25
	v_or_b32_e32 v31, 6, v25
	;; [unrolled: 1-line block ×3, first 2 shown]
	v_cmp_lt_f32_e32 vcc, v8, v4
	v_cndmask_b32_e32 v9, v5, v29, vcc
	v_cvt_f32_u32_sdwa v5, v6 dst_sel:DWORD dst_unused:UNUSED_PAD src0_sel:WORD_1
	v_cvt_f32_u32_sdwa v6, v7 dst_sel:DWORD dst_unused:UNUSED_PAD src0_sel:WORD_0
	v_cndmask_b32_e32 v8, v8, v4, vcc
	v_cvt_f32_u32_sdwa v7, v7 dst_sel:DWORD dst_unused:UNUSED_PAD src0_sel:WORD_1
	v_cmp_lt_f32_e32 vcc, v8, v5
	v_cndmask_b32_e32 v8, v8, v5, vcc
	v_cndmask_b32_e32 v9, v9, v30, vcc
	v_cmp_lt_f32_e32 vcc, v8, v6
	v_cndmask_b32_e32 v8, v8, v6, vcc
	v_cndmask_b32_e32 v9, v9, v31, vcc
	v_cmp_lt_f32_e32 vcc, v8, v7
	v_cndmask_b32_e32 v10, v8, v7, vcc
	v_cvt_f32_u32_sdwa v8, v12 dst_sel:DWORD dst_unused:UNUSED_PAD src0_sel:WORD_0
	v_cndmask_b32_e32 v9, v9, v32, vcc
	v_or_b32_e32 v33, 8, v25
	v_or_b32_e32 v34, 9, v25
	v_cmp_lt_f32_e32 vcc, v10, v8
	v_cndmask_b32_e32 v11, v9, v33, vcc
	v_cvt_f32_u32_sdwa v9, v12 dst_sel:DWORD dst_unused:UNUSED_PAD src0_sel:WORD_1
	v_cndmask_b32_e32 v10, v10, v8, vcc
	v_or_b32_e32 v35, 10, v25
	v_or_b32_e32 v36, 11, v25
	v_cmp_lt_f32_e32 vcc, v10, v9
	v_cndmask_b32_e32 v12, v10, v9, vcc
	v_cvt_f32_u32_sdwa v10, v13 dst_sel:DWORD dst_unused:UNUSED_PAD src0_sel:WORD_0
	v_cndmask_b32_e32 v11, v11, v34, vcc
	v_or_b32_e32 v37, 12, v25
	v_or_b32_e32 v38, 13, v25
	v_cmp_lt_f32_e32 vcc, v12, v10
	v_cndmask_b32_e32 v16, v11, v35, vcc
	v_cvt_f32_u32_sdwa v11, v13 dst_sel:DWORD dst_unused:UNUSED_PAD src0_sel:WORD_1
	v_cndmask_b32_e32 v12, v12, v10, vcc
	v_or_b32_e32 v39, 14, v25
	v_or_b32_e32 v40, 15, v25
	v_cmp_lt_f32_e32 vcc, v12, v11
	v_cndmask_b32_e32 v13, v16, v36, vcc
	v_cndmask_b32_e32 v16, v12, v11, vcc
	v_cvt_f32_u32_sdwa v12, v14 dst_sel:DWORD dst_unused:UNUSED_PAD src0_sel:WORD_0
	v_cmp_lt_f32_e32 vcc, v16, v12
	v_cndmask_b32_e32 v17, v13, v37, vcc
	v_cvt_f32_u32_sdwa v13, v14 dst_sel:DWORD dst_unused:UNUSED_PAD src0_sel:WORD_1
	v_cvt_f32_u32_sdwa v14, v15 dst_sel:DWORD dst_unused:UNUSED_PAD src0_sel:WORD_0
	v_cndmask_b32_e32 v16, v16, v12, vcc
	v_cvt_f32_u32_sdwa v15, v15 dst_sel:DWORD dst_unused:UNUSED_PAD src0_sel:WORD_1
	v_cmp_lt_f32_e32 vcc, v16, v13
	v_cndmask_b32_e32 v16, v16, v13, vcc
	v_cndmask_b32_e32 v17, v17, v38, vcc
	v_cmp_lt_f32_e32 vcc, v16, v14
	v_cndmask_b32_e32 v16, v16, v14, vcc
	v_cndmask_b32_e32 v17, v17, v39, vcc
	;; [unrolled: 3-line block ×3, first 2 shown]
	s_nop 0
	v_mov_b32_dpp v19, v17 quad_perm:[1,0,3,2] row_mask:0xf bank_mask:0xf
	v_mov_b32_dpp v18, v16 quad_perm:[1,0,3,2] row_mask:0xf bank_mask:0xf
	v_cmp_eq_f32_e64 s[0:1], v16, v18
	v_cmp_lt_i32_e64 s[2:3], v19, v17
	v_cmp_lt_f32_e32 vcc, v16, v18
	s_and_b64 s[0:1], s[0:1], s[2:3]
	s_or_b64 vcc, vcc, s[0:1]
	v_cndmask_b32_e32 v16, v16, v18, vcc
	v_cndmask_b32_e32 v17, v17, v19, vcc
	s_nop 0
	v_mov_b32_dpp v18, v16 quad_perm:[2,3,0,1] row_mask:0xf bank_mask:0xf
	v_mov_b32_dpp v19, v17 quad_perm:[2,3,0,1] row_mask:0xf bank_mask:0xf
	v_cmp_eq_f32_e64 s[0:1], v16, v18
	v_cmp_lt_i32_e64 s[2:3], v19, v17
	v_cmp_lt_f32_e32 vcc, v16, v18
	s_and_b64 s[0:1], s[0:1], s[2:3]
	s_or_b64 vcc, vcc, s[0:1]
	v_cndmask_b32_e32 v16, v16, v18, vcc
	v_cndmask_b32_e32 v17, v17, v19, vcc
	s_nop 0
	v_mov_b32_dpp v18, v16 row_half_mirror row_mask:0xf bank_mask:0xf
	v_mov_b32_dpp v19, v17 row_half_mirror row_mask:0xf bank_mask:0xf
	v_cmp_eq_f32_e64 s[0:1], v16, v18
	v_cmp_lt_i32_e64 s[2:3], v19, v17
	v_cmp_lt_f32_e32 vcc, v16, v18
	s_and_b64 s[0:1], s[0:1], s[2:3]
	s_or_b64 vcc, vcc, s[0:1]
	v_cndmask_b32_e32 v16, v16, v18, vcc
	v_cndmask_b32_e32 v17, v17, v19, vcc
	s_cmp_gt_i32 s36, 0
	s_cselect_b64 s[46:47], -1, 0
	s_cmp_lt_i32 s36, 1
	v_cmp_eq_u32_e32 vcc, 0, v23
	v_mov_b32_dpp v18, v17 row_mirror row_mask:0xf bank_mask:0xf
	v_mov_b32_dpp v19, v16 row_mirror row_mask:0xf bank_mask:0xf
	s_cbranch_scc1 .LBB292_18
; %bb.7:
	s_load_dwordx4 s[40:43], s[4:5], 0x20
	v_cmp_eq_f32_e64 s[2:3], v16, v19
	v_cmp_lt_i32_e64 s[6:7], v18, v17
	v_cmp_lt_f32_e64 s[0:1], v16, v19
	s_and_b64 s[2:3], s[2:3], s[6:7]
	s_or_b64 s[0:1], s[0:1], s[2:3]
	v_cndmask_b32_e64 v44, v17, v18, s[0:1]
	v_cndmask_b32_e64 v43, v16, v19, s[0:1]
	v_mul_lo_u32 v20, v22, s39
	v_mul_lo_u32 v18, v22, s8
	;; [unrolled: 1-line block ×3, first 2 shown]
	v_mov_b32_e32 v24, 0
	s_and_saveexec_b64 s[4:5], vcc
	s_cbranch_execz .LBB292_9
; %bb.8:
	v_sub_f32_e32 v17, v43, v43
	v_mul_f32_e32 v19, 0x3fb8aa3b, v17
	s_mov_b32 s0, 0x3fb8aa3b
	v_rndne_f32_e32 v21, v19
	v_sub_f32_e32 v24, v19, v21
	v_fma_f32 v19, v17, s0, -v19
	v_fmac_f32_e32 v19, 0x32a5705f, v17
	v_add_f32_e32 v19, v24, v19
	v_exp_f32_e32 v19, v19
	v_cvt_i32_f32_e32 v21, v21
	v_cmp_le_i32_e64 s[0:1], s37, v44
	v_cmp_gt_i32_e64 s[2:3], s38, v44
	s_and_b64 s[2:3], s[0:1], s[2:3]
	s_mov_b32 s0, 0xc2ce8ed0
	v_ldexp_f32 v19, v19, v21
	v_cmp_ngt_f32_e64 s[0:1], s0, v17
	v_cndmask_b32_e64 v19, 0, v19, s[0:1]
	s_mov_b32 s0, 0x42b17218
	v_mov_b32_e32 v21, 0x7f800000
	v_cmp_nlt_f32_e64 s[0:1], s0, v17
	v_cndmask_b32_e64 v24, v21, v19, s[0:1]
	v_ashrrev_i32_e32 v21, 31, v20
	v_lshlrev_b64 v[46:47], 2, v[20:21]
	v_mov_b32_e32 v17, s35
	v_add_co_u32_e64 v46, s[0:1], s34, v46
	v_addc_co_u32_e64 v47, s[0:1], v17, v47, s[0:1]
	v_subrev_u32_e32 v17, s37, v44
	v_mov_b32_e32 v19, 0x100
	s_and_b64 s[0:1], s[44:45], s[2:3]
	v_cndmask_b32_e64 v17, v19, v17, s[0:1]
	v_ashrrev_i32_e32 v19, 31, v18
	global_store_dword v[46:47], v24, off
	v_lshlrev_b64 v[46:47], 2, v[18:19]
	s_waitcnt lgkmcnt(0)
	v_mov_b32_e32 v19, s41
	v_add_co_u32_e64 v46, s[0:1], s40, v46
	v_addc_co_u32_e64 v47, s[0:1], v19, v47, s[0:1]
	global_store_dword v[46:47], v17, off
	v_ashrrev_i32_e32 v17, 31, v16
	v_lshlrev_b64 v[46:47], 2, v[16:17]
	v_mov_b32_e32 v17, s43
	v_add_co_u32_e64 v46, s[0:1], s42, v46
	v_addc_co_u32_e64 v47, s[0:1], v17, v47, s[0:1]
	global_store_dword v[46:47], v22, off
.LBB292_9:
	s_or_b64 exec, exec, s[4:5]
	v_ashrrev_i32_e32 v17, 31, v44
	v_lshrrev_b32_e32 v19, 28, v17
	v_add_u32_e32 v19, v44, v19
	v_ashrrev_i32_e32 v19, 4, v19
	v_lshrrev_b32_e32 v21, 28, v19
	v_add_u32_e32 v21, v19, v21
	v_and_b32_e32 v21, -16, v21
	v_sub_u32_e32 v21, v19, v21
	v_cmp_eq_u32_e64 s[0:1], v23, v21
	s_and_saveexec_b64 s[48:49], s[0:1]
	s_cbranch_execz .LBB292_11
; %bb.10:
	v_add_u32_sdwa v17, v44, v17 dst_sel:DWORD dst_unused:UNUSED_PAD src0_sel:DWORD src1_sel:BYTE_3
	v_lshlrev_b32_e32 v19, 4, v19
	v_sub_u32_e32 v19, v44, v19
	v_ashrrev_i32_e32 v17, 8, v17
	v_lshl_add_u32 v17, v17, 4, v19
	v_mov_b32_e32 v19, 0xff800000
	v_cmp_ne_u32_e64 s[0:1], 14, v17
	v_cmp_ne_u32_e64 s[2:3], 13, v17
	;; [unrolled: 1-line block ×16, first 2 shown]
	v_cndmask_b32_e64 v15, v19, v15, s[30:31]
	v_cndmask_b32_e64 v14, v19, v14, s[0:1]
	;; [unrolled: 1-line block ×16, first 2 shown]
.LBB292_11:
	s_or_b64 exec, exec, s[48:49]
	s_cmp_eq_u32 s36, 1
	s_cbranch_scc1 .LBB292_18
; %bb.12:
	s_add_i32 s50, s50, s33
	s_add_i32 s51, s36, -1
	v_add3_u32 v41, s50, v42, v41
	v_add_u32_e32 v16, 1, v16
	v_add_u32_e32 v18, 1, v18
	;; [unrolled: 1-line block ×3, first 2 shown]
	s_mov_b32 s50, 0x3fb8aa3b
	s_mov_b32 s52, 0xc2ce8ed0
	;; [unrolled: 1-line block ×3, first 2 shown]
	v_mov_b32_e32 v42, 0x7f800000
	v_mov_b32_e32 v44, 0x100
	;; [unrolled: 1-line block ×3, first 2 shown]
	s_branch .LBB292_14
.LBB292_13:                             ;   in Loop: Header=BB292_14 Depth=1
	s_or_b64 exec, exec, s[48:49]
	s_add_i32 s51, s51, -1
	v_add_u32_e32 v41, s33, v41
	v_add_u32_e32 v16, 1, v16
	;; [unrolled: 1-line block ×3, first 2 shown]
	s_cmp_eq_u32 s51, 0
	v_add_u32_e32 v20, 1, v20
	s_cbranch_scc1 .LBB292_18
.LBB292_14:                             ; =>This Inner Loop Header: Depth=1
	v_cmp_gt_f32_e64 s[0:1], v1, v0
	v_cndmask_b32_e64 v19, v0, v1, s[0:1]
	v_cndmask_b32_e64 v17, v25, v26, s[0:1]
	v_cmp_gt_f32_e64 s[0:1], v2, v19
	v_cndmask_b32_e64 v19, v19, v2, s[0:1]
	v_cndmask_b32_e64 v17, v17, v27, s[0:1]
	;; [unrolled: 3-line block ×15, first 2 shown]
	s_nop 0
	v_mov_b32_dpp v46, v17 quad_perm:[1,0,3,2] row_mask:0xf bank_mask:0xf
	v_mov_b32_dpp v21, v19 quad_perm:[1,0,3,2] row_mask:0xf bank_mask:0xf
	v_cmp_eq_f32_e64 s[2:3], v19, v21
	v_cmp_lt_i32_e64 s[4:5], v46, v17
	v_cmp_lt_f32_e64 s[0:1], v19, v21
	s_and_b64 s[2:3], s[2:3], s[4:5]
	s_or_b64 s[0:1], s[0:1], s[2:3]
	v_cndmask_b32_e64 v19, v19, v21, s[0:1]
	v_cndmask_b32_e64 v17, v17, v46, s[0:1]
	s_nop 0
	v_mov_b32_dpp v21, v19 quad_perm:[2,3,0,1] row_mask:0xf bank_mask:0xf
	v_mov_b32_dpp v46, v17 quad_perm:[2,3,0,1] row_mask:0xf bank_mask:0xf
	v_cmp_eq_f32_e64 s[2:3], v19, v21
	v_cmp_lt_i32_e64 s[4:5], v46, v17
	v_cmp_lt_f32_e64 s[0:1], v19, v21
	s_and_b64 s[2:3], s[2:3], s[4:5]
	s_or_b64 s[0:1], s[0:1], s[2:3]
	v_cndmask_b32_e64 v19, v19, v21, s[0:1]
	v_cndmask_b32_e64 v21, v17, v46, s[0:1]
	s_nop 0
	v_mov_b32_dpp v17, v19 row_half_mirror row_mask:0xf bank_mask:0xf
	v_mov_b32_dpp v46, v21 row_half_mirror row_mask:0xf bank_mask:0xf
	v_cmp_eq_f32_e64 s[2:3], v19, v17
	v_cmp_lt_i32_e64 s[4:5], v46, v21
	v_cmp_lt_f32_e64 s[0:1], v19, v17
	s_and_b64 s[2:3], s[2:3], s[4:5]
	s_or_b64 s[0:1], s[0:1], s[2:3]
	v_cndmask_b32_e64 v17, v19, v17, s[0:1]
	v_cndmask_b32_e64 v21, v21, v46, s[0:1]
	s_nop 0
	v_mov_b32_dpp v19, v17 row_mirror row_mask:0xf bank_mask:0xf
	v_mov_b32_dpp v46, v21 row_mirror row_mask:0xf bank_mask:0xf
	v_cmp_eq_f32_e64 s[2:3], v17, v19
	v_cmp_lt_i32_e64 s[4:5], v46, v21
	v_cmp_lt_f32_e64 s[0:1], v17, v19
	s_and_b64 s[2:3], s[2:3], s[4:5]
	s_or_b64 s[0:1], s[0:1], s[2:3]
	v_cndmask_b32_e64 v46, v21, v46, s[0:1]
	s_and_saveexec_b64 s[4:5], vcc
	s_cbranch_execz .LBB292_16
; %bb.15:                               ;   in Loop: Header=BB292_14 Depth=1
	v_cndmask_b32_e64 v17, v17, v19, s[0:1]
	v_sub_f32_e32 v17, v17, v43
	v_mul_f32_e32 v19, 0x3fb8aa3b, v17
	v_fma_f32 v21, v17, s50, -v19
	v_rndne_f32_e32 v47, v19
	v_fmac_f32_e32 v21, 0x32a5705f, v17
	v_sub_f32_e32 v19, v19, v47
	v_add_f32_e32 v19, v19, v21
	v_exp_f32_e32 v19, v19
	v_cvt_i32_f32_e32 v21, v47
	v_cmp_le_i32_e64 s[0:1], s37, v46
	v_cmp_gt_i32_e64 s[2:3], s38, v46
	s_and_b64 s[2:3], s[0:1], s[2:3]
	v_ldexp_f32 v19, v19, v21
	v_cmp_ngt_f32_e64 s[0:1], s52, v17
	v_ashrrev_i32_e32 v21, 31, v20
	v_cndmask_b32_e64 v19, 0, v19, s[0:1]
	v_cmp_nlt_f32_e64 s[0:1], s53, v17
	v_lshlrev_b64 v[48:49], 2, v[20:21]
	v_cndmask_b32_e64 v47, v42, v19, s[0:1]
	v_mov_b32_e32 v17, s35
	v_add_co_u32_e64 v48, s[0:1], s34, v48
	v_addc_co_u32_e64 v49, s[0:1], v17, v49, s[0:1]
	v_ashrrev_i32_e32 v19, 31, v18
	global_store_dword v[48:49], v47, off
	v_subrev_u32_e32 v17, s37, v46
	s_and_b64 s[0:1], s[44:45], s[2:3]
	v_lshlrev_b64 v[48:49], 2, v[18:19]
	v_cndmask_b32_e64 v17, v44, v17, s[0:1]
	s_waitcnt lgkmcnt(0)
	v_mov_b32_e32 v19, s41
	v_add_co_u32_e64 v48, s[0:1], s40, v48
	v_addc_co_u32_e64 v49, s[0:1], v19, v49, s[0:1]
	global_store_dword v[48:49], v17, off
	v_ashrrev_i32_e32 v17, 31, v16
	v_lshlrev_b64 v[48:49], 2, v[16:17]
	v_mov_b32_e32 v17, s43
	v_add_co_u32_e64 v48, s[0:1], s42, v48
	v_addc_co_u32_e64 v49, s[0:1], v17, v49, s[0:1]
	v_add_f32_e32 v24, v24, v47
	global_store_dword v[48:49], v41, off
.LBB292_16:                             ;   in Loop: Header=BB292_14 Depth=1
	s_or_b64 exec, exec, s[4:5]
	v_ashrrev_i32_e32 v17, 31, v46
	v_lshrrev_b32_e32 v19, 28, v17
	v_add_u32_e32 v19, v46, v19
	v_ashrrev_i32_e32 v19, 4, v19
	v_lshrrev_b32_e32 v21, 28, v19
	v_add_u32_e32 v21, v19, v21
	v_and_b32_e32 v21, -16, v21
	v_sub_u32_e32 v21, v19, v21
	v_cmp_eq_u32_e64 s[0:1], v23, v21
	s_and_saveexec_b64 s[48:49], s[0:1]
	s_cbranch_execz .LBB292_13
; %bb.17:                               ;   in Loop: Header=BB292_14 Depth=1
	v_add_u32_sdwa v17, v46, v17 dst_sel:DWORD dst_unused:UNUSED_PAD src0_sel:DWORD src1_sel:BYTE_3
	v_lshlrev_b32_e32 v19, 4, v19
	v_sub_u32_e32 v19, v46, v19
	v_ashrrev_i32_e32 v17, 8, v17
	v_lshl_add_u32 v17, v17, 4, v19
	v_cmp_ne_u32_e64 s[0:1], 14, v17
	v_cmp_ne_u32_e64 s[2:3], 13, v17
	;; [unrolled: 1-line block ×16, first 2 shown]
	v_cndmask_b32_e64 v15, v45, v15, s[30:31]
	v_cndmask_b32_e64 v14, v45, v14, s[0:1]
	;; [unrolled: 1-line block ×16, first 2 shown]
	s_branch .LBB292_13
.LBB292_18:
	v_cmp_eq_u32_e32 vcc, 0, v23
	v_cmp_neq_f32_e64 s[0:1], 0, v24
	s_and_b64 s[0:1], vcc, s[0:1]
	s_and_b64 exec, exec, s[0:1]
	s_cbranch_execz .LBB292_29
; %bb.19:
	s_andn2_b64 vcc, exec, s[46:47]
	s_cbranch_vccnz .LBB292_29
; %bb.20:
	v_div_scale_f32 v0, s[0:1], v24, v24, 1.0
	v_rcp_f32_e32 v1, v0
	v_div_scale_f32 v2, vcc, 1.0, v24, 1.0
	s_cmp_gt_u32 s36, 3
	v_fma_f32 v3, -v0, v1, 1.0
	v_fmac_f32_e32 v1, v3, v1
	v_mul_f32_e32 v3, v2, v1
	v_fma_f32 v4, -v0, v3, v2
	v_fmac_f32_e32 v3, v4, v1
	v_fma_f32 v0, -v0, v3, v2
	v_div_fmas_f32 v0, v0, v1, v3
	v_mul_lo_u32 v2, v22, s39
	v_div_fixup_f32 v0, v0, v24, 1.0
	v_ashrrev_i32_e32 v3, 31, v2
	s_cbranch_scc0 .LBB292_24
; %bb.21:
	v_lshlrev_b64 v[4:5], 2, v[2:3]
	v_mov_b32_e32 v6, s35
	v_add_co_u32_e32 v4, vcc, s34, v4
	v_addc_co_u32_e32 v5, vcc, v5, v6, vcc
	s_and_b32 s4, s36, 0x7ffffffc
	v_add_co_u32_e32 v4, vcc, 8, v4
	v_mov_b32_e32 v1, v0
	v_addc_co_u32_e32 v5, vcc, 0, v5, vcc
	s_mov_b32 s0, s4
.LBB292_22:                             ; =>This Inner Loop Header: Depth=1
	global_load_dwordx4 v[6:9], v[4:5], off offset:-8
	s_add_i32 s0, s0, -4
	s_cmp_lg_u32 s0, 0
	s_waitcnt vmcnt(0)
	v_pk_mul_f32 v[6:7], v[0:1], v[6:7]
	v_pk_mul_f32 v[8:9], v[0:1], v[8:9]
	global_store_dwordx4 v[4:5], v[6:9], off offset:-8
	v_add_co_u32_e32 v4, vcc, 16, v4
	v_addc_co_u32_e32 v5, vcc, 0, v5, vcc
	s_cbranch_scc1 .LBB292_22
; %bb.23:
	s_cmp_lg_u32 s4, s36
	s_cselect_b64 s[0:1], -1, 0
	s_branch .LBB292_26
.LBB292_24:
	s_mov_b64 s[0:1], 0
                                        ; implicit-def: $sgpr4
	s_cbranch_execz .LBB292_26
; %bb.25:
	s_mov_b64 s[0:1], -1
	s_mov_b32 s4, 0
.LBB292_26:
	s_andn2_b64 vcc, exec, s[0:1]
	s_cbranch_vccnz .LBB292_29
; %bb.27:
	v_add_co_u32_e32 v2, vcc, s4, v2
	v_addc_co_u32_e32 v3, vcc, 0, v3, vcc
	v_lshlrev_b64 v[2:3], 2, v[2:3]
	v_mov_b32_e32 v1, s35
	v_add_co_u32_e32 v2, vcc, s34, v2
	s_sub_i32 s0, s36, s4
	v_addc_co_u32_e32 v3, vcc, v1, v3, vcc
.LBB292_28:                             ; =>This Inner Loop Header: Depth=1
	global_load_dword v1, v[2:3], off
	s_add_i32 s0, s0, -1
	s_cmp_lg_u32 s0, 0
	s_waitcnt vmcnt(0)
	v_mul_f32_e32 v1, v0, v1
	global_store_dword v[2:3], v1, off
	v_add_co_u32_e32 v2, vcc, 4, v2
	v_addc_co_u32_e32 v3, vcc, 0, v3, vcc
	s_cbranch_scc1 .LBB292_28
.LBB292_29:
	s_endpgm
	.section	.rodata,"a",@progbits
	.p2align	6, 0x0
	.amdhsa_kernel _ZN4vllm3moe17topkGatingSoftmaxItLi16ELi256ELi8ELi32ELb1ELi2ELNS0_23SharedExpertScoringFuncE1EEEvPKT_PKbPfiPiS9_iiiiii
		.amdhsa_group_segment_fixed_size 0
		.amdhsa_private_segment_fixed_size 0
		.amdhsa_kernarg_size 72
		.amdhsa_user_sgpr_count 6
		.amdhsa_user_sgpr_private_segment_buffer 1
		.amdhsa_user_sgpr_dispatch_ptr 0
		.amdhsa_user_sgpr_queue_ptr 0
		.amdhsa_user_sgpr_kernarg_segment_ptr 1
		.amdhsa_user_sgpr_dispatch_id 0
		.amdhsa_user_sgpr_flat_scratch_init 0
		.amdhsa_user_sgpr_kernarg_preload_length 0
		.amdhsa_user_sgpr_kernarg_preload_offset 0
		.amdhsa_user_sgpr_private_segment_size 0
		.amdhsa_uses_dynamic_stack 0
		.amdhsa_system_sgpr_private_segment_wavefront_offset 0
		.amdhsa_system_sgpr_workgroup_id_x 1
		.amdhsa_system_sgpr_workgroup_id_y 0
		.amdhsa_system_sgpr_workgroup_id_z 0
		.amdhsa_system_sgpr_workgroup_info 0
		.amdhsa_system_vgpr_workitem_id 1
		.amdhsa_next_free_vgpr 50
		.amdhsa_next_free_sgpr 54
		.amdhsa_accum_offset 52
		.amdhsa_reserve_vcc 1
		.amdhsa_reserve_flat_scratch 0
		.amdhsa_float_round_mode_32 0
		.amdhsa_float_round_mode_16_64 0
		.amdhsa_float_denorm_mode_32 3
		.amdhsa_float_denorm_mode_16_64 3
		.amdhsa_dx10_clamp 1
		.amdhsa_ieee_mode 1
		.amdhsa_fp16_overflow 0
		.amdhsa_tg_split 0
		.amdhsa_exception_fp_ieee_invalid_op 0
		.amdhsa_exception_fp_denorm_src 0
		.amdhsa_exception_fp_ieee_div_zero 0
		.amdhsa_exception_fp_ieee_overflow 0
		.amdhsa_exception_fp_ieee_underflow 0
		.amdhsa_exception_fp_ieee_inexact 0
		.amdhsa_exception_int_div_zero 0
	.end_amdhsa_kernel
	.section	.text._ZN4vllm3moe17topkGatingSoftmaxItLi16ELi256ELi8ELi32ELb1ELi2ELNS0_23SharedExpertScoringFuncE1EEEvPKT_PKbPfiPiS9_iiiiii,"axG",@progbits,_ZN4vllm3moe17topkGatingSoftmaxItLi16ELi256ELi8ELi32ELb1ELi2ELNS0_23SharedExpertScoringFuncE1EEEvPKT_PKbPfiPiS9_iiiiii,comdat
.Lfunc_end292:
	.size	_ZN4vllm3moe17topkGatingSoftmaxItLi16ELi256ELi8ELi32ELb1ELi2ELNS0_23SharedExpertScoringFuncE1EEEvPKT_PKbPfiPiS9_iiiiii, .Lfunc_end292-_ZN4vllm3moe17topkGatingSoftmaxItLi16ELi256ELi8ELi32ELb1ELi2ELNS0_23SharedExpertScoringFuncE1EEEvPKT_PKbPfiPiS9_iiiiii
                                        ; -- End function
	.section	.AMDGPU.csdata,"",@progbits
; Kernel info:
; codeLenInByte = 3496
; NumSgprs: 58
; NumVgprs: 50
; NumAgprs: 0
; TotalNumVgprs: 50
; ScratchSize: 0
; MemoryBound: 0
; FloatMode: 240
; IeeeMode: 1
; LDSByteSize: 0 bytes/workgroup (compile time only)
; SGPRBlocks: 7
; VGPRBlocks: 6
; NumSGPRsForWavesPerEU: 58
; NumVGPRsForWavesPerEU: 50
; AccumOffset: 52
; Occupancy: 8
; WaveLimiterHint : 0
; COMPUTE_PGM_RSRC2:SCRATCH_EN: 0
; COMPUTE_PGM_RSRC2:USER_SGPR: 6
; COMPUTE_PGM_RSRC2:TRAP_HANDLER: 0
; COMPUTE_PGM_RSRC2:TGID_X_EN: 1
; COMPUTE_PGM_RSRC2:TGID_Y_EN: 0
; COMPUTE_PGM_RSRC2:TGID_Z_EN: 0
; COMPUTE_PGM_RSRC2:TIDIG_COMP_CNT: 1
; COMPUTE_PGM_RSRC3_GFX90A:ACCUM_OFFSET: 12
; COMPUTE_PGM_RSRC3_GFX90A:TG_SPLIT: 0
	.section	.text._ZN4vllm3moe17topkGatingSoftmaxItLi16ELi256ELi8ELi32ELb0ELi2ELNS0_23SharedExpertScoringFuncE1EEEvPKT_PKbPfiPiS9_iiiiii,"axG",@progbits,_ZN4vllm3moe17topkGatingSoftmaxItLi16ELi256ELi8ELi32ELb0ELi2ELNS0_23SharedExpertScoringFuncE1EEEvPKT_PKbPfiPiS9_iiiiii,comdat
	.protected	_ZN4vllm3moe17topkGatingSoftmaxItLi16ELi256ELi8ELi32ELb0ELi2ELNS0_23SharedExpertScoringFuncE1EEEvPKT_PKbPfiPiS9_iiiiii ; -- Begin function _ZN4vllm3moe17topkGatingSoftmaxItLi16ELi256ELi8ELi32ELb0ELi2ELNS0_23SharedExpertScoringFuncE1EEEvPKT_PKbPfiPiS9_iiiiii
	.globl	_ZN4vllm3moe17topkGatingSoftmaxItLi16ELi256ELi8ELi32ELb0ELi2ELNS0_23SharedExpertScoringFuncE1EEEvPKT_PKbPfiPiS9_iiiiii
	.p2align	8
	.type	_ZN4vllm3moe17topkGatingSoftmaxItLi16ELi256ELi8ELi32ELb0ELi2ELNS0_23SharedExpertScoringFuncE1EEEvPKT_PKbPfiPiS9_iiiiii,@function
_ZN4vllm3moe17topkGatingSoftmaxItLi16ELi256ELi8ELi32ELb0ELi2ELNS0_23SharedExpertScoringFuncE1EEEvPKT_PKbPfiPiS9_iiiiii: ; @_ZN4vllm3moe17topkGatingSoftmaxItLi16ELi256ELi8ELi32ELb0ELi2ELNS0_23SharedExpertScoringFuncE1EEEvPKT_PKbPfiPiS9_iiiiii
; %bb.0:
	s_load_dword s33, s[4:5], 0x18
	v_bfe_u32 v1, v0, 10, 10
	v_and_b32_e32 v0, 0x3ff, v0
	s_lshl_b32 s50, s6, 5
	v_lshlrev_b32_e32 v42, 2, v1
	v_lshrrev_b32_e32 v43, 4, v0
	v_add3_u32 v22, s50, v42, v43
	s_waitcnt lgkmcnt(0)
	v_cmp_gt_i32_e32 vcc, s33, v22
	s_and_saveexec_b64 s[0:1], vcc
	s_cbranch_execz .LBB293_31
; %bb.1:
	s_load_dwordx4 s[0:3], s[4:5], 0x0
	s_load_dwordx2 s[34:35], s[4:5], 0x10
	s_waitcnt lgkmcnt(0)
	s_cmp_eq_u64 s[2:3], 0
	s_cbranch_scc1 .LBB293_3
; %bb.2:
	v_ashrrev_i32_e32 v1, 31, v22
	v_mov_b32_e32 v3, s3
	v_add_co_u32_e32 v2, vcc, s2, v22
	v_addc_co_u32_e32 v3, vcc, v3, v1, vcc
	global_load_ubyte v1, v[2:3], off
	s_waitcnt vmcnt(0)
	v_and_b32_e32 v1, 1, v1
	v_cmp_eq_u32_e32 vcc, 1, v1
	s_xor_b64 s[2:3], vcc, -1
	s_orn2_b64 s[46:47], s[2:3], exec
	s_branch .LBB293_4
.LBB293_3:
	s_mov_b64 s[46:47], -1
.LBB293_4:
	s_load_dwordx2 s[6:7], s[4:5], 0x40
	s_load_dwordx4 s[36:39], s[4:5], 0x30
	v_mov_b32_e32 v4, s1
	v_and_b32_e32 v23, 15, v0
	v_lshlrev_b32_e32 v0, 5, v23
	s_waitcnt lgkmcnt(0)
	v_mul_lo_u32 v2, v22, s7
	v_ashrrev_i32_e32 v3, 31, v2
	v_lshlrev_b64 v[2:3], 1, v[2:3]
	v_add_co_u32_e32 v1, vcc, s0, v2
	v_addc_co_u32_e32 v2, vcc, v4, v3, vcc
	v_add_co_u32_e32 v8, vcc, v1, v0
	v_addc_co_u32_e32 v9, vcc, 0, v2, vcc
	global_load_dwordx4 v[12:15], v[8:9], off offset:16
	global_load_dwordx4 v[4:7], v[8:9], off
	v_lshlrev_b32_e32 v26, 4, v23
	v_mov_b32_e32 v24, 0
	v_cmp_gt_u32_e32 vcc, 2, v23
	s_and_saveexec_b64 s[0:1], vcc
	s_cbranch_execz .LBB293_6
; %bb.5:
	v_lshlrev_b32_e32 v0, 1, v23
	v_add_co_u32_e32 v0, vcc, v1, v0
	v_addc_co_u32_e32 v1, vcc, 0, v2, vcc
	global_load_ushort v0, v[0:1], off offset:512
	s_mov_b32 s2, 0xbfb8aa3b
	s_mov_b32 s3, 0x42ce8ed0
	;; [unrolled: 1-line block ×3, first 2 shown]
	v_mov_b32_e32 v3, 0x7f800000
	v_mul_lo_u32 v1, v22, s39
	v_mov_b32_e32 v10, s35
	s_waitcnt vmcnt(0)
	v_cvt_f32_u32_e32 v2, v0
	v_mul_f32_e32 v0, 0xbfb8aa3b, v2
	v_fma_f32 v8, v2, s2, -v0
	v_rndne_f32_e32 v9, v0
	v_fmac_f32_e32 v8, 0xb2a5705f, v2
	v_sub_f32_e32 v0, v0, v9
	v_add_f32_e32 v0, v0, v8
	v_cvt_i32_f32_e32 v9, v9
	v_exp_f32_e32 v8, v0
	v_cmp_nlt_f32_e32 vcc, s3, v2
	v_add3_u32 v0, v1, s36, v23
	v_ashrrev_i32_e32 v1, 31, v0
	v_ldexp_f32 v8, v8, v9
	v_cndmask_b32_e32 v8, 0, v8, vcc
	v_cmp_ngt_f32_e32 vcc, s7, v2
	v_cndmask_b32_e32 v2, v3, v8, vcc
	v_add_f32_e32 v2, 1.0, v2
	v_div_scale_f32 v3, s[2:3], v2, v2, 1.0
	v_rcp_f32_e32 v8, v3
	v_div_scale_f32 v9, vcc, 1.0, v2, 1.0
	v_lshlrev_b64 v[0:1], 2, v[0:1]
	v_fma_f32 v11, -v3, v8, 1.0
	v_fmac_f32_e32 v8, v11, v8
	v_mul_f32_e32 v11, v9, v8
	v_fma_f32 v16, -v3, v11, v9
	v_fmac_f32_e32 v11, v16, v8
	v_fma_f32 v3, -v3, v11, v9
	v_div_fmas_f32 v3, v3, v8, v11
	v_add_co_u32_e32 v0, vcc, s34, v0
	v_div_fixup_f32 v2, v3, v2, 1.0
	v_addc_co_u32_e32 v1, vcc, v10, v1, vcc
	global_store_dword v[0:1], v2, off
.LBB293_6:
	s_or_b64 exec, exec, s[0:1]
	s_waitcnt vmcnt(0)
	v_cvt_f32_u32_sdwa v1, v4 dst_sel:DWORD dst_unused:UNUSED_PAD src0_sel:WORD_1
	v_cvt_f32_u32_sdwa v0, v4 dst_sel:DWORD dst_unused:UNUSED_PAD src0_sel:WORD_0
	v_cvt_f32_u32_sdwa v2, v5 dst_sel:DWORD dst_unused:UNUSED_PAD src0_sel:WORD_0
	v_or_b32_e32 v27, 1, v26
	v_or_b32_e32 v28, 2, v26
	v_cmp_lt_f32_e32 vcc, v0, v1
	v_cndmask_b32_e32 v4, v0, v1, vcc
	v_cndmask_b32_e32 v3, v26, v27, vcc
	v_cmp_lt_f32_e32 vcc, v4, v2
	v_cndmask_b32_e32 v8, v3, v28, vcc
	v_cvt_f32_u32_sdwa v3, v5 dst_sel:DWORD dst_unused:UNUSED_PAD src0_sel:WORD_1
	v_cndmask_b32_e32 v4, v4, v2, vcc
	v_or_b32_e32 v29, 3, v26
	v_or_b32_e32 v30, 4, v26
	v_cmp_lt_f32_e32 vcc, v4, v3
	v_cndmask_b32_e32 v5, v8, v29, vcc
	v_cndmask_b32_e32 v8, v4, v3, vcc
	v_cvt_f32_u32_sdwa v4, v6 dst_sel:DWORD dst_unused:UNUSED_PAD src0_sel:WORD_0
	v_or_b32_e32 v31, 5, v26
	v_or_b32_e32 v32, 6, v26
	;; [unrolled: 1-line block ×3, first 2 shown]
	v_cmp_lt_f32_e32 vcc, v8, v4
	v_cndmask_b32_e32 v9, v5, v30, vcc
	v_cvt_f32_u32_sdwa v5, v6 dst_sel:DWORD dst_unused:UNUSED_PAD src0_sel:WORD_1
	v_cvt_f32_u32_sdwa v6, v7 dst_sel:DWORD dst_unused:UNUSED_PAD src0_sel:WORD_0
	v_cndmask_b32_e32 v8, v8, v4, vcc
	v_cvt_f32_u32_sdwa v7, v7 dst_sel:DWORD dst_unused:UNUSED_PAD src0_sel:WORD_1
	v_cmp_lt_f32_e32 vcc, v8, v5
	v_cndmask_b32_e32 v8, v8, v5, vcc
	v_cndmask_b32_e32 v9, v9, v31, vcc
	v_cmp_lt_f32_e32 vcc, v8, v6
	v_cndmask_b32_e32 v8, v8, v6, vcc
	v_cndmask_b32_e32 v9, v9, v32, vcc
	v_cmp_lt_f32_e32 vcc, v8, v7
	v_cndmask_b32_e32 v10, v8, v7, vcc
	v_cvt_f32_u32_sdwa v8, v12 dst_sel:DWORD dst_unused:UNUSED_PAD src0_sel:WORD_0
	v_cndmask_b32_e32 v9, v9, v33, vcc
	v_or_b32_e32 v34, 8, v26
	v_or_b32_e32 v35, 9, v26
	v_cmp_lt_f32_e32 vcc, v10, v8
	v_cndmask_b32_e32 v11, v9, v34, vcc
	v_cvt_f32_u32_sdwa v9, v12 dst_sel:DWORD dst_unused:UNUSED_PAD src0_sel:WORD_1
	v_cndmask_b32_e32 v10, v10, v8, vcc
	v_or_b32_e32 v36, 10, v26
	v_or_b32_e32 v37, 11, v26
	v_cmp_lt_f32_e32 vcc, v10, v9
	v_cndmask_b32_e32 v12, v10, v9, vcc
	v_cvt_f32_u32_sdwa v10, v13 dst_sel:DWORD dst_unused:UNUSED_PAD src0_sel:WORD_0
	v_cndmask_b32_e32 v11, v11, v35, vcc
	v_or_b32_e32 v38, 12, v26
	v_or_b32_e32 v39, 13, v26
	v_cmp_lt_f32_e32 vcc, v12, v10
	v_cndmask_b32_e32 v16, v11, v36, vcc
	v_cvt_f32_u32_sdwa v11, v13 dst_sel:DWORD dst_unused:UNUSED_PAD src0_sel:WORD_1
	v_cndmask_b32_e32 v12, v12, v10, vcc
	v_or_b32_e32 v40, 14, v26
	v_or_b32_e32 v41, 15, v26
	v_cmp_lt_f32_e32 vcc, v12, v11
	v_cndmask_b32_e32 v13, v16, v37, vcc
	v_cndmask_b32_e32 v16, v12, v11, vcc
	v_cvt_f32_u32_sdwa v12, v14 dst_sel:DWORD dst_unused:UNUSED_PAD src0_sel:WORD_0
	v_cmp_lt_f32_e32 vcc, v16, v12
	v_cndmask_b32_e32 v17, v13, v38, vcc
	v_cvt_f32_u32_sdwa v13, v14 dst_sel:DWORD dst_unused:UNUSED_PAD src0_sel:WORD_1
	v_cvt_f32_u32_sdwa v14, v15 dst_sel:DWORD dst_unused:UNUSED_PAD src0_sel:WORD_0
	v_cndmask_b32_e32 v16, v16, v12, vcc
	v_cvt_f32_u32_sdwa v15, v15 dst_sel:DWORD dst_unused:UNUSED_PAD src0_sel:WORD_1
	v_cmp_lt_f32_e32 vcc, v16, v13
	v_cndmask_b32_e32 v16, v16, v13, vcc
	v_cndmask_b32_e32 v17, v17, v39, vcc
	v_cmp_lt_f32_e32 vcc, v16, v14
	v_cndmask_b32_e32 v16, v16, v14, vcc
	v_cndmask_b32_e32 v17, v17, v40, vcc
	v_cmp_lt_f32_e32 vcc, v16, v15
	v_cndmask_b32_e32 v17, v17, v41, vcc
	v_cndmask_b32_e32 v16, v16, v15, vcc
	s_nop 0
	v_mov_b32_dpp v19, v17 quad_perm:[1,0,3,2] row_mask:0xf bank_mask:0xf
	v_mov_b32_dpp v18, v16 quad_perm:[1,0,3,2] row_mask:0xf bank_mask:0xf
	v_cmp_eq_f32_e64 s[0:1], v16, v18
	v_cmp_lt_i32_e64 s[2:3], v19, v17
	v_cmp_lt_f32_e32 vcc, v16, v18
	s_and_b64 s[0:1], s[0:1], s[2:3]
	s_or_b64 vcc, vcc, s[0:1]
	v_cndmask_b32_e32 v16, v16, v18, vcc
	v_cndmask_b32_e32 v17, v17, v19, vcc
	s_nop 0
	v_mov_b32_dpp v18, v16 quad_perm:[2,3,0,1] row_mask:0xf bank_mask:0xf
	v_mov_b32_dpp v19, v17 quad_perm:[2,3,0,1] row_mask:0xf bank_mask:0xf
	v_cmp_eq_f32_e64 s[0:1], v16, v18
	v_cmp_lt_i32_e64 s[2:3], v19, v17
	v_cmp_lt_f32_e32 vcc, v16, v18
	s_and_b64 s[0:1], s[0:1], s[2:3]
	s_or_b64 vcc, vcc, s[0:1]
	v_cndmask_b32_e32 v16, v16, v18, vcc
	v_cndmask_b32_e32 v17, v17, v19, vcc
	s_nop 0
	v_mov_b32_dpp v18, v16 row_half_mirror row_mask:0xf bank_mask:0xf
	v_mov_b32_dpp v19, v17 row_half_mirror row_mask:0xf bank_mask:0xf
	v_cmp_eq_f32_e64 s[0:1], v16, v18
	v_cmp_lt_i32_e64 s[2:3], v19, v17
	v_cmp_lt_f32_e32 vcc, v16, v18
	s_and_b64 s[0:1], s[0:1], s[2:3]
	s_or_b64 vcc, vcc, s[0:1]
	v_cndmask_b32_e32 v18, v16, v18, vcc
	v_cndmask_b32_e32 v16, v17, v19, vcc
	s_nop 0
	v_mov_b32_dpp v19, v18 row_mirror row_mask:0xf bank_mask:0xf
	v_mov_b32_dpp v17, v16 row_mirror row_mask:0xf bank_mask:0xf
	v_cmp_eq_f32_e64 s[0:1], v18, v19
	v_cmp_lt_i32_e64 s[2:3], v17, v16
	v_cmp_lt_f32_e32 vcc, v18, v19
	s_and_b64 s[0:1], s[0:1], s[2:3]
	s_or_b64 s[0:1], vcc, s[0:1]
	s_cmp_gt_i32 s36, 0
	v_cndmask_b32_e64 v25, v18, v19, s[0:1]
	s_cselect_b64 s[44:45], -1, 0
	s_cmp_lt_i32 s36, 1
	v_cmp_eq_u32_e32 vcc, 0, v23
	s_cbranch_scc1 .LBB293_18
; %bb.7:
	s_load_dwordx4 s[40:43], s[4:5], 0x20
	v_cndmask_b32_e64 v44, v16, v17, s[0:1]
	v_mul_lo_u32 v20, v22, s39
	v_mul_lo_u32 v18, v22, s6
	;; [unrolled: 1-line block ×3, first 2 shown]
	v_mov_b32_e32 v24, 0
	s_and_saveexec_b64 s[4:5], vcc
	s_cbranch_execz .LBB293_9
; %bb.8:
	v_sub_f32_e32 v17, v25, v25
	v_mul_f32_e32 v19, 0x3fb8aa3b, v17
	s_mov_b32 s0, 0x3fb8aa3b
	v_rndne_f32_e32 v21, v19
	v_sub_f32_e32 v24, v19, v21
	v_fma_f32 v19, v17, s0, -v19
	v_fmac_f32_e32 v19, 0x32a5705f, v17
	v_add_f32_e32 v19, v24, v19
	v_exp_f32_e32 v19, v19
	v_cvt_i32_f32_e32 v21, v21
	v_cmp_le_i32_e64 s[0:1], s37, v44
	v_cmp_gt_i32_e64 s[2:3], s38, v44
	s_and_b64 s[2:3], s[0:1], s[2:3]
	s_mov_b32 s0, 0xc2ce8ed0
	v_ldexp_f32 v19, v19, v21
	v_cmp_ngt_f32_e64 s[0:1], s0, v17
	v_cndmask_b32_e64 v19, 0, v19, s[0:1]
	s_mov_b32 s0, 0x42b17218
	v_mov_b32_e32 v21, 0x7f800000
	v_cmp_nlt_f32_e64 s[0:1], s0, v17
	v_cndmask_b32_e64 v24, v21, v19, s[0:1]
	v_ashrrev_i32_e32 v21, 31, v20
	v_lshlrev_b64 v[46:47], 2, v[20:21]
	v_mov_b32_e32 v17, s35
	v_add_co_u32_e64 v46, s[0:1], s34, v46
	v_addc_co_u32_e64 v47, s[0:1], v17, v47, s[0:1]
	v_subrev_u32_e32 v17, s37, v44
	v_mov_b32_e32 v19, 0x100
	s_and_b64 s[0:1], s[46:47], s[2:3]
	v_cndmask_b32_e64 v17, v19, v17, s[0:1]
	v_ashrrev_i32_e32 v19, 31, v18
	global_store_dword v[46:47], v24, off
	v_lshlrev_b64 v[46:47], 2, v[18:19]
	s_waitcnt lgkmcnt(0)
	v_mov_b32_e32 v19, s41
	v_add_co_u32_e64 v46, s[0:1], s40, v46
	v_addc_co_u32_e64 v47, s[0:1], v19, v47, s[0:1]
	global_store_dword v[46:47], v17, off
	v_ashrrev_i32_e32 v17, 31, v16
	v_lshlrev_b64 v[46:47], 2, v[16:17]
	v_mov_b32_e32 v17, s43
	v_add_co_u32_e64 v46, s[0:1], s42, v46
	v_addc_co_u32_e64 v47, s[0:1], v17, v47, s[0:1]
	global_store_dword v[46:47], v22, off
.LBB293_9:
	s_or_b64 exec, exec, s[4:5]
	v_ashrrev_i32_e32 v17, 31, v44
	v_lshrrev_b32_e32 v19, 28, v17
	v_add_u32_e32 v19, v44, v19
	v_ashrrev_i32_e32 v19, 4, v19
	v_lshrrev_b32_e32 v21, 28, v19
	v_add_u32_e32 v21, v19, v21
	v_and_b32_e32 v21, -16, v21
	v_sub_u32_e32 v21, v19, v21
	v_cmp_eq_u32_e64 s[0:1], v23, v21
	s_and_saveexec_b64 s[48:49], s[0:1]
	s_cbranch_execz .LBB293_11
; %bb.10:
	v_add_u32_sdwa v17, v44, v17 dst_sel:DWORD dst_unused:UNUSED_PAD src0_sel:DWORD src1_sel:BYTE_3
	v_lshlrev_b32_e32 v19, 4, v19
	v_sub_u32_e32 v19, v44, v19
	v_ashrrev_i32_e32 v17, 8, v17
	v_lshl_add_u32 v17, v17, 4, v19
	v_mov_b32_e32 v19, 0xff800000
	v_cmp_ne_u32_e64 s[0:1], 14, v17
	v_cmp_ne_u32_e64 s[2:3], 13, v17
	;; [unrolled: 1-line block ×16, first 2 shown]
	v_cndmask_b32_e64 v15, v19, v15, s[30:31]
	v_cndmask_b32_e64 v14, v19, v14, s[0:1]
	v_cndmask_b32_e64 v13, v19, v13, s[2:3]
	v_cndmask_b32_e64 v12, v19, v12, s[4:5]
	v_cndmask_b32_e64 v11, v19, v11, s[6:7]
	v_cndmask_b32_e64 v10, v19, v10, s[8:9]
	v_cndmask_b32_e64 v9, v19, v9, s[10:11]
	v_cndmask_b32_e64 v8, v19, v8, s[12:13]
	v_cndmask_b32_e64 v7, v19, v7, s[14:15]
	v_cndmask_b32_e64 v6, v19, v6, s[16:17]
	v_cndmask_b32_e64 v5, v19, v5, s[18:19]
	v_cndmask_b32_e64 v4, v19, v4, s[20:21]
	v_cndmask_b32_e64 v3, v19, v3, s[22:23]
	v_cndmask_b32_e64 v2, v19, v2, s[24:25]
	v_cndmask_b32_e64 v1, v19, v1, s[26:27]
	v_cndmask_b32_e64 v0, v19, v0, s[28:29]
.LBB293_11:
	s_or_b64 exec, exec, s[48:49]
	s_cmp_eq_u32 s36, 1
	s_cbranch_scc1 .LBB293_18
; %bb.12:
	s_add_i32 s50, s50, s33
	s_add_i32 s51, s36, -1
	v_add3_u32 v42, s50, v43, v42
	v_add_u32_e32 v16, 1, v16
	v_add_u32_e32 v18, 1, v18
	;; [unrolled: 1-line block ×3, first 2 shown]
	s_mov_b32 s50, 0x3fb8aa3b
	s_mov_b32 s52, 0xc2ce8ed0
	;; [unrolled: 1-line block ×3, first 2 shown]
	v_mov_b32_e32 v43, 0x7f800000
	v_mov_b32_e32 v44, 0x100
	;; [unrolled: 1-line block ×3, first 2 shown]
	s_branch .LBB293_14
.LBB293_13:                             ;   in Loop: Header=BB293_14 Depth=1
	s_or_b64 exec, exec, s[48:49]
	s_add_i32 s51, s51, -1
	v_add_u32_e32 v42, s33, v42
	v_add_u32_e32 v16, 1, v16
	;; [unrolled: 1-line block ×3, first 2 shown]
	s_cmp_eq_u32 s51, 0
	v_add_u32_e32 v20, 1, v20
	s_cbranch_scc1 .LBB293_18
.LBB293_14:                             ; =>This Inner Loop Header: Depth=1
	v_cmp_gt_f32_e64 s[0:1], v1, v0
	v_cndmask_b32_e64 v19, v0, v1, s[0:1]
	v_cndmask_b32_e64 v17, v26, v27, s[0:1]
	v_cmp_gt_f32_e64 s[0:1], v2, v19
	v_cndmask_b32_e64 v19, v19, v2, s[0:1]
	v_cndmask_b32_e64 v17, v17, v28, s[0:1]
	;; [unrolled: 3-line block ×15, first 2 shown]
	s_nop 0
	v_mov_b32_dpp v46, v17 quad_perm:[1,0,3,2] row_mask:0xf bank_mask:0xf
	v_mov_b32_dpp v21, v19 quad_perm:[1,0,3,2] row_mask:0xf bank_mask:0xf
	v_cmp_eq_f32_e64 s[2:3], v19, v21
	v_cmp_lt_i32_e64 s[4:5], v46, v17
	v_cmp_lt_f32_e64 s[0:1], v19, v21
	s_and_b64 s[2:3], s[2:3], s[4:5]
	s_or_b64 s[0:1], s[0:1], s[2:3]
	v_cndmask_b32_e64 v19, v19, v21, s[0:1]
	v_cndmask_b32_e64 v17, v17, v46, s[0:1]
	s_nop 0
	v_mov_b32_dpp v21, v19 quad_perm:[2,3,0,1] row_mask:0xf bank_mask:0xf
	v_mov_b32_dpp v46, v17 quad_perm:[2,3,0,1] row_mask:0xf bank_mask:0xf
	v_cmp_eq_f32_e64 s[2:3], v19, v21
	v_cmp_lt_i32_e64 s[4:5], v46, v17
	v_cmp_lt_f32_e64 s[0:1], v19, v21
	s_and_b64 s[2:3], s[2:3], s[4:5]
	s_or_b64 s[0:1], s[0:1], s[2:3]
	v_cndmask_b32_e64 v19, v19, v21, s[0:1]
	v_cndmask_b32_e64 v21, v17, v46, s[0:1]
	s_nop 0
	v_mov_b32_dpp v17, v19 row_half_mirror row_mask:0xf bank_mask:0xf
	v_mov_b32_dpp v46, v21 row_half_mirror row_mask:0xf bank_mask:0xf
	v_cmp_eq_f32_e64 s[2:3], v19, v17
	v_cmp_lt_i32_e64 s[4:5], v46, v21
	v_cmp_lt_f32_e64 s[0:1], v19, v17
	s_and_b64 s[2:3], s[2:3], s[4:5]
	s_or_b64 s[0:1], s[0:1], s[2:3]
	v_cndmask_b32_e64 v17, v19, v17, s[0:1]
	v_cndmask_b32_e64 v21, v21, v46, s[0:1]
	s_nop 0
	v_mov_b32_dpp v19, v17 row_mirror row_mask:0xf bank_mask:0xf
	v_mov_b32_dpp v46, v21 row_mirror row_mask:0xf bank_mask:0xf
	v_cmp_eq_f32_e64 s[2:3], v17, v19
	v_cmp_lt_i32_e64 s[4:5], v46, v21
	v_cmp_lt_f32_e64 s[0:1], v17, v19
	s_and_b64 s[2:3], s[2:3], s[4:5]
	s_or_b64 s[0:1], s[0:1], s[2:3]
	v_cndmask_b32_e64 v46, v21, v46, s[0:1]
	s_and_saveexec_b64 s[4:5], vcc
	s_cbranch_execz .LBB293_16
; %bb.15:                               ;   in Loop: Header=BB293_14 Depth=1
	v_cndmask_b32_e64 v17, v17, v19, s[0:1]
	v_sub_f32_e32 v17, v17, v25
	v_mul_f32_e32 v19, 0x3fb8aa3b, v17
	v_fma_f32 v21, v17, s50, -v19
	v_rndne_f32_e32 v47, v19
	v_fmac_f32_e32 v21, 0x32a5705f, v17
	v_sub_f32_e32 v19, v19, v47
	v_add_f32_e32 v19, v19, v21
	v_exp_f32_e32 v19, v19
	v_cvt_i32_f32_e32 v21, v47
	v_cmp_le_i32_e64 s[0:1], s37, v46
	v_cmp_gt_i32_e64 s[2:3], s38, v46
	s_and_b64 s[2:3], s[0:1], s[2:3]
	v_ldexp_f32 v19, v19, v21
	v_cmp_ngt_f32_e64 s[0:1], s52, v17
	v_ashrrev_i32_e32 v21, 31, v20
	v_cndmask_b32_e64 v19, 0, v19, s[0:1]
	v_cmp_nlt_f32_e64 s[0:1], s53, v17
	v_lshlrev_b64 v[48:49], 2, v[20:21]
	v_cndmask_b32_e64 v47, v43, v19, s[0:1]
	v_mov_b32_e32 v17, s35
	v_add_co_u32_e64 v48, s[0:1], s34, v48
	v_addc_co_u32_e64 v49, s[0:1], v17, v49, s[0:1]
	v_ashrrev_i32_e32 v19, 31, v18
	global_store_dword v[48:49], v47, off
	v_subrev_u32_e32 v17, s37, v46
	s_and_b64 s[0:1], s[46:47], s[2:3]
	v_lshlrev_b64 v[48:49], 2, v[18:19]
	v_cndmask_b32_e64 v17, v44, v17, s[0:1]
	s_waitcnt lgkmcnt(0)
	v_mov_b32_e32 v19, s41
	v_add_co_u32_e64 v48, s[0:1], s40, v48
	v_addc_co_u32_e64 v49, s[0:1], v19, v49, s[0:1]
	global_store_dword v[48:49], v17, off
	v_ashrrev_i32_e32 v17, 31, v16
	v_lshlrev_b64 v[48:49], 2, v[16:17]
	v_mov_b32_e32 v17, s43
	v_add_co_u32_e64 v48, s[0:1], s42, v48
	v_addc_co_u32_e64 v49, s[0:1], v17, v49, s[0:1]
	v_add_f32_e32 v24, v24, v47
	global_store_dword v[48:49], v42, off
.LBB293_16:                             ;   in Loop: Header=BB293_14 Depth=1
	s_or_b64 exec, exec, s[4:5]
	v_ashrrev_i32_e32 v17, 31, v46
	v_lshrrev_b32_e32 v19, 28, v17
	v_add_u32_e32 v19, v46, v19
	v_ashrrev_i32_e32 v19, 4, v19
	v_lshrrev_b32_e32 v21, 28, v19
	v_add_u32_e32 v21, v19, v21
	v_and_b32_e32 v21, -16, v21
	v_sub_u32_e32 v21, v19, v21
	v_cmp_eq_u32_e64 s[0:1], v23, v21
	s_and_saveexec_b64 s[48:49], s[0:1]
	s_cbranch_execz .LBB293_13
; %bb.17:                               ;   in Loop: Header=BB293_14 Depth=1
	v_add_u32_sdwa v17, v46, v17 dst_sel:DWORD dst_unused:UNUSED_PAD src0_sel:DWORD src1_sel:BYTE_3
	v_lshlrev_b32_e32 v19, 4, v19
	v_sub_u32_e32 v19, v46, v19
	v_ashrrev_i32_e32 v17, 8, v17
	v_lshl_add_u32 v17, v17, 4, v19
	v_cmp_ne_u32_e64 s[0:1], 14, v17
	v_cmp_ne_u32_e64 s[2:3], 13, v17
	;; [unrolled: 1-line block ×16, first 2 shown]
	v_cndmask_b32_e64 v15, v45, v15, s[30:31]
	v_cndmask_b32_e64 v14, v45, v14, s[0:1]
	;; [unrolled: 1-line block ×16, first 2 shown]
	s_branch .LBB293_13
.LBB293_18:
	v_sub_f32_e32 v0, v0, v25
	s_mov_b32 s2, 0x3fb8aa3b
	v_mul_f32_e32 v16, 0x3fb8aa3b, v0
	v_fma_f32 v17, v0, s2, -v16
	v_rndne_f32_e32 v18, v16
	v_fmac_f32_e32 v17, 0x32a5705f, v0
	v_sub_f32_e32 v16, v16, v18
	v_add_f32_e32 v16, v16, v17
	v_exp_f32_e32 v16, v16
	v_cvt_i32_f32_e32 v17, v18
	v_sub_f32_e32 v1, v1, v25
	s_mov_b32 s4, 0xc2ce8ed0
	s_mov_b32 s3, 0x42b17218
	v_ldexp_f32 v16, v16, v17
	v_mul_f32_e32 v17, 0x3fb8aa3b, v1
	v_fma_f32 v18, v1, s2, -v17
	v_rndne_f32_e32 v19, v17
	v_fmac_f32_e32 v18, 0x32a5705f, v1
	v_sub_f32_e32 v17, v17, v19
	v_add_f32_e32 v17, v17, v18
	v_exp_f32_e32 v17, v17
	v_cvt_i32_f32_e32 v18, v19
	v_cmp_ngt_f32_e32 vcc, s4, v1
	v_cmp_ngt_f32_e64 s[0:1], s4, v0
	v_sub_f32_e32 v2, v2, v25
	v_ldexp_f32 v17, v17, v18
	v_cndmask_b32_e32 v17, 0, v17, vcc
	v_mov_b32_e32 v18, 0x7f800000
	v_cmp_nlt_f32_e32 vcc, s3, v1
	v_cndmask_b32_e64 v1, 0, v16, s[0:1]
	v_cmp_nlt_f32_e64 s[0:1], s3, v0
	v_cndmask_b32_e64 v0, v18, v1, s[0:1]
	v_cndmask_b32_e32 v1, v18, v17, vcc
	v_add_f32_e32 v0, v0, v1
	v_mul_f32_e32 v1, 0x3fb8aa3b, v2
	v_fma_f32 v16, v2, s2, -v1
	v_rndne_f32_e32 v17, v1
	v_fmac_f32_e32 v16, 0x32a5705f, v2
	v_sub_f32_e32 v1, v1, v17
	v_add_f32_e32 v1, v1, v16
	v_exp_f32_e32 v1, v1
	v_cvt_i32_f32_e32 v16, v17
	v_cmp_ngt_f32_e32 vcc, s4, v2
	v_sub_f32_e32 v3, v3, v25
	v_sub_f32_e32 v4, v4, v25
	v_ldexp_f32 v1, v1, v16
	v_cndmask_b32_e32 v1, 0, v1, vcc
	v_cmp_nlt_f32_e32 vcc, s3, v2
	v_cndmask_b32_e32 v1, v18, v1, vcc
	v_add_f32_e32 v0, v0, v1
	v_mul_f32_e32 v1, 0x3fb8aa3b, v3
	v_fma_f32 v2, v3, s2, -v1
	v_rndne_f32_e32 v16, v1
	v_fmac_f32_e32 v2, 0x32a5705f, v3
	v_sub_f32_e32 v1, v1, v16
	v_add_f32_e32 v1, v1, v2
	v_exp_f32_e32 v1, v1
	v_cvt_i32_f32_e32 v2, v16
	v_cmp_ngt_f32_e32 vcc, s4, v3
	v_sub_f32_e32 v5, v5, v25
	v_sub_f32_e32 v6, v6, v25
	v_ldexp_f32 v1, v1, v2
	v_cndmask_b32_e32 v1, 0, v1, vcc
	v_cmp_nlt_f32_e32 vcc, s3, v3
	;; [unrolled: 16-line block ×5, first 2 shown]
	v_cndmask_b32_e32 v1, v18, v1, vcc
	v_add_f32_e32 v0, v0, v1
	v_mul_f32_e32 v1, 0x3fb8aa3b, v7
	v_fma_f32 v2, v7, s2, -v1
	v_rndne_f32_e32 v3, v1
	v_fmac_f32_e32 v2, 0x32a5705f, v7
	v_sub_f32_e32 v1, v1, v3
	v_add_f32_e32 v1, v1, v2
	v_exp_f32_e32 v1, v1
	v_cvt_i32_f32_e32 v2, v3
	v_cmp_ngt_f32_e32 vcc, s4, v7
	v_ldexp_f32 v1, v1, v2
	v_mul_f32_e32 v2, 0x3fb8aa3b, v8
	v_fma_f32 v3, v8, s2, -v2
	v_rndne_f32_e32 v4, v2
	v_fmac_f32_e32 v3, 0x32a5705f, v8
	v_sub_f32_e32 v2, v2, v4
	v_add_f32_e32 v2, v2, v3
	v_exp_f32_e32 v2, v2
	v_cvt_i32_f32_e32 v3, v4
	v_cndmask_b32_e32 v1, 0, v1, vcc
	v_cmp_nlt_f32_e32 vcc, s3, v7
	v_cndmask_b32_e32 v1, v18, v1, vcc
	v_add_f32_e32 v0, v0, v1
	v_ldexp_f32 v1, v2, v3
	v_mul_f32_e32 v2, 0x3fb8aa3b, v9
	v_fma_f32 v3, v9, s2, -v2
	v_rndne_f32_e32 v4, v2
	v_fmac_f32_e32 v3, 0x32a5705f, v9
	v_sub_f32_e32 v2, v2, v4
	v_add_f32_e32 v2, v2, v3
	v_exp_f32_e32 v2, v2
	v_cvt_i32_f32_e32 v3, v4
	v_cmp_ngt_f32_e32 vcc, s4, v8
	v_cndmask_b32_e32 v1, 0, v1, vcc
	v_cmp_nlt_f32_e32 vcc, s3, v8
	v_cndmask_b32_e32 v1, v18, v1, vcc
	v_add_f32_e32 v0, v0, v1
	v_ldexp_f32 v1, v2, v3
	v_mul_f32_e32 v2, 0x3fb8aa3b, v10
	v_fma_f32 v3, v10, s2, -v2
	v_rndne_f32_e32 v4, v2
	v_fmac_f32_e32 v3, 0x32a5705f, v10
	v_sub_f32_e32 v2, v2, v4
	v_add_f32_e32 v2, v2, v3
	v_exp_f32_e32 v2, v2
	v_cvt_i32_f32_e32 v3, v4
	v_cmp_ngt_f32_e32 vcc, s4, v9
	;; [unrolled: 14-line block ×4, first 2 shown]
	v_cndmask_b32_e32 v1, 0, v1, vcc
	v_cmp_nlt_f32_e32 vcc, s3, v11
	v_cndmask_b32_e32 v1, v18, v1, vcc
	v_add_f32_e32 v0, v0, v1
	v_ldexp_f32 v1, v2, v3
	v_sub_f32_e32 v2, v13, v25
	v_mul_f32_e32 v3, 0x3fb8aa3b, v2
	v_fma_f32 v4, v2, s2, -v3
	v_rndne_f32_e32 v5, v3
	v_fmac_f32_e32 v4, 0x32a5705f, v2
	v_sub_f32_e32 v3, v3, v5
	v_add_f32_e32 v3, v3, v4
	v_exp_f32_e32 v3, v3
	v_cvt_i32_f32_e32 v4, v5
	v_cmp_ngt_f32_e32 vcc, s4, v12
	v_cndmask_b32_e32 v1, 0, v1, vcc
	v_cmp_nlt_f32_e32 vcc, s3, v12
	v_cndmask_b32_e32 v1, v18, v1, vcc
	v_add_f32_e32 v0, v0, v1
	v_ldexp_f32 v1, v3, v4
	v_sub_f32_e32 v3, v14, v25
	v_mul_f32_e32 v4, 0x3fb8aa3b, v3
	v_fma_f32 v5, v3, s2, -v4
	v_rndne_f32_e32 v6, v4
	v_fmac_f32_e32 v5, 0x32a5705f, v3
	v_sub_f32_e32 v4, v4, v6
	v_add_f32_e32 v4, v4, v5
	v_exp_f32_e32 v4, v4
	v_cvt_i32_f32_e32 v5, v6
	v_cmp_ngt_f32_e32 vcc, s4, v2
	v_cndmask_b32_e32 v1, 0, v1, vcc
	v_cmp_nlt_f32_e32 vcc, s3, v2
	v_cndmask_b32_e32 v1, v18, v1, vcc
	v_sub_f32_e32 v2, v15, v25
	v_add_f32_e32 v0, v0, v1
	v_ldexp_f32 v1, v4, v5
	v_mul_f32_e32 v4, 0x3fb8aa3b, v2
	v_fma_f32 v5, v2, s2, -v4
	v_rndne_f32_e32 v6, v4
	v_fmac_f32_e32 v5, 0x32a5705f, v2
	v_sub_f32_e32 v4, v4, v6
	v_add_f32_e32 v4, v4, v5
	v_exp_f32_e32 v4, v4
	v_cvt_i32_f32_e32 v5, v6
	v_cmp_ngt_f32_e32 vcc, s4, v3
	v_cndmask_b32_e32 v1, 0, v1, vcc
	v_cmp_nlt_f32_e32 vcc, s3, v3
	v_cndmask_b32_e32 v1, v18, v1, vcc
	v_add_f32_e32 v0, v0, v1
	v_ldexp_f32 v1, v4, v5
	v_cmp_ngt_f32_e32 vcc, s4, v2
	v_cndmask_b32_e32 v1, 0, v1, vcc
	v_cmp_nlt_f32_e32 vcc, s3, v2
	v_cndmask_b32_e32 v1, v18, v1, vcc
	v_add_f32_e32 v0, v0, v1
	v_cmp_eq_u32_e32 vcc, 0, v23
	s_nop 0
	v_mov_b32_dpp v1, v0 quad_perm:[1,0,3,2] row_mask:0xf bank_mask:0xf
	v_add_f32_e32 v0, v0, v1
	s_nop 1
	v_mov_b32_dpp v1, v0 quad_perm:[2,3,0,1] row_mask:0xf bank_mask:0xf
	v_add_f32_e32 v0, v0, v1
	s_nop 1
	v_mov_b32_dpp v1, v0 row_half_mirror row_mask:0xf bank_mask:0xf
	v_add_f32_e32 v0, v0, v1
	s_nop 1
	v_mov_b32_dpp v1, v0 row_mirror row_mask:0xf bank_mask:0xf
	s_and_b64 exec, exec, vcc
	s_cbranch_execz .LBB293_31
; %bb.19:
	v_add_f32_e32 v0, v0, v1
	v_add_f32_e32 v0, v24, v0
	v_cmp_neq_f32_e32 vcc, 0, v0
	s_and_b64 exec, exec, vcc
	s_cbranch_execz .LBB293_31
; %bb.20:
	s_andn2_b64 vcc, exec, s[44:45]
	s_cbranch_vccnz .LBB293_31
; %bb.21:
	v_div_scale_f32 v1, s[0:1], v0, v0, 1.0
	v_rcp_f32_e32 v2, v1
	v_div_scale_f32 v3, vcc, 1.0, v0, 1.0
	s_cmp_gt_u32 s36, 3
	v_fma_f32 v4, -v1, v2, 1.0
	v_fmac_f32_e32 v2, v4, v2
	v_mul_f32_e32 v4, v3, v2
	v_fma_f32 v5, -v1, v4, v3
	v_fmac_f32_e32 v4, v5, v2
	v_fma_f32 v1, -v1, v4, v3
	v_div_fmas_f32 v1, v1, v2, v4
	v_mul_lo_u32 v2, v22, s39
	v_div_fixup_f32 v0, v1, v0, 1.0
	v_ashrrev_i32_e32 v3, 31, v2
	s_cbranch_scc0 .LBB293_25
; %bb.22:
	v_lshlrev_b64 v[4:5], 2, v[2:3]
	v_mov_b32_e32 v6, s35
	v_add_co_u32_e32 v4, vcc, s34, v4
	v_addc_co_u32_e32 v5, vcc, v5, v6, vcc
	s_and_b32 s4, s36, 0x7ffffffc
	v_add_co_u32_e32 v4, vcc, 8, v4
	v_mov_b32_e32 v1, v0
	v_addc_co_u32_e32 v5, vcc, 0, v5, vcc
	s_mov_b32 s0, s4
.LBB293_23:                             ; =>This Inner Loop Header: Depth=1
	global_load_dwordx4 v[6:9], v[4:5], off offset:-8
	s_add_i32 s0, s0, -4
	s_cmp_lg_u32 s0, 0
	s_waitcnt vmcnt(0)
	v_pk_mul_f32 v[6:7], v[0:1], v[6:7]
	v_pk_mul_f32 v[8:9], v[0:1], v[8:9]
	global_store_dwordx4 v[4:5], v[6:9], off offset:-8
	v_add_co_u32_e32 v4, vcc, 16, v4
	v_addc_co_u32_e32 v5, vcc, 0, v5, vcc
	s_cbranch_scc1 .LBB293_23
; %bb.24:
	s_cmp_lg_u32 s4, s36
	s_mov_b64 s[2:3], 0
	s_cselect_b64 s[0:1], -1, 0
	s_branch .LBB293_26
.LBB293_25:
	s_mov_b64 s[2:3], -1
	s_mov_b64 s[0:1], 0
                                        ; implicit-def: $sgpr4
.LBB293_26:
	s_and_b64 vcc, exec, s[2:3]
	s_cbranch_vccz .LBB293_28
; %bb.27:
	s_mov_b64 s[0:1], -1
	s_mov_b32 s4, 0
.LBB293_28:
	s_andn2_b64 vcc, exec, s[0:1]
	s_cbranch_vccnz .LBB293_31
; %bb.29:
	v_add_co_u32_e32 v2, vcc, s4, v2
	v_addc_co_u32_e32 v3, vcc, 0, v3, vcc
	v_lshlrev_b64 v[2:3], 2, v[2:3]
	v_mov_b32_e32 v1, s35
	v_add_co_u32_e32 v2, vcc, s34, v2
	s_sub_i32 s0, s36, s4
	v_addc_co_u32_e32 v3, vcc, v1, v3, vcc
.LBB293_30:                             ; =>This Inner Loop Header: Depth=1
	global_load_dword v1, v[2:3], off
	s_add_i32 s0, s0, -1
	s_cmp_lg_u32 s0, 0
	s_waitcnt vmcnt(0)
	v_mul_f32_e32 v1, v0, v1
	global_store_dword v[2:3], v1, off
	v_add_co_u32_e32 v2, vcc, 4, v2
	v_addc_co_u32_e32 v3, vcc, 0, v3, vcc
	s_cbranch_scc1 .LBB293_30
.LBB293_31:
	s_endpgm
	.section	.rodata,"a",@progbits
	.p2align	6, 0x0
	.amdhsa_kernel _ZN4vllm3moe17topkGatingSoftmaxItLi16ELi256ELi8ELi32ELb0ELi2ELNS0_23SharedExpertScoringFuncE1EEEvPKT_PKbPfiPiS9_iiiiii
		.amdhsa_group_segment_fixed_size 0
		.amdhsa_private_segment_fixed_size 0
		.amdhsa_kernarg_size 72
		.amdhsa_user_sgpr_count 6
		.amdhsa_user_sgpr_private_segment_buffer 1
		.amdhsa_user_sgpr_dispatch_ptr 0
		.amdhsa_user_sgpr_queue_ptr 0
		.amdhsa_user_sgpr_kernarg_segment_ptr 1
		.amdhsa_user_sgpr_dispatch_id 0
		.amdhsa_user_sgpr_flat_scratch_init 0
		.amdhsa_user_sgpr_kernarg_preload_length 0
		.amdhsa_user_sgpr_kernarg_preload_offset 0
		.amdhsa_user_sgpr_private_segment_size 0
		.amdhsa_uses_dynamic_stack 0
		.amdhsa_system_sgpr_private_segment_wavefront_offset 0
		.amdhsa_system_sgpr_workgroup_id_x 1
		.amdhsa_system_sgpr_workgroup_id_y 0
		.amdhsa_system_sgpr_workgroup_id_z 0
		.amdhsa_system_sgpr_workgroup_info 0
		.amdhsa_system_vgpr_workitem_id 1
		.amdhsa_next_free_vgpr 50
		.amdhsa_next_free_sgpr 54
		.amdhsa_accum_offset 52
		.amdhsa_reserve_vcc 1
		.amdhsa_reserve_flat_scratch 0
		.amdhsa_float_round_mode_32 0
		.amdhsa_float_round_mode_16_64 0
		.amdhsa_float_denorm_mode_32 3
		.amdhsa_float_denorm_mode_16_64 3
		.amdhsa_dx10_clamp 1
		.amdhsa_ieee_mode 1
		.amdhsa_fp16_overflow 0
		.amdhsa_tg_split 0
		.amdhsa_exception_fp_ieee_invalid_op 0
		.amdhsa_exception_fp_denorm_src 0
		.amdhsa_exception_fp_ieee_div_zero 0
		.amdhsa_exception_fp_ieee_overflow 0
		.amdhsa_exception_fp_ieee_underflow 0
		.amdhsa_exception_fp_ieee_inexact 0
		.amdhsa_exception_int_div_zero 0
	.end_amdhsa_kernel
	.section	.text._ZN4vllm3moe17topkGatingSoftmaxItLi16ELi256ELi8ELi32ELb0ELi2ELNS0_23SharedExpertScoringFuncE1EEEvPKT_PKbPfiPiS9_iiiiii,"axG",@progbits,_ZN4vllm3moe17topkGatingSoftmaxItLi16ELi256ELi8ELi32ELb0ELi2ELNS0_23SharedExpertScoringFuncE1EEEvPKT_PKbPfiPiS9_iiiiii,comdat
.Lfunc_end293:
	.size	_ZN4vllm3moe17topkGatingSoftmaxItLi16ELi256ELi8ELi32ELb0ELi2ELNS0_23SharedExpertScoringFuncE1EEEvPKT_PKbPfiPiS9_iiiiii, .Lfunc_end293-_ZN4vllm3moe17topkGatingSoftmaxItLi16ELi256ELi8ELi32ELb0ELi2ELNS0_23SharedExpertScoringFuncE1EEEvPKT_PKbPfiPiS9_iiiiii
                                        ; -- End function
	.section	.AMDGPU.csdata,"",@progbits
; Kernel info:
; codeLenInByte = 4836
; NumSgprs: 58
; NumVgprs: 50
; NumAgprs: 0
; TotalNumVgprs: 50
; ScratchSize: 0
; MemoryBound: 0
; FloatMode: 240
; IeeeMode: 1
; LDSByteSize: 0 bytes/workgroup (compile time only)
; SGPRBlocks: 7
; VGPRBlocks: 6
; NumSGPRsForWavesPerEU: 58
; NumVGPRsForWavesPerEU: 50
; AccumOffset: 52
; Occupancy: 8
; WaveLimiterHint : 0
; COMPUTE_PGM_RSRC2:SCRATCH_EN: 0
; COMPUTE_PGM_RSRC2:USER_SGPR: 6
; COMPUTE_PGM_RSRC2:TRAP_HANDLER: 0
; COMPUTE_PGM_RSRC2:TGID_X_EN: 1
; COMPUTE_PGM_RSRC2:TGID_Y_EN: 0
; COMPUTE_PGM_RSRC2:TGID_Z_EN: 0
; COMPUTE_PGM_RSRC2:TIDIG_COMP_CNT: 1
; COMPUTE_PGM_RSRC3_GFX90A:ACCUM_OFFSET: 12
; COMPUTE_PGM_RSRC3_GFX90A:TG_SPLIT: 0
	.section	.text._ZN4vllm3moe17topkGatingSoftmaxItLi16ELi256ELi8ELi32ELb1ELi4ELNS0_23SharedExpertScoringFuncE1EEEvPKT_PKbPfiPiS9_iiiiii,"axG",@progbits,_ZN4vllm3moe17topkGatingSoftmaxItLi16ELi256ELi8ELi32ELb1ELi4ELNS0_23SharedExpertScoringFuncE1EEEvPKT_PKbPfiPiS9_iiiiii,comdat
	.protected	_ZN4vllm3moe17topkGatingSoftmaxItLi16ELi256ELi8ELi32ELb1ELi4ELNS0_23SharedExpertScoringFuncE1EEEvPKT_PKbPfiPiS9_iiiiii ; -- Begin function _ZN4vllm3moe17topkGatingSoftmaxItLi16ELi256ELi8ELi32ELb1ELi4ELNS0_23SharedExpertScoringFuncE1EEEvPKT_PKbPfiPiS9_iiiiii
	.globl	_ZN4vllm3moe17topkGatingSoftmaxItLi16ELi256ELi8ELi32ELb1ELi4ELNS0_23SharedExpertScoringFuncE1EEEvPKT_PKbPfiPiS9_iiiiii
	.p2align	8
	.type	_ZN4vllm3moe17topkGatingSoftmaxItLi16ELi256ELi8ELi32ELb1ELi4ELNS0_23SharedExpertScoringFuncE1EEEvPKT_PKbPfiPiS9_iiiiii,@function
_ZN4vllm3moe17topkGatingSoftmaxItLi16ELi256ELi8ELi32ELb1ELi4ELNS0_23SharedExpertScoringFuncE1EEEvPKT_PKbPfiPiS9_iiiiii: ; @_ZN4vllm3moe17topkGatingSoftmaxItLi16ELi256ELi8ELi32ELb1ELi4ELNS0_23SharedExpertScoringFuncE1EEEvPKT_PKbPfiPiS9_iiiiii
; %bb.0:
	s_load_dword s33, s[4:5], 0x18
	v_bfe_u32 v1, v0, 10, 10
	v_and_b32_e32 v0, 0x3ff, v0
	s_lshl_b32 s50, s6, 5
	v_lshlrev_b32_e32 v41, 2, v1
	v_lshrrev_b32_e32 v42, 4, v0
	v_add3_u32 v22, s50, v41, v42
	s_waitcnt lgkmcnt(0)
	v_cmp_gt_i32_e32 vcc, s33, v22
	s_and_saveexec_b64 s[0:1], vcc
	s_cbranch_execz .LBB294_29
; %bb.1:
	s_load_dwordx4 s[0:3], s[4:5], 0x0
	s_load_dwordx2 s[34:35], s[4:5], 0x10
	s_waitcnt lgkmcnt(0)
	s_cmp_eq_u64 s[2:3], 0
	s_cbranch_scc1 .LBB294_3
; %bb.2:
	v_ashrrev_i32_e32 v1, 31, v22
	v_mov_b32_e32 v3, s3
	v_add_co_u32_e32 v2, vcc, s2, v22
	v_addc_co_u32_e32 v3, vcc, v3, v1, vcc
	global_load_ubyte v1, v[2:3], off
	s_waitcnt vmcnt(0)
	v_and_b32_e32 v1, 1, v1
	v_cmp_eq_u32_e32 vcc, 1, v1
	s_xor_b64 s[2:3], vcc, -1
	s_orn2_b64 s[44:45], s[2:3], exec
	s_branch .LBB294_4
.LBB294_3:
	s_mov_b64 s[44:45], -1
.LBB294_4:
	s_load_dwordx2 s[8:9], s[4:5], 0x40
	s_load_dwordx4 s[36:39], s[4:5], 0x30
	v_mov_b32_e32 v4, s1
	v_and_b32_e32 v23, 15, v0
	v_lshlrev_b32_e32 v0, 5, v23
	s_waitcnt lgkmcnt(0)
	v_mul_lo_u32 v2, v22, s9
	v_ashrrev_i32_e32 v3, 31, v2
	v_lshlrev_b64 v[2:3], 1, v[2:3]
	v_add_co_u32_e32 v1, vcc, s0, v2
	v_addc_co_u32_e32 v2, vcc, v4, v3, vcc
	v_add_co_u32_e32 v8, vcc, v1, v0
	v_addc_co_u32_e32 v9, vcc, 0, v2, vcc
	global_load_dwordx4 v[12:15], v[8:9], off offset:16
	global_load_dwordx4 v[4:7], v[8:9], off
	v_lshlrev_b32_e32 v25, 4, v23
	v_mov_b32_e32 v24, 0
	v_cmp_gt_u32_e32 vcc, 4, v23
	s_and_saveexec_b64 s[0:1], vcc
	s_cbranch_execz .LBB294_6
; %bb.5:
	v_lshlrev_b32_e32 v0, 1, v23
	v_add_co_u32_e32 v0, vcc, v1, v0
	v_addc_co_u32_e32 v1, vcc, 0, v2, vcc
	global_load_ushort v0, v[0:1], off offset:512
	s_mov_b32 s2, 0xbfb8aa3b
	s_mov_b32 s3, 0x42ce8ed0
	;; [unrolled: 1-line block ×3, first 2 shown]
	v_mov_b32_e32 v3, 0x7f800000
	v_mul_lo_u32 v1, v22, s39
	v_mov_b32_e32 v10, s35
	s_waitcnt vmcnt(0)
	v_cvt_f32_u32_e32 v2, v0
	v_mul_f32_e32 v0, 0xbfb8aa3b, v2
	v_fma_f32 v8, v2, s2, -v0
	v_rndne_f32_e32 v9, v0
	v_fmac_f32_e32 v8, 0xb2a5705f, v2
	v_sub_f32_e32 v0, v0, v9
	v_add_f32_e32 v0, v0, v8
	v_cvt_i32_f32_e32 v9, v9
	v_exp_f32_e32 v8, v0
	v_cmp_nlt_f32_e32 vcc, s3, v2
	v_add3_u32 v0, v1, s36, v23
	v_ashrrev_i32_e32 v1, 31, v0
	v_ldexp_f32 v8, v8, v9
	v_cndmask_b32_e32 v8, 0, v8, vcc
	v_cmp_ngt_f32_e32 vcc, s6, v2
	v_cndmask_b32_e32 v2, v3, v8, vcc
	v_add_f32_e32 v2, 1.0, v2
	v_div_scale_f32 v3, s[2:3], v2, v2, 1.0
	v_rcp_f32_e32 v8, v3
	v_div_scale_f32 v9, vcc, 1.0, v2, 1.0
	v_lshlrev_b64 v[0:1], 2, v[0:1]
	v_fma_f32 v11, -v3, v8, 1.0
	v_fmac_f32_e32 v8, v11, v8
	v_mul_f32_e32 v11, v9, v8
	v_fma_f32 v16, -v3, v11, v9
	v_fmac_f32_e32 v11, v16, v8
	v_fma_f32 v3, -v3, v11, v9
	v_div_fmas_f32 v3, v3, v8, v11
	v_add_co_u32_e32 v0, vcc, s34, v0
	v_div_fixup_f32 v2, v3, v2, 1.0
	v_addc_co_u32_e32 v1, vcc, v10, v1, vcc
	global_store_dword v[0:1], v2, off
.LBB294_6:
	s_or_b64 exec, exec, s[0:1]
	s_waitcnt vmcnt(0)
	v_cvt_f32_u32_sdwa v1, v4 dst_sel:DWORD dst_unused:UNUSED_PAD src0_sel:WORD_1
	v_cvt_f32_u32_sdwa v0, v4 dst_sel:DWORD dst_unused:UNUSED_PAD src0_sel:WORD_0
	v_cvt_f32_u32_sdwa v2, v5 dst_sel:DWORD dst_unused:UNUSED_PAD src0_sel:WORD_0
	v_or_b32_e32 v26, 1, v25
	v_or_b32_e32 v27, 2, v25
	v_cmp_lt_f32_e32 vcc, v0, v1
	v_cndmask_b32_e32 v4, v0, v1, vcc
	v_cndmask_b32_e32 v3, v25, v26, vcc
	v_cmp_lt_f32_e32 vcc, v4, v2
	v_cndmask_b32_e32 v8, v3, v27, vcc
	v_cvt_f32_u32_sdwa v3, v5 dst_sel:DWORD dst_unused:UNUSED_PAD src0_sel:WORD_1
	v_cndmask_b32_e32 v4, v4, v2, vcc
	v_or_b32_e32 v28, 3, v25
	v_or_b32_e32 v29, 4, v25
	v_cmp_lt_f32_e32 vcc, v4, v3
	v_cndmask_b32_e32 v5, v8, v28, vcc
	v_cndmask_b32_e32 v8, v4, v3, vcc
	v_cvt_f32_u32_sdwa v4, v6 dst_sel:DWORD dst_unused:UNUSED_PAD src0_sel:WORD_0
	v_or_b32_e32 v30, 5, v25
	v_or_b32_e32 v31, 6, v25
	;; [unrolled: 1-line block ×3, first 2 shown]
	v_cmp_lt_f32_e32 vcc, v8, v4
	v_cndmask_b32_e32 v9, v5, v29, vcc
	v_cvt_f32_u32_sdwa v5, v6 dst_sel:DWORD dst_unused:UNUSED_PAD src0_sel:WORD_1
	v_cvt_f32_u32_sdwa v6, v7 dst_sel:DWORD dst_unused:UNUSED_PAD src0_sel:WORD_0
	v_cndmask_b32_e32 v8, v8, v4, vcc
	v_cvt_f32_u32_sdwa v7, v7 dst_sel:DWORD dst_unused:UNUSED_PAD src0_sel:WORD_1
	v_cmp_lt_f32_e32 vcc, v8, v5
	v_cndmask_b32_e32 v8, v8, v5, vcc
	v_cndmask_b32_e32 v9, v9, v30, vcc
	v_cmp_lt_f32_e32 vcc, v8, v6
	v_cndmask_b32_e32 v8, v8, v6, vcc
	v_cndmask_b32_e32 v9, v9, v31, vcc
	v_cmp_lt_f32_e32 vcc, v8, v7
	v_cndmask_b32_e32 v10, v8, v7, vcc
	v_cvt_f32_u32_sdwa v8, v12 dst_sel:DWORD dst_unused:UNUSED_PAD src0_sel:WORD_0
	v_cndmask_b32_e32 v9, v9, v32, vcc
	v_or_b32_e32 v33, 8, v25
	v_or_b32_e32 v34, 9, v25
	v_cmp_lt_f32_e32 vcc, v10, v8
	v_cndmask_b32_e32 v11, v9, v33, vcc
	v_cvt_f32_u32_sdwa v9, v12 dst_sel:DWORD dst_unused:UNUSED_PAD src0_sel:WORD_1
	v_cndmask_b32_e32 v10, v10, v8, vcc
	v_or_b32_e32 v35, 10, v25
	v_or_b32_e32 v36, 11, v25
	v_cmp_lt_f32_e32 vcc, v10, v9
	v_cndmask_b32_e32 v12, v10, v9, vcc
	v_cvt_f32_u32_sdwa v10, v13 dst_sel:DWORD dst_unused:UNUSED_PAD src0_sel:WORD_0
	v_cndmask_b32_e32 v11, v11, v34, vcc
	v_or_b32_e32 v37, 12, v25
	v_or_b32_e32 v38, 13, v25
	v_cmp_lt_f32_e32 vcc, v12, v10
	v_cndmask_b32_e32 v16, v11, v35, vcc
	v_cvt_f32_u32_sdwa v11, v13 dst_sel:DWORD dst_unused:UNUSED_PAD src0_sel:WORD_1
	v_cndmask_b32_e32 v12, v12, v10, vcc
	v_or_b32_e32 v39, 14, v25
	v_or_b32_e32 v40, 15, v25
	v_cmp_lt_f32_e32 vcc, v12, v11
	v_cndmask_b32_e32 v13, v16, v36, vcc
	v_cndmask_b32_e32 v16, v12, v11, vcc
	v_cvt_f32_u32_sdwa v12, v14 dst_sel:DWORD dst_unused:UNUSED_PAD src0_sel:WORD_0
	v_cmp_lt_f32_e32 vcc, v16, v12
	v_cndmask_b32_e32 v17, v13, v37, vcc
	v_cvt_f32_u32_sdwa v13, v14 dst_sel:DWORD dst_unused:UNUSED_PAD src0_sel:WORD_1
	v_cvt_f32_u32_sdwa v14, v15 dst_sel:DWORD dst_unused:UNUSED_PAD src0_sel:WORD_0
	v_cndmask_b32_e32 v16, v16, v12, vcc
	v_cvt_f32_u32_sdwa v15, v15 dst_sel:DWORD dst_unused:UNUSED_PAD src0_sel:WORD_1
	v_cmp_lt_f32_e32 vcc, v16, v13
	v_cndmask_b32_e32 v16, v16, v13, vcc
	v_cndmask_b32_e32 v17, v17, v38, vcc
	v_cmp_lt_f32_e32 vcc, v16, v14
	v_cndmask_b32_e32 v16, v16, v14, vcc
	v_cndmask_b32_e32 v17, v17, v39, vcc
	;; [unrolled: 3-line block ×3, first 2 shown]
	s_nop 0
	v_mov_b32_dpp v19, v17 quad_perm:[1,0,3,2] row_mask:0xf bank_mask:0xf
	v_mov_b32_dpp v18, v16 quad_perm:[1,0,3,2] row_mask:0xf bank_mask:0xf
	v_cmp_eq_f32_e64 s[0:1], v16, v18
	v_cmp_lt_i32_e64 s[2:3], v19, v17
	v_cmp_lt_f32_e32 vcc, v16, v18
	s_and_b64 s[0:1], s[0:1], s[2:3]
	s_or_b64 vcc, vcc, s[0:1]
	v_cndmask_b32_e32 v16, v16, v18, vcc
	v_cndmask_b32_e32 v17, v17, v19, vcc
	s_nop 0
	v_mov_b32_dpp v18, v16 quad_perm:[2,3,0,1] row_mask:0xf bank_mask:0xf
	v_mov_b32_dpp v19, v17 quad_perm:[2,3,0,1] row_mask:0xf bank_mask:0xf
	v_cmp_eq_f32_e64 s[0:1], v16, v18
	v_cmp_lt_i32_e64 s[2:3], v19, v17
	v_cmp_lt_f32_e32 vcc, v16, v18
	s_and_b64 s[0:1], s[0:1], s[2:3]
	s_or_b64 vcc, vcc, s[0:1]
	v_cndmask_b32_e32 v16, v16, v18, vcc
	v_cndmask_b32_e32 v17, v17, v19, vcc
	s_nop 0
	v_mov_b32_dpp v18, v16 row_half_mirror row_mask:0xf bank_mask:0xf
	v_mov_b32_dpp v19, v17 row_half_mirror row_mask:0xf bank_mask:0xf
	v_cmp_eq_f32_e64 s[0:1], v16, v18
	v_cmp_lt_i32_e64 s[2:3], v19, v17
	v_cmp_lt_f32_e32 vcc, v16, v18
	s_and_b64 s[0:1], s[0:1], s[2:3]
	s_or_b64 vcc, vcc, s[0:1]
	v_cndmask_b32_e32 v16, v16, v18, vcc
	v_cndmask_b32_e32 v17, v17, v19, vcc
	s_cmp_gt_i32 s36, 0
	s_cselect_b64 s[46:47], -1, 0
	s_cmp_lt_i32 s36, 1
	v_cmp_eq_u32_e32 vcc, 0, v23
	v_mov_b32_dpp v18, v17 row_mirror row_mask:0xf bank_mask:0xf
	v_mov_b32_dpp v19, v16 row_mirror row_mask:0xf bank_mask:0xf
	s_cbranch_scc1 .LBB294_18
; %bb.7:
	s_load_dwordx4 s[40:43], s[4:5], 0x20
	v_cmp_eq_f32_e64 s[2:3], v16, v19
	v_cmp_lt_i32_e64 s[6:7], v18, v17
	v_cmp_lt_f32_e64 s[0:1], v16, v19
	s_and_b64 s[2:3], s[2:3], s[6:7]
	s_or_b64 s[0:1], s[0:1], s[2:3]
	v_cndmask_b32_e64 v44, v17, v18, s[0:1]
	v_cndmask_b32_e64 v43, v16, v19, s[0:1]
	v_mul_lo_u32 v20, v22, s39
	v_mul_lo_u32 v18, v22, s8
	;; [unrolled: 1-line block ×3, first 2 shown]
	v_mov_b32_e32 v24, 0
	s_and_saveexec_b64 s[4:5], vcc
	s_cbranch_execz .LBB294_9
; %bb.8:
	v_sub_f32_e32 v17, v43, v43
	v_mul_f32_e32 v19, 0x3fb8aa3b, v17
	s_mov_b32 s0, 0x3fb8aa3b
	v_rndne_f32_e32 v21, v19
	v_sub_f32_e32 v24, v19, v21
	v_fma_f32 v19, v17, s0, -v19
	v_fmac_f32_e32 v19, 0x32a5705f, v17
	v_add_f32_e32 v19, v24, v19
	v_exp_f32_e32 v19, v19
	v_cvt_i32_f32_e32 v21, v21
	v_cmp_le_i32_e64 s[0:1], s37, v44
	v_cmp_gt_i32_e64 s[2:3], s38, v44
	s_and_b64 s[2:3], s[0:1], s[2:3]
	s_mov_b32 s0, 0xc2ce8ed0
	v_ldexp_f32 v19, v19, v21
	v_cmp_ngt_f32_e64 s[0:1], s0, v17
	v_cndmask_b32_e64 v19, 0, v19, s[0:1]
	s_mov_b32 s0, 0x42b17218
	v_mov_b32_e32 v21, 0x7f800000
	v_cmp_nlt_f32_e64 s[0:1], s0, v17
	v_cndmask_b32_e64 v24, v21, v19, s[0:1]
	v_ashrrev_i32_e32 v21, 31, v20
	v_lshlrev_b64 v[46:47], 2, v[20:21]
	v_mov_b32_e32 v17, s35
	v_add_co_u32_e64 v46, s[0:1], s34, v46
	v_addc_co_u32_e64 v47, s[0:1], v17, v47, s[0:1]
	v_subrev_u32_e32 v17, s37, v44
	v_mov_b32_e32 v19, 0x100
	s_and_b64 s[0:1], s[44:45], s[2:3]
	v_cndmask_b32_e64 v17, v19, v17, s[0:1]
	v_ashrrev_i32_e32 v19, 31, v18
	global_store_dword v[46:47], v24, off
	v_lshlrev_b64 v[46:47], 2, v[18:19]
	s_waitcnt lgkmcnt(0)
	v_mov_b32_e32 v19, s41
	v_add_co_u32_e64 v46, s[0:1], s40, v46
	v_addc_co_u32_e64 v47, s[0:1], v19, v47, s[0:1]
	global_store_dword v[46:47], v17, off
	v_ashrrev_i32_e32 v17, 31, v16
	v_lshlrev_b64 v[46:47], 2, v[16:17]
	v_mov_b32_e32 v17, s43
	v_add_co_u32_e64 v46, s[0:1], s42, v46
	v_addc_co_u32_e64 v47, s[0:1], v17, v47, s[0:1]
	global_store_dword v[46:47], v22, off
.LBB294_9:
	s_or_b64 exec, exec, s[4:5]
	v_ashrrev_i32_e32 v17, 31, v44
	v_lshrrev_b32_e32 v19, 28, v17
	v_add_u32_e32 v19, v44, v19
	v_ashrrev_i32_e32 v19, 4, v19
	v_lshrrev_b32_e32 v21, 28, v19
	v_add_u32_e32 v21, v19, v21
	v_and_b32_e32 v21, -16, v21
	v_sub_u32_e32 v21, v19, v21
	v_cmp_eq_u32_e64 s[0:1], v23, v21
	s_and_saveexec_b64 s[48:49], s[0:1]
	s_cbranch_execz .LBB294_11
; %bb.10:
	v_add_u32_sdwa v17, v44, v17 dst_sel:DWORD dst_unused:UNUSED_PAD src0_sel:DWORD src1_sel:BYTE_3
	v_lshlrev_b32_e32 v19, 4, v19
	v_sub_u32_e32 v19, v44, v19
	v_ashrrev_i32_e32 v17, 8, v17
	v_lshl_add_u32 v17, v17, 4, v19
	v_mov_b32_e32 v19, 0xff800000
	v_cmp_ne_u32_e64 s[0:1], 14, v17
	v_cmp_ne_u32_e64 s[2:3], 13, v17
	;; [unrolled: 1-line block ×16, first 2 shown]
	v_cndmask_b32_e64 v15, v19, v15, s[30:31]
	v_cndmask_b32_e64 v14, v19, v14, s[0:1]
	;; [unrolled: 1-line block ×16, first 2 shown]
.LBB294_11:
	s_or_b64 exec, exec, s[48:49]
	s_cmp_eq_u32 s36, 1
	s_cbranch_scc1 .LBB294_18
; %bb.12:
	s_add_i32 s50, s50, s33
	s_add_i32 s51, s36, -1
	v_add3_u32 v41, s50, v42, v41
	v_add_u32_e32 v16, 1, v16
	v_add_u32_e32 v18, 1, v18
	;; [unrolled: 1-line block ×3, first 2 shown]
	s_mov_b32 s50, 0x3fb8aa3b
	s_mov_b32 s52, 0xc2ce8ed0
	;; [unrolled: 1-line block ×3, first 2 shown]
	v_mov_b32_e32 v42, 0x7f800000
	v_mov_b32_e32 v44, 0x100
	;; [unrolled: 1-line block ×3, first 2 shown]
	s_branch .LBB294_14
.LBB294_13:                             ;   in Loop: Header=BB294_14 Depth=1
	s_or_b64 exec, exec, s[48:49]
	s_add_i32 s51, s51, -1
	v_add_u32_e32 v41, s33, v41
	v_add_u32_e32 v16, 1, v16
	v_add_u32_e32 v18, 1, v18
	s_cmp_eq_u32 s51, 0
	v_add_u32_e32 v20, 1, v20
	s_cbranch_scc1 .LBB294_18
.LBB294_14:                             ; =>This Inner Loop Header: Depth=1
	v_cmp_gt_f32_e64 s[0:1], v1, v0
	v_cndmask_b32_e64 v19, v0, v1, s[0:1]
	v_cndmask_b32_e64 v17, v25, v26, s[0:1]
	v_cmp_gt_f32_e64 s[0:1], v2, v19
	v_cndmask_b32_e64 v19, v19, v2, s[0:1]
	v_cndmask_b32_e64 v17, v17, v27, s[0:1]
	;; [unrolled: 3-line block ×15, first 2 shown]
	s_nop 0
	v_mov_b32_dpp v46, v17 quad_perm:[1,0,3,2] row_mask:0xf bank_mask:0xf
	v_mov_b32_dpp v21, v19 quad_perm:[1,0,3,2] row_mask:0xf bank_mask:0xf
	v_cmp_eq_f32_e64 s[2:3], v19, v21
	v_cmp_lt_i32_e64 s[4:5], v46, v17
	v_cmp_lt_f32_e64 s[0:1], v19, v21
	s_and_b64 s[2:3], s[2:3], s[4:5]
	s_or_b64 s[0:1], s[0:1], s[2:3]
	v_cndmask_b32_e64 v19, v19, v21, s[0:1]
	v_cndmask_b32_e64 v17, v17, v46, s[0:1]
	s_nop 0
	v_mov_b32_dpp v21, v19 quad_perm:[2,3,0,1] row_mask:0xf bank_mask:0xf
	v_mov_b32_dpp v46, v17 quad_perm:[2,3,0,1] row_mask:0xf bank_mask:0xf
	v_cmp_eq_f32_e64 s[2:3], v19, v21
	v_cmp_lt_i32_e64 s[4:5], v46, v17
	v_cmp_lt_f32_e64 s[0:1], v19, v21
	s_and_b64 s[2:3], s[2:3], s[4:5]
	s_or_b64 s[0:1], s[0:1], s[2:3]
	v_cndmask_b32_e64 v19, v19, v21, s[0:1]
	v_cndmask_b32_e64 v21, v17, v46, s[0:1]
	s_nop 0
	v_mov_b32_dpp v17, v19 row_half_mirror row_mask:0xf bank_mask:0xf
	v_mov_b32_dpp v46, v21 row_half_mirror row_mask:0xf bank_mask:0xf
	v_cmp_eq_f32_e64 s[2:3], v19, v17
	v_cmp_lt_i32_e64 s[4:5], v46, v21
	v_cmp_lt_f32_e64 s[0:1], v19, v17
	s_and_b64 s[2:3], s[2:3], s[4:5]
	s_or_b64 s[0:1], s[0:1], s[2:3]
	v_cndmask_b32_e64 v17, v19, v17, s[0:1]
	v_cndmask_b32_e64 v21, v21, v46, s[0:1]
	s_nop 0
	v_mov_b32_dpp v19, v17 row_mirror row_mask:0xf bank_mask:0xf
	v_mov_b32_dpp v46, v21 row_mirror row_mask:0xf bank_mask:0xf
	v_cmp_eq_f32_e64 s[2:3], v17, v19
	v_cmp_lt_i32_e64 s[4:5], v46, v21
	v_cmp_lt_f32_e64 s[0:1], v17, v19
	s_and_b64 s[2:3], s[2:3], s[4:5]
	s_or_b64 s[0:1], s[0:1], s[2:3]
	v_cndmask_b32_e64 v46, v21, v46, s[0:1]
	s_and_saveexec_b64 s[4:5], vcc
	s_cbranch_execz .LBB294_16
; %bb.15:                               ;   in Loop: Header=BB294_14 Depth=1
	v_cndmask_b32_e64 v17, v17, v19, s[0:1]
	v_sub_f32_e32 v17, v17, v43
	v_mul_f32_e32 v19, 0x3fb8aa3b, v17
	v_fma_f32 v21, v17, s50, -v19
	v_rndne_f32_e32 v47, v19
	v_fmac_f32_e32 v21, 0x32a5705f, v17
	v_sub_f32_e32 v19, v19, v47
	v_add_f32_e32 v19, v19, v21
	v_exp_f32_e32 v19, v19
	v_cvt_i32_f32_e32 v21, v47
	v_cmp_le_i32_e64 s[0:1], s37, v46
	v_cmp_gt_i32_e64 s[2:3], s38, v46
	s_and_b64 s[2:3], s[0:1], s[2:3]
	v_ldexp_f32 v19, v19, v21
	v_cmp_ngt_f32_e64 s[0:1], s52, v17
	v_ashrrev_i32_e32 v21, 31, v20
	v_cndmask_b32_e64 v19, 0, v19, s[0:1]
	v_cmp_nlt_f32_e64 s[0:1], s53, v17
	v_lshlrev_b64 v[48:49], 2, v[20:21]
	v_cndmask_b32_e64 v47, v42, v19, s[0:1]
	v_mov_b32_e32 v17, s35
	v_add_co_u32_e64 v48, s[0:1], s34, v48
	v_addc_co_u32_e64 v49, s[0:1], v17, v49, s[0:1]
	v_ashrrev_i32_e32 v19, 31, v18
	global_store_dword v[48:49], v47, off
	v_subrev_u32_e32 v17, s37, v46
	s_and_b64 s[0:1], s[44:45], s[2:3]
	v_lshlrev_b64 v[48:49], 2, v[18:19]
	v_cndmask_b32_e64 v17, v44, v17, s[0:1]
	s_waitcnt lgkmcnt(0)
	v_mov_b32_e32 v19, s41
	v_add_co_u32_e64 v48, s[0:1], s40, v48
	v_addc_co_u32_e64 v49, s[0:1], v19, v49, s[0:1]
	global_store_dword v[48:49], v17, off
	v_ashrrev_i32_e32 v17, 31, v16
	v_lshlrev_b64 v[48:49], 2, v[16:17]
	v_mov_b32_e32 v17, s43
	v_add_co_u32_e64 v48, s[0:1], s42, v48
	v_addc_co_u32_e64 v49, s[0:1], v17, v49, s[0:1]
	v_add_f32_e32 v24, v24, v47
	global_store_dword v[48:49], v41, off
.LBB294_16:                             ;   in Loop: Header=BB294_14 Depth=1
	s_or_b64 exec, exec, s[4:5]
	v_ashrrev_i32_e32 v17, 31, v46
	v_lshrrev_b32_e32 v19, 28, v17
	v_add_u32_e32 v19, v46, v19
	v_ashrrev_i32_e32 v19, 4, v19
	v_lshrrev_b32_e32 v21, 28, v19
	v_add_u32_e32 v21, v19, v21
	v_and_b32_e32 v21, -16, v21
	v_sub_u32_e32 v21, v19, v21
	v_cmp_eq_u32_e64 s[0:1], v23, v21
	s_and_saveexec_b64 s[48:49], s[0:1]
	s_cbranch_execz .LBB294_13
; %bb.17:                               ;   in Loop: Header=BB294_14 Depth=1
	v_add_u32_sdwa v17, v46, v17 dst_sel:DWORD dst_unused:UNUSED_PAD src0_sel:DWORD src1_sel:BYTE_3
	v_lshlrev_b32_e32 v19, 4, v19
	v_sub_u32_e32 v19, v46, v19
	v_ashrrev_i32_e32 v17, 8, v17
	v_lshl_add_u32 v17, v17, 4, v19
	v_cmp_ne_u32_e64 s[0:1], 14, v17
	v_cmp_ne_u32_e64 s[2:3], 13, v17
	;; [unrolled: 1-line block ×16, first 2 shown]
	v_cndmask_b32_e64 v15, v45, v15, s[30:31]
	v_cndmask_b32_e64 v14, v45, v14, s[0:1]
	v_cndmask_b32_e64 v13, v45, v13, s[2:3]
	v_cndmask_b32_e64 v12, v45, v12, s[4:5]
	v_cndmask_b32_e64 v11, v45, v11, s[6:7]
	v_cndmask_b32_e64 v10, v45, v10, s[8:9]
	v_cndmask_b32_e64 v9, v45, v9, s[10:11]
	v_cndmask_b32_e64 v8, v45, v8, s[12:13]
	v_cndmask_b32_e64 v7, v45, v7, s[14:15]
	v_cndmask_b32_e64 v6, v45, v6, s[16:17]
	v_cndmask_b32_e64 v5, v45, v5, s[18:19]
	v_cndmask_b32_e64 v4, v45, v4, s[20:21]
	v_cndmask_b32_e64 v3, v45, v3, s[22:23]
	v_cndmask_b32_e64 v2, v45, v2, s[24:25]
	v_cndmask_b32_e64 v1, v45, v1, s[26:27]
	v_cndmask_b32_e64 v0, v45, v0, s[28:29]
	s_branch .LBB294_13
.LBB294_18:
	v_cmp_eq_u32_e32 vcc, 0, v23
	v_cmp_neq_f32_e64 s[0:1], 0, v24
	s_and_b64 s[0:1], vcc, s[0:1]
	s_and_b64 exec, exec, s[0:1]
	s_cbranch_execz .LBB294_29
; %bb.19:
	s_andn2_b64 vcc, exec, s[46:47]
	s_cbranch_vccnz .LBB294_29
; %bb.20:
	v_div_scale_f32 v0, s[0:1], v24, v24, 1.0
	v_rcp_f32_e32 v1, v0
	v_div_scale_f32 v2, vcc, 1.0, v24, 1.0
	s_cmp_gt_u32 s36, 3
	v_fma_f32 v3, -v0, v1, 1.0
	v_fmac_f32_e32 v1, v3, v1
	v_mul_f32_e32 v3, v2, v1
	v_fma_f32 v4, -v0, v3, v2
	v_fmac_f32_e32 v3, v4, v1
	v_fma_f32 v0, -v0, v3, v2
	v_div_fmas_f32 v0, v0, v1, v3
	v_mul_lo_u32 v2, v22, s39
	v_div_fixup_f32 v0, v0, v24, 1.0
	v_ashrrev_i32_e32 v3, 31, v2
	s_cbranch_scc0 .LBB294_24
; %bb.21:
	v_lshlrev_b64 v[4:5], 2, v[2:3]
	v_mov_b32_e32 v6, s35
	v_add_co_u32_e32 v4, vcc, s34, v4
	v_addc_co_u32_e32 v5, vcc, v5, v6, vcc
	s_and_b32 s4, s36, 0x7ffffffc
	v_add_co_u32_e32 v4, vcc, 8, v4
	v_mov_b32_e32 v1, v0
	v_addc_co_u32_e32 v5, vcc, 0, v5, vcc
	s_mov_b32 s0, s4
.LBB294_22:                             ; =>This Inner Loop Header: Depth=1
	global_load_dwordx4 v[6:9], v[4:5], off offset:-8
	s_add_i32 s0, s0, -4
	s_cmp_lg_u32 s0, 0
	s_waitcnt vmcnt(0)
	v_pk_mul_f32 v[6:7], v[0:1], v[6:7]
	v_pk_mul_f32 v[8:9], v[0:1], v[8:9]
	global_store_dwordx4 v[4:5], v[6:9], off offset:-8
	v_add_co_u32_e32 v4, vcc, 16, v4
	v_addc_co_u32_e32 v5, vcc, 0, v5, vcc
	s_cbranch_scc1 .LBB294_22
; %bb.23:
	s_cmp_lg_u32 s4, s36
	s_cselect_b64 s[0:1], -1, 0
	s_branch .LBB294_26
.LBB294_24:
	s_mov_b64 s[0:1], 0
                                        ; implicit-def: $sgpr4
	s_cbranch_execz .LBB294_26
; %bb.25:
	s_mov_b64 s[0:1], -1
	s_mov_b32 s4, 0
.LBB294_26:
	s_andn2_b64 vcc, exec, s[0:1]
	s_cbranch_vccnz .LBB294_29
; %bb.27:
	v_add_co_u32_e32 v2, vcc, s4, v2
	v_addc_co_u32_e32 v3, vcc, 0, v3, vcc
	v_lshlrev_b64 v[2:3], 2, v[2:3]
	v_mov_b32_e32 v1, s35
	v_add_co_u32_e32 v2, vcc, s34, v2
	s_sub_i32 s0, s36, s4
	v_addc_co_u32_e32 v3, vcc, v1, v3, vcc
.LBB294_28:                             ; =>This Inner Loop Header: Depth=1
	global_load_dword v1, v[2:3], off
	s_add_i32 s0, s0, -1
	s_cmp_lg_u32 s0, 0
	s_waitcnt vmcnt(0)
	v_mul_f32_e32 v1, v0, v1
	global_store_dword v[2:3], v1, off
	v_add_co_u32_e32 v2, vcc, 4, v2
	v_addc_co_u32_e32 v3, vcc, 0, v3, vcc
	s_cbranch_scc1 .LBB294_28
.LBB294_29:
	s_endpgm
	.section	.rodata,"a",@progbits
	.p2align	6, 0x0
	.amdhsa_kernel _ZN4vllm3moe17topkGatingSoftmaxItLi16ELi256ELi8ELi32ELb1ELi4ELNS0_23SharedExpertScoringFuncE1EEEvPKT_PKbPfiPiS9_iiiiii
		.amdhsa_group_segment_fixed_size 0
		.amdhsa_private_segment_fixed_size 0
		.amdhsa_kernarg_size 72
		.amdhsa_user_sgpr_count 6
		.amdhsa_user_sgpr_private_segment_buffer 1
		.amdhsa_user_sgpr_dispatch_ptr 0
		.amdhsa_user_sgpr_queue_ptr 0
		.amdhsa_user_sgpr_kernarg_segment_ptr 1
		.amdhsa_user_sgpr_dispatch_id 0
		.amdhsa_user_sgpr_flat_scratch_init 0
		.amdhsa_user_sgpr_kernarg_preload_length 0
		.amdhsa_user_sgpr_kernarg_preload_offset 0
		.amdhsa_user_sgpr_private_segment_size 0
		.amdhsa_uses_dynamic_stack 0
		.amdhsa_system_sgpr_private_segment_wavefront_offset 0
		.amdhsa_system_sgpr_workgroup_id_x 1
		.amdhsa_system_sgpr_workgroup_id_y 0
		.amdhsa_system_sgpr_workgroup_id_z 0
		.amdhsa_system_sgpr_workgroup_info 0
		.amdhsa_system_vgpr_workitem_id 1
		.amdhsa_next_free_vgpr 50
		.amdhsa_next_free_sgpr 54
		.amdhsa_accum_offset 52
		.amdhsa_reserve_vcc 1
		.amdhsa_reserve_flat_scratch 0
		.amdhsa_float_round_mode_32 0
		.amdhsa_float_round_mode_16_64 0
		.amdhsa_float_denorm_mode_32 3
		.amdhsa_float_denorm_mode_16_64 3
		.amdhsa_dx10_clamp 1
		.amdhsa_ieee_mode 1
		.amdhsa_fp16_overflow 0
		.amdhsa_tg_split 0
		.amdhsa_exception_fp_ieee_invalid_op 0
		.amdhsa_exception_fp_denorm_src 0
		.amdhsa_exception_fp_ieee_div_zero 0
		.amdhsa_exception_fp_ieee_overflow 0
		.amdhsa_exception_fp_ieee_underflow 0
		.amdhsa_exception_fp_ieee_inexact 0
		.amdhsa_exception_int_div_zero 0
	.end_amdhsa_kernel
	.section	.text._ZN4vllm3moe17topkGatingSoftmaxItLi16ELi256ELi8ELi32ELb1ELi4ELNS0_23SharedExpertScoringFuncE1EEEvPKT_PKbPfiPiS9_iiiiii,"axG",@progbits,_ZN4vllm3moe17topkGatingSoftmaxItLi16ELi256ELi8ELi32ELb1ELi4ELNS0_23SharedExpertScoringFuncE1EEEvPKT_PKbPfiPiS9_iiiiii,comdat
.Lfunc_end294:
	.size	_ZN4vllm3moe17topkGatingSoftmaxItLi16ELi256ELi8ELi32ELb1ELi4ELNS0_23SharedExpertScoringFuncE1EEEvPKT_PKbPfiPiS9_iiiiii, .Lfunc_end294-_ZN4vllm3moe17topkGatingSoftmaxItLi16ELi256ELi8ELi32ELb1ELi4ELNS0_23SharedExpertScoringFuncE1EEEvPKT_PKbPfiPiS9_iiiiii
                                        ; -- End function
	.section	.AMDGPU.csdata,"",@progbits
; Kernel info:
; codeLenInByte = 3496
; NumSgprs: 58
; NumVgprs: 50
; NumAgprs: 0
; TotalNumVgprs: 50
; ScratchSize: 0
; MemoryBound: 0
; FloatMode: 240
; IeeeMode: 1
; LDSByteSize: 0 bytes/workgroup (compile time only)
; SGPRBlocks: 7
; VGPRBlocks: 6
; NumSGPRsForWavesPerEU: 58
; NumVGPRsForWavesPerEU: 50
; AccumOffset: 52
; Occupancy: 8
; WaveLimiterHint : 0
; COMPUTE_PGM_RSRC2:SCRATCH_EN: 0
; COMPUTE_PGM_RSRC2:USER_SGPR: 6
; COMPUTE_PGM_RSRC2:TRAP_HANDLER: 0
; COMPUTE_PGM_RSRC2:TGID_X_EN: 1
; COMPUTE_PGM_RSRC2:TGID_Y_EN: 0
; COMPUTE_PGM_RSRC2:TGID_Z_EN: 0
; COMPUTE_PGM_RSRC2:TIDIG_COMP_CNT: 1
; COMPUTE_PGM_RSRC3_GFX90A:ACCUM_OFFSET: 12
; COMPUTE_PGM_RSRC3_GFX90A:TG_SPLIT: 0
	.section	.text._ZN4vllm3moe17topkGatingSoftmaxItLi16ELi256ELi8ELi32ELb0ELi4ELNS0_23SharedExpertScoringFuncE1EEEvPKT_PKbPfiPiS9_iiiiii,"axG",@progbits,_ZN4vllm3moe17topkGatingSoftmaxItLi16ELi256ELi8ELi32ELb0ELi4ELNS0_23SharedExpertScoringFuncE1EEEvPKT_PKbPfiPiS9_iiiiii,comdat
	.protected	_ZN4vllm3moe17topkGatingSoftmaxItLi16ELi256ELi8ELi32ELb0ELi4ELNS0_23SharedExpertScoringFuncE1EEEvPKT_PKbPfiPiS9_iiiiii ; -- Begin function _ZN4vllm3moe17topkGatingSoftmaxItLi16ELi256ELi8ELi32ELb0ELi4ELNS0_23SharedExpertScoringFuncE1EEEvPKT_PKbPfiPiS9_iiiiii
	.globl	_ZN4vllm3moe17topkGatingSoftmaxItLi16ELi256ELi8ELi32ELb0ELi4ELNS0_23SharedExpertScoringFuncE1EEEvPKT_PKbPfiPiS9_iiiiii
	.p2align	8
	.type	_ZN4vllm3moe17topkGatingSoftmaxItLi16ELi256ELi8ELi32ELb0ELi4ELNS0_23SharedExpertScoringFuncE1EEEvPKT_PKbPfiPiS9_iiiiii,@function
_ZN4vllm3moe17topkGatingSoftmaxItLi16ELi256ELi8ELi32ELb0ELi4ELNS0_23SharedExpertScoringFuncE1EEEvPKT_PKbPfiPiS9_iiiiii: ; @_ZN4vllm3moe17topkGatingSoftmaxItLi16ELi256ELi8ELi32ELb0ELi4ELNS0_23SharedExpertScoringFuncE1EEEvPKT_PKbPfiPiS9_iiiiii
; %bb.0:
	s_load_dword s33, s[4:5], 0x18
	v_bfe_u32 v1, v0, 10, 10
	v_and_b32_e32 v0, 0x3ff, v0
	s_lshl_b32 s50, s6, 5
	v_lshlrev_b32_e32 v42, 2, v1
	v_lshrrev_b32_e32 v43, 4, v0
	v_add3_u32 v22, s50, v42, v43
	s_waitcnt lgkmcnt(0)
	v_cmp_gt_i32_e32 vcc, s33, v22
	s_and_saveexec_b64 s[0:1], vcc
	s_cbranch_execz .LBB295_31
; %bb.1:
	s_load_dwordx4 s[0:3], s[4:5], 0x0
	s_load_dwordx2 s[34:35], s[4:5], 0x10
	s_waitcnt lgkmcnt(0)
	s_cmp_eq_u64 s[2:3], 0
	s_cbranch_scc1 .LBB295_3
; %bb.2:
	v_ashrrev_i32_e32 v1, 31, v22
	v_mov_b32_e32 v3, s3
	v_add_co_u32_e32 v2, vcc, s2, v22
	v_addc_co_u32_e32 v3, vcc, v3, v1, vcc
	global_load_ubyte v1, v[2:3], off
	s_waitcnt vmcnt(0)
	v_and_b32_e32 v1, 1, v1
	v_cmp_eq_u32_e32 vcc, 1, v1
	s_xor_b64 s[2:3], vcc, -1
	s_orn2_b64 s[46:47], s[2:3], exec
	s_branch .LBB295_4
.LBB295_3:
	s_mov_b64 s[46:47], -1
.LBB295_4:
	s_load_dwordx2 s[6:7], s[4:5], 0x40
	s_load_dwordx4 s[36:39], s[4:5], 0x30
	v_mov_b32_e32 v4, s1
	v_and_b32_e32 v23, 15, v0
	v_lshlrev_b32_e32 v0, 5, v23
	s_waitcnt lgkmcnt(0)
	v_mul_lo_u32 v2, v22, s7
	v_ashrrev_i32_e32 v3, 31, v2
	v_lshlrev_b64 v[2:3], 1, v[2:3]
	v_add_co_u32_e32 v1, vcc, s0, v2
	v_addc_co_u32_e32 v2, vcc, v4, v3, vcc
	v_add_co_u32_e32 v8, vcc, v1, v0
	v_addc_co_u32_e32 v9, vcc, 0, v2, vcc
	global_load_dwordx4 v[12:15], v[8:9], off offset:16
	global_load_dwordx4 v[4:7], v[8:9], off
	v_lshlrev_b32_e32 v26, 4, v23
	v_mov_b32_e32 v24, 0
	v_cmp_gt_u32_e32 vcc, 4, v23
	s_and_saveexec_b64 s[0:1], vcc
	s_cbranch_execz .LBB295_6
; %bb.5:
	v_lshlrev_b32_e32 v0, 1, v23
	v_add_co_u32_e32 v0, vcc, v1, v0
	v_addc_co_u32_e32 v1, vcc, 0, v2, vcc
	global_load_ushort v0, v[0:1], off offset:512
	s_mov_b32 s2, 0xbfb8aa3b
	s_mov_b32 s3, 0x42ce8ed0
	;; [unrolled: 1-line block ×3, first 2 shown]
	v_mov_b32_e32 v3, 0x7f800000
	v_mul_lo_u32 v1, v22, s39
	v_mov_b32_e32 v10, s35
	s_waitcnt vmcnt(0)
	v_cvt_f32_u32_e32 v2, v0
	v_mul_f32_e32 v0, 0xbfb8aa3b, v2
	v_fma_f32 v8, v2, s2, -v0
	v_rndne_f32_e32 v9, v0
	v_fmac_f32_e32 v8, 0xb2a5705f, v2
	v_sub_f32_e32 v0, v0, v9
	v_add_f32_e32 v0, v0, v8
	v_cvt_i32_f32_e32 v9, v9
	v_exp_f32_e32 v8, v0
	v_cmp_nlt_f32_e32 vcc, s3, v2
	v_add3_u32 v0, v1, s36, v23
	v_ashrrev_i32_e32 v1, 31, v0
	v_ldexp_f32 v8, v8, v9
	v_cndmask_b32_e32 v8, 0, v8, vcc
	v_cmp_ngt_f32_e32 vcc, s7, v2
	v_cndmask_b32_e32 v2, v3, v8, vcc
	v_add_f32_e32 v2, 1.0, v2
	v_div_scale_f32 v3, s[2:3], v2, v2, 1.0
	v_rcp_f32_e32 v8, v3
	v_div_scale_f32 v9, vcc, 1.0, v2, 1.0
	v_lshlrev_b64 v[0:1], 2, v[0:1]
	v_fma_f32 v11, -v3, v8, 1.0
	v_fmac_f32_e32 v8, v11, v8
	v_mul_f32_e32 v11, v9, v8
	v_fma_f32 v16, -v3, v11, v9
	v_fmac_f32_e32 v11, v16, v8
	v_fma_f32 v3, -v3, v11, v9
	v_div_fmas_f32 v3, v3, v8, v11
	v_add_co_u32_e32 v0, vcc, s34, v0
	v_div_fixup_f32 v2, v3, v2, 1.0
	v_addc_co_u32_e32 v1, vcc, v10, v1, vcc
	global_store_dword v[0:1], v2, off
.LBB295_6:
	s_or_b64 exec, exec, s[0:1]
	s_waitcnt vmcnt(0)
	v_cvt_f32_u32_sdwa v1, v4 dst_sel:DWORD dst_unused:UNUSED_PAD src0_sel:WORD_1
	v_cvt_f32_u32_sdwa v0, v4 dst_sel:DWORD dst_unused:UNUSED_PAD src0_sel:WORD_0
	v_cvt_f32_u32_sdwa v2, v5 dst_sel:DWORD dst_unused:UNUSED_PAD src0_sel:WORD_0
	v_or_b32_e32 v27, 1, v26
	v_or_b32_e32 v28, 2, v26
	v_cmp_lt_f32_e32 vcc, v0, v1
	v_cndmask_b32_e32 v4, v0, v1, vcc
	v_cndmask_b32_e32 v3, v26, v27, vcc
	v_cmp_lt_f32_e32 vcc, v4, v2
	v_cndmask_b32_e32 v8, v3, v28, vcc
	v_cvt_f32_u32_sdwa v3, v5 dst_sel:DWORD dst_unused:UNUSED_PAD src0_sel:WORD_1
	v_cndmask_b32_e32 v4, v4, v2, vcc
	v_or_b32_e32 v29, 3, v26
	v_or_b32_e32 v30, 4, v26
	v_cmp_lt_f32_e32 vcc, v4, v3
	v_cndmask_b32_e32 v5, v8, v29, vcc
	v_cndmask_b32_e32 v8, v4, v3, vcc
	v_cvt_f32_u32_sdwa v4, v6 dst_sel:DWORD dst_unused:UNUSED_PAD src0_sel:WORD_0
	v_or_b32_e32 v31, 5, v26
	v_or_b32_e32 v32, 6, v26
	;; [unrolled: 1-line block ×3, first 2 shown]
	v_cmp_lt_f32_e32 vcc, v8, v4
	v_cndmask_b32_e32 v9, v5, v30, vcc
	v_cvt_f32_u32_sdwa v5, v6 dst_sel:DWORD dst_unused:UNUSED_PAD src0_sel:WORD_1
	v_cvt_f32_u32_sdwa v6, v7 dst_sel:DWORD dst_unused:UNUSED_PAD src0_sel:WORD_0
	v_cndmask_b32_e32 v8, v8, v4, vcc
	v_cvt_f32_u32_sdwa v7, v7 dst_sel:DWORD dst_unused:UNUSED_PAD src0_sel:WORD_1
	v_cmp_lt_f32_e32 vcc, v8, v5
	v_cndmask_b32_e32 v8, v8, v5, vcc
	v_cndmask_b32_e32 v9, v9, v31, vcc
	v_cmp_lt_f32_e32 vcc, v8, v6
	v_cndmask_b32_e32 v8, v8, v6, vcc
	v_cndmask_b32_e32 v9, v9, v32, vcc
	v_cmp_lt_f32_e32 vcc, v8, v7
	v_cndmask_b32_e32 v10, v8, v7, vcc
	v_cvt_f32_u32_sdwa v8, v12 dst_sel:DWORD dst_unused:UNUSED_PAD src0_sel:WORD_0
	v_cndmask_b32_e32 v9, v9, v33, vcc
	v_or_b32_e32 v34, 8, v26
	v_or_b32_e32 v35, 9, v26
	v_cmp_lt_f32_e32 vcc, v10, v8
	v_cndmask_b32_e32 v11, v9, v34, vcc
	v_cvt_f32_u32_sdwa v9, v12 dst_sel:DWORD dst_unused:UNUSED_PAD src0_sel:WORD_1
	v_cndmask_b32_e32 v10, v10, v8, vcc
	v_or_b32_e32 v36, 10, v26
	v_or_b32_e32 v37, 11, v26
	v_cmp_lt_f32_e32 vcc, v10, v9
	v_cndmask_b32_e32 v12, v10, v9, vcc
	v_cvt_f32_u32_sdwa v10, v13 dst_sel:DWORD dst_unused:UNUSED_PAD src0_sel:WORD_0
	v_cndmask_b32_e32 v11, v11, v35, vcc
	v_or_b32_e32 v38, 12, v26
	v_or_b32_e32 v39, 13, v26
	v_cmp_lt_f32_e32 vcc, v12, v10
	v_cndmask_b32_e32 v16, v11, v36, vcc
	v_cvt_f32_u32_sdwa v11, v13 dst_sel:DWORD dst_unused:UNUSED_PAD src0_sel:WORD_1
	v_cndmask_b32_e32 v12, v12, v10, vcc
	v_or_b32_e32 v40, 14, v26
	v_or_b32_e32 v41, 15, v26
	v_cmp_lt_f32_e32 vcc, v12, v11
	v_cndmask_b32_e32 v13, v16, v37, vcc
	v_cndmask_b32_e32 v16, v12, v11, vcc
	v_cvt_f32_u32_sdwa v12, v14 dst_sel:DWORD dst_unused:UNUSED_PAD src0_sel:WORD_0
	v_cmp_lt_f32_e32 vcc, v16, v12
	v_cndmask_b32_e32 v17, v13, v38, vcc
	v_cvt_f32_u32_sdwa v13, v14 dst_sel:DWORD dst_unused:UNUSED_PAD src0_sel:WORD_1
	v_cvt_f32_u32_sdwa v14, v15 dst_sel:DWORD dst_unused:UNUSED_PAD src0_sel:WORD_0
	v_cndmask_b32_e32 v16, v16, v12, vcc
	v_cvt_f32_u32_sdwa v15, v15 dst_sel:DWORD dst_unused:UNUSED_PAD src0_sel:WORD_1
	v_cmp_lt_f32_e32 vcc, v16, v13
	v_cndmask_b32_e32 v16, v16, v13, vcc
	v_cndmask_b32_e32 v17, v17, v39, vcc
	v_cmp_lt_f32_e32 vcc, v16, v14
	v_cndmask_b32_e32 v16, v16, v14, vcc
	v_cndmask_b32_e32 v17, v17, v40, vcc
	;; [unrolled: 3-line block ×3, first 2 shown]
	s_nop 0
	v_mov_b32_dpp v19, v17 quad_perm:[1,0,3,2] row_mask:0xf bank_mask:0xf
	v_mov_b32_dpp v18, v16 quad_perm:[1,0,3,2] row_mask:0xf bank_mask:0xf
	v_cmp_eq_f32_e64 s[0:1], v16, v18
	v_cmp_lt_i32_e64 s[2:3], v19, v17
	v_cmp_lt_f32_e32 vcc, v16, v18
	s_and_b64 s[0:1], s[0:1], s[2:3]
	s_or_b64 vcc, vcc, s[0:1]
	v_cndmask_b32_e32 v16, v16, v18, vcc
	v_cndmask_b32_e32 v17, v17, v19, vcc
	s_nop 0
	v_mov_b32_dpp v18, v16 quad_perm:[2,3,0,1] row_mask:0xf bank_mask:0xf
	v_mov_b32_dpp v19, v17 quad_perm:[2,3,0,1] row_mask:0xf bank_mask:0xf
	v_cmp_eq_f32_e64 s[0:1], v16, v18
	v_cmp_lt_i32_e64 s[2:3], v19, v17
	v_cmp_lt_f32_e32 vcc, v16, v18
	s_and_b64 s[0:1], s[0:1], s[2:3]
	s_or_b64 vcc, vcc, s[0:1]
	v_cndmask_b32_e32 v16, v16, v18, vcc
	v_cndmask_b32_e32 v17, v17, v19, vcc
	s_nop 0
	v_mov_b32_dpp v18, v16 row_half_mirror row_mask:0xf bank_mask:0xf
	v_mov_b32_dpp v19, v17 row_half_mirror row_mask:0xf bank_mask:0xf
	v_cmp_eq_f32_e64 s[0:1], v16, v18
	v_cmp_lt_i32_e64 s[2:3], v19, v17
	v_cmp_lt_f32_e32 vcc, v16, v18
	s_and_b64 s[0:1], s[0:1], s[2:3]
	s_or_b64 vcc, vcc, s[0:1]
	v_cndmask_b32_e32 v18, v16, v18, vcc
	v_cndmask_b32_e32 v16, v17, v19, vcc
	s_nop 0
	v_mov_b32_dpp v19, v18 row_mirror row_mask:0xf bank_mask:0xf
	v_mov_b32_dpp v17, v16 row_mirror row_mask:0xf bank_mask:0xf
	v_cmp_eq_f32_e64 s[0:1], v18, v19
	v_cmp_lt_i32_e64 s[2:3], v17, v16
	v_cmp_lt_f32_e32 vcc, v18, v19
	s_and_b64 s[0:1], s[0:1], s[2:3]
	s_or_b64 s[0:1], vcc, s[0:1]
	s_cmp_gt_i32 s36, 0
	v_cndmask_b32_e64 v25, v18, v19, s[0:1]
	s_cselect_b64 s[44:45], -1, 0
	s_cmp_lt_i32 s36, 1
	v_cmp_eq_u32_e32 vcc, 0, v23
	s_cbranch_scc1 .LBB295_18
; %bb.7:
	s_load_dwordx4 s[40:43], s[4:5], 0x20
	v_cndmask_b32_e64 v44, v16, v17, s[0:1]
	v_mul_lo_u32 v20, v22, s39
	v_mul_lo_u32 v18, v22, s6
	;; [unrolled: 1-line block ×3, first 2 shown]
	v_mov_b32_e32 v24, 0
	s_and_saveexec_b64 s[4:5], vcc
	s_cbranch_execz .LBB295_9
; %bb.8:
	v_sub_f32_e32 v17, v25, v25
	v_mul_f32_e32 v19, 0x3fb8aa3b, v17
	s_mov_b32 s0, 0x3fb8aa3b
	v_rndne_f32_e32 v21, v19
	v_sub_f32_e32 v24, v19, v21
	v_fma_f32 v19, v17, s0, -v19
	v_fmac_f32_e32 v19, 0x32a5705f, v17
	v_add_f32_e32 v19, v24, v19
	v_exp_f32_e32 v19, v19
	v_cvt_i32_f32_e32 v21, v21
	v_cmp_le_i32_e64 s[0:1], s37, v44
	v_cmp_gt_i32_e64 s[2:3], s38, v44
	s_and_b64 s[2:3], s[0:1], s[2:3]
	s_mov_b32 s0, 0xc2ce8ed0
	v_ldexp_f32 v19, v19, v21
	v_cmp_ngt_f32_e64 s[0:1], s0, v17
	v_cndmask_b32_e64 v19, 0, v19, s[0:1]
	s_mov_b32 s0, 0x42b17218
	v_mov_b32_e32 v21, 0x7f800000
	v_cmp_nlt_f32_e64 s[0:1], s0, v17
	v_cndmask_b32_e64 v24, v21, v19, s[0:1]
	v_ashrrev_i32_e32 v21, 31, v20
	v_lshlrev_b64 v[46:47], 2, v[20:21]
	v_mov_b32_e32 v17, s35
	v_add_co_u32_e64 v46, s[0:1], s34, v46
	v_addc_co_u32_e64 v47, s[0:1], v17, v47, s[0:1]
	v_subrev_u32_e32 v17, s37, v44
	v_mov_b32_e32 v19, 0x100
	s_and_b64 s[0:1], s[46:47], s[2:3]
	v_cndmask_b32_e64 v17, v19, v17, s[0:1]
	v_ashrrev_i32_e32 v19, 31, v18
	global_store_dword v[46:47], v24, off
	v_lshlrev_b64 v[46:47], 2, v[18:19]
	s_waitcnt lgkmcnt(0)
	v_mov_b32_e32 v19, s41
	v_add_co_u32_e64 v46, s[0:1], s40, v46
	v_addc_co_u32_e64 v47, s[0:1], v19, v47, s[0:1]
	global_store_dword v[46:47], v17, off
	v_ashrrev_i32_e32 v17, 31, v16
	v_lshlrev_b64 v[46:47], 2, v[16:17]
	v_mov_b32_e32 v17, s43
	v_add_co_u32_e64 v46, s[0:1], s42, v46
	v_addc_co_u32_e64 v47, s[0:1], v17, v47, s[0:1]
	global_store_dword v[46:47], v22, off
.LBB295_9:
	s_or_b64 exec, exec, s[4:5]
	v_ashrrev_i32_e32 v17, 31, v44
	v_lshrrev_b32_e32 v19, 28, v17
	v_add_u32_e32 v19, v44, v19
	v_ashrrev_i32_e32 v19, 4, v19
	v_lshrrev_b32_e32 v21, 28, v19
	v_add_u32_e32 v21, v19, v21
	v_and_b32_e32 v21, -16, v21
	v_sub_u32_e32 v21, v19, v21
	v_cmp_eq_u32_e64 s[0:1], v23, v21
	s_and_saveexec_b64 s[48:49], s[0:1]
	s_cbranch_execz .LBB295_11
; %bb.10:
	v_add_u32_sdwa v17, v44, v17 dst_sel:DWORD dst_unused:UNUSED_PAD src0_sel:DWORD src1_sel:BYTE_3
	v_lshlrev_b32_e32 v19, 4, v19
	v_sub_u32_e32 v19, v44, v19
	v_ashrrev_i32_e32 v17, 8, v17
	v_lshl_add_u32 v17, v17, 4, v19
	v_mov_b32_e32 v19, 0xff800000
	v_cmp_ne_u32_e64 s[0:1], 14, v17
	v_cmp_ne_u32_e64 s[2:3], 13, v17
	;; [unrolled: 1-line block ×16, first 2 shown]
	v_cndmask_b32_e64 v15, v19, v15, s[30:31]
	v_cndmask_b32_e64 v14, v19, v14, s[0:1]
	;; [unrolled: 1-line block ×16, first 2 shown]
.LBB295_11:
	s_or_b64 exec, exec, s[48:49]
	s_cmp_eq_u32 s36, 1
	s_cbranch_scc1 .LBB295_18
; %bb.12:
	s_add_i32 s50, s50, s33
	s_add_i32 s51, s36, -1
	v_add3_u32 v42, s50, v43, v42
	v_add_u32_e32 v16, 1, v16
	v_add_u32_e32 v18, 1, v18
	;; [unrolled: 1-line block ×3, first 2 shown]
	s_mov_b32 s50, 0x3fb8aa3b
	s_mov_b32 s52, 0xc2ce8ed0
	;; [unrolled: 1-line block ×3, first 2 shown]
	v_mov_b32_e32 v43, 0x7f800000
	v_mov_b32_e32 v44, 0x100
	;; [unrolled: 1-line block ×3, first 2 shown]
	s_branch .LBB295_14
.LBB295_13:                             ;   in Loop: Header=BB295_14 Depth=1
	s_or_b64 exec, exec, s[48:49]
	s_add_i32 s51, s51, -1
	v_add_u32_e32 v42, s33, v42
	v_add_u32_e32 v16, 1, v16
	v_add_u32_e32 v18, 1, v18
	s_cmp_eq_u32 s51, 0
	v_add_u32_e32 v20, 1, v20
	s_cbranch_scc1 .LBB295_18
.LBB295_14:                             ; =>This Inner Loop Header: Depth=1
	v_cmp_gt_f32_e64 s[0:1], v1, v0
	v_cndmask_b32_e64 v19, v0, v1, s[0:1]
	v_cndmask_b32_e64 v17, v26, v27, s[0:1]
	v_cmp_gt_f32_e64 s[0:1], v2, v19
	v_cndmask_b32_e64 v19, v19, v2, s[0:1]
	v_cndmask_b32_e64 v17, v17, v28, s[0:1]
	;; [unrolled: 3-line block ×15, first 2 shown]
	s_nop 0
	v_mov_b32_dpp v46, v17 quad_perm:[1,0,3,2] row_mask:0xf bank_mask:0xf
	v_mov_b32_dpp v21, v19 quad_perm:[1,0,3,2] row_mask:0xf bank_mask:0xf
	v_cmp_eq_f32_e64 s[2:3], v19, v21
	v_cmp_lt_i32_e64 s[4:5], v46, v17
	v_cmp_lt_f32_e64 s[0:1], v19, v21
	s_and_b64 s[2:3], s[2:3], s[4:5]
	s_or_b64 s[0:1], s[0:1], s[2:3]
	v_cndmask_b32_e64 v19, v19, v21, s[0:1]
	v_cndmask_b32_e64 v17, v17, v46, s[0:1]
	s_nop 0
	v_mov_b32_dpp v21, v19 quad_perm:[2,3,0,1] row_mask:0xf bank_mask:0xf
	v_mov_b32_dpp v46, v17 quad_perm:[2,3,0,1] row_mask:0xf bank_mask:0xf
	v_cmp_eq_f32_e64 s[2:3], v19, v21
	v_cmp_lt_i32_e64 s[4:5], v46, v17
	v_cmp_lt_f32_e64 s[0:1], v19, v21
	s_and_b64 s[2:3], s[2:3], s[4:5]
	s_or_b64 s[0:1], s[0:1], s[2:3]
	v_cndmask_b32_e64 v19, v19, v21, s[0:1]
	v_cndmask_b32_e64 v21, v17, v46, s[0:1]
	s_nop 0
	v_mov_b32_dpp v17, v19 row_half_mirror row_mask:0xf bank_mask:0xf
	v_mov_b32_dpp v46, v21 row_half_mirror row_mask:0xf bank_mask:0xf
	v_cmp_eq_f32_e64 s[2:3], v19, v17
	v_cmp_lt_i32_e64 s[4:5], v46, v21
	v_cmp_lt_f32_e64 s[0:1], v19, v17
	s_and_b64 s[2:3], s[2:3], s[4:5]
	s_or_b64 s[0:1], s[0:1], s[2:3]
	v_cndmask_b32_e64 v17, v19, v17, s[0:1]
	v_cndmask_b32_e64 v21, v21, v46, s[0:1]
	s_nop 0
	v_mov_b32_dpp v19, v17 row_mirror row_mask:0xf bank_mask:0xf
	v_mov_b32_dpp v46, v21 row_mirror row_mask:0xf bank_mask:0xf
	v_cmp_eq_f32_e64 s[2:3], v17, v19
	v_cmp_lt_i32_e64 s[4:5], v46, v21
	v_cmp_lt_f32_e64 s[0:1], v17, v19
	s_and_b64 s[2:3], s[2:3], s[4:5]
	s_or_b64 s[0:1], s[0:1], s[2:3]
	v_cndmask_b32_e64 v46, v21, v46, s[0:1]
	s_and_saveexec_b64 s[4:5], vcc
	s_cbranch_execz .LBB295_16
; %bb.15:                               ;   in Loop: Header=BB295_14 Depth=1
	v_cndmask_b32_e64 v17, v17, v19, s[0:1]
	v_sub_f32_e32 v17, v17, v25
	v_mul_f32_e32 v19, 0x3fb8aa3b, v17
	v_fma_f32 v21, v17, s50, -v19
	v_rndne_f32_e32 v47, v19
	v_fmac_f32_e32 v21, 0x32a5705f, v17
	v_sub_f32_e32 v19, v19, v47
	v_add_f32_e32 v19, v19, v21
	v_exp_f32_e32 v19, v19
	v_cvt_i32_f32_e32 v21, v47
	v_cmp_le_i32_e64 s[0:1], s37, v46
	v_cmp_gt_i32_e64 s[2:3], s38, v46
	s_and_b64 s[2:3], s[0:1], s[2:3]
	v_ldexp_f32 v19, v19, v21
	v_cmp_ngt_f32_e64 s[0:1], s52, v17
	v_ashrrev_i32_e32 v21, 31, v20
	v_cndmask_b32_e64 v19, 0, v19, s[0:1]
	v_cmp_nlt_f32_e64 s[0:1], s53, v17
	v_lshlrev_b64 v[48:49], 2, v[20:21]
	v_cndmask_b32_e64 v47, v43, v19, s[0:1]
	v_mov_b32_e32 v17, s35
	v_add_co_u32_e64 v48, s[0:1], s34, v48
	v_addc_co_u32_e64 v49, s[0:1], v17, v49, s[0:1]
	v_ashrrev_i32_e32 v19, 31, v18
	global_store_dword v[48:49], v47, off
	v_subrev_u32_e32 v17, s37, v46
	s_and_b64 s[0:1], s[46:47], s[2:3]
	v_lshlrev_b64 v[48:49], 2, v[18:19]
	v_cndmask_b32_e64 v17, v44, v17, s[0:1]
	s_waitcnt lgkmcnt(0)
	v_mov_b32_e32 v19, s41
	v_add_co_u32_e64 v48, s[0:1], s40, v48
	v_addc_co_u32_e64 v49, s[0:1], v19, v49, s[0:1]
	global_store_dword v[48:49], v17, off
	v_ashrrev_i32_e32 v17, 31, v16
	v_lshlrev_b64 v[48:49], 2, v[16:17]
	v_mov_b32_e32 v17, s43
	v_add_co_u32_e64 v48, s[0:1], s42, v48
	v_addc_co_u32_e64 v49, s[0:1], v17, v49, s[0:1]
	v_add_f32_e32 v24, v24, v47
	global_store_dword v[48:49], v42, off
.LBB295_16:                             ;   in Loop: Header=BB295_14 Depth=1
	s_or_b64 exec, exec, s[4:5]
	v_ashrrev_i32_e32 v17, 31, v46
	v_lshrrev_b32_e32 v19, 28, v17
	v_add_u32_e32 v19, v46, v19
	v_ashrrev_i32_e32 v19, 4, v19
	v_lshrrev_b32_e32 v21, 28, v19
	v_add_u32_e32 v21, v19, v21
	v_and_b32_e32 v21, -16, v21
	v_sub_u32_e32 v21, v19, v21
	v_cmp_eq_u32_e64 s[0:1], v23, v21
	s_and_saveexec_b64 s[48:49], s[0:1]
	s_cbranch_execz .LBB295_13
; %bb.17:                               ;   in Loop: Header=BB295_14 Depth=1
	v_add_u32_sdwa v17, v46, v17 dst_sel:DWORD dst_unused:UNUSED_PAD src0_sel:DWORD src1_sel:BYTE_3
	v_lshlrev_b32_e32 v19, 4, v19
	v_sub_u32_e32 v19, v46, v19
	v_ashrrev_i32_e32 v17, 8, v17
	v_lshl_add_u32 v17, v17, 4, v19
	v_cmp_ne_u32_e64 s[0:1], 14, v17
	v_cmp_ne_u32_e64 s[2:3], 13, v17
	;; [unrolled: 1-line block ×16, first 2 shown]
	v_cndmask_b32_e64 v15, v45, v15, s[30:31]
	v_cndmask_b32_e64 v14, v45, v14, s[0:1]
	;; [unrolled: 1-line block ×16, first 2 shown]
	s_branch .LBB295_13
.LBB295_18:
	v_sub_f32_e32 v0, v0, v25
	s_mov_b32 s2, 0x3fb8aa3b
	v_mul_f32_e32 v16, 0x3fb8aa3b, v0
	v_fma_f32 v17, v0, s2, -v16
	v_rndne_f32_e32 v18, v16
	v_fmac_f32_e32 v17, 0x32a5705f, v0
	v_sub_f32_e32 v16, v16, v18
	v_add_f32_e32 v16, v16, v17
	v_exp_f32_e32 v16, v16
	v_cvt_i32_f32_e32 v17, v18
	v_sub_f32_e32 v1, v1, v25
	s_mov_b32 s4, 0xc2ce8ed0
	s_mov_b32 s3, 0x42b17218
	v_ldexp_f32 v16, v16, v17
	v_mul_f32_e32 v17, 0x3fb8aa3b, v1
	v_fma_f32 v18, v1, s2, -v17
	v_rndne_f32_e32 v19, v17
	v_fmac_f32_e32 v18, 0x32a5705f, v1
	v_sub_f32_e32 v17, v17, v19
	v_add_f32_e32 v17, v17, v18
	v_exp_f32_e32 v17, v17
	v_cvt_i32_f32_e32 v18, v19
	v_cmp_ngt_f32_e32 vcc, s4, v1
	v_cmp_ngt_f32_e64 s[0:1], s4, v0
	v_sub_f32_e32 v2, v2, v25
	v_ldexp_f32 v17, v17, v18
	v_cndmask_b32_e32 v17, 0, v17, vcc
	v_mov_b32_e32 v18, 0x7f800000
	v_cmp_nlt_f32_e32 vcc, s3, v1
	v_cndmask_b32_e64 v1, 0, v16, s[0:1]
	v_cmp_nlt_f32_e64 s[0:1], s3, v0
	v_cndmask_b32_e64 v0, v18, v1, s[0:1]
	v_cndmask_b32_e32 v1, v18, v17, vcc
	v_add_f32_e32 v0, v0, v1
	v_mul_f32_e32 v1, 0x3fb8aa3b, v2
	v_fma_f32 v16, v2, s2, -v1
	v_rndne_f32_e32 v17, v1
	v_fmac_f32_e32 v16, 0x32a5705f, v2
	v_sub_f32_e32 v1, v1, v17
	v_add_f32_e32 v1, v1, v16
	v_exp_f32_e32 v1, v1
	v_cvt_i32_f32_e32 v16, v17
	v_cmp_ngt_f32_e32 vcc, s4, v2
	v_sub_f32_e32 v3, v3, v25
	v_sub_f32_e32 v4, v4, v25
	v_ldexp_f32 v1, v1, v16
	v_cndmask_b32_e32 v1, 0, v1, vcc
	v_cmp_nlt_f32_e32 vcc, s3, v2
	v_cndmask_b32_e32 v1, v18, v1, vcc
	v_add_f32_e32 v0, v0, v1
	v_mul_f32_e32 v1, 0x3fb8aa3b, v3
	v_fma_f32 v2, v3, s2, -v1
	v_rndne_f32_e32 v16, v1
	v_fmac_f32_e32 v2, 0x32a5705f, v3
	v_sub_f32_e32 v1, v1, v16
	v_add_f32_e32 v1, v1, v2
	v_exp_f32_e32 v1, v1
	v_cvt_i32_f32_e32 v2, v16
	v_cmp_ngt_f32_e32 vcc, s4, v3
	v_sub_f32_e32 v5, v5, v25
	v_sub_f32_e32 v6, v6, v25
	v_ldexp_f32 v1, v1, v2
	v_cndmask_b32_e32 v1, 0, v1, vcc
	v_cmp_nlt_f32_e32 vcc, s3, v3
	;; [unrolled: 16-line block ×5, first 2 shown]
	v_cndmask_b32_e32 v1, v18, v1, vcc
	v_add_f32_e32 v0, v0, v1
	v_mul_f32_e32 v1, 0x3fb8aa3b, v7
	v_fma_f32 v2, v7, s2, -v1
	v_rndne_f32_e32 v3, v1
	v_fmac_f32_e32 v2, 0x32a5705f, v7
	v_sub_f32_e32 v1, v1, v3
	v_add_f32_e32 v1, v1, v2
	v_exp_f32_e32 v1, v1
	v_cvt_i32_f32_e32 v2, v3
	v_cmp_ngt_f32_e32 vcc, s4, v7
	v_ldexp_f32 v1, v1, v2
	v_mul_f32_e32 v2, 0x3fb8aa3b, v8
	v_fma_f32 v3, v8, s2, -v2
	v_rndne_f32_e32 v4, v2
	v_fmac_f32_e32 v3, 0x32a5705f, v8
	v_sub_f32_e32 v2, v2, v4
	v_add_f32_e32 v2, v2, v3
	v_exp_f32_e32 v2, v2
	v_cvt_i32_f32_e32 v3, v4
	v_cndmask_b32_e32 v1, 0, v1, vcc
	v_cmp_nlt_f32_e32 vcc, s3, v7
	v_cndmask_b32_e32 v1, v18, v1, vcc
	v_add_f32_e32 v0, v0, v1
	v_ldexp_f32 v1, v2, v3
	v_mul_f32_e32 v2, 0x3fb8aa3b, v9
	v_fma_f32 v3, v9, s2, -v2
	v_rndne_f32_e32 v4, v2
	v_fmac_f32_e32 v3, 0x32a5705f, v9
	v_sub_f32_e32 v2, v2, v4
	v_add_f32_e32 v2, v2, v3
	v_exp_f32_e32 v2, v2
	v_cvt_i32_f32_e32 v3, v4
	v_cmp_ngt_f32_e32 vcc, s4, v8
	v_cndmask_b32_e32 v1, 0, v1, vcc
	v_cmp_nlt_f32_e32 vcc, s3, v8
	v_cndmask_b32_e32 v1, v18, v1, vcc
	v_add_f32_e32 v0, v0, v1
	v_ldexp_f32 v1, v2, v3
	v_mul_f32_e32 v2, 0x3fb8aa3b, v10
	v_fma_f32 v3, v10, s2, -v2
	v_rndne_f32_e32 v4, v2
	v_fmac_f32_e32 v3, 0x32a5705f, v10
	v_sub_f32_e32 v2, v2, v4
	v_add_f32_e32 v2, v2, v3
	v_exp_f32_e32 v2, v2
	v_cvt_i32_f32_e32 v3, v4
	v_cmp_ngt_f32_e32 vcc, s4, v9
	v_cndmask_b32_e32 v1, 0, v1, vcc
	v_cmp_nlt_f32_e32 vcc, s3, v9
	v_cndmask_b32_e32 v1, v18, v1, vcc
	v_add_f32_e32 v0, v0, v1
	v_ldexp_f32 v1, v2, v3
	v_mul_f32_e32 v2, 0x3fb8aa3b, v11
	v_fma_f32 v3, v11, s2, -v2
	v_rndne_f32_e32 v4, v2
	v_fmac_f32_e32 v3, 0x32a5705f, v11
	v_sub_f32_e32 v2, v2, v4
	v_add_f32_e32 v2, v2, v3
	v_exp_f32_e32 v2, v2
	v_cvt_i32_f32_e32 v3, v4
	v_cmp_ngt_f32_e32 vcc, s4, v10
	v_cndmask_b32_e32 v1, 0, v1, vcc
	v_cmp_nlt_f32_e32 vcc, s3, v10
	v_cndmask_b32_e32 v1, v18, v1, vcc
	v_add_f32_e32 v0, v0, v1
	v_ldexp_f32 v1, v2, v3
	v_mul_f32_e32 v2, 0x3fb8aa3b, v12
	v_fma_f32 v3, v12, s2, -v2
	v_rndne_f32_e32 v4, v2
	v_fmac_f32_e32 v3, 0x32a5705f, v12
	v_sub_f32_e32 v2, v2, v4
	v_add_f32_e32 v2, v2, v3
	v_exp_f32_e32 v2, v2
	v_cvt_i32_f32_e32 v3, v4
	v_cmp_ngt_f32_e32 vcc, s4, v11
	v_cndmask_b32_e32 v1, 0, v1, vcc
	v_cmp_nlt_f32_e32 vcc, s3, v11
	v_cndmask_b32_e32 v1, v18, v1, vcc
	v_add_f32_e32 v0, v0, v1
	v_ldexp_f32 v1, v2, v3
	v_sub_f32_e32 v2, v13, v25
	v_mul_f32_e32 v3, 0x3fb8aa3b, v2
	v_fma_f32 v4, v2, s2, -v3
	v_rndne_f32_e32 v5, v3
	v_fmac_f32_e32 v4, 0x32a5705f, v2
	v_sub_f32_e32 v3, v3, v5
	v_add_f32_e32 v3, v3, v4
	v_exp_f32_e32 v3, v3
	v_cvt_i32_f32_e32 v4, v5
	v_cmp_ngt_f32_e32 vcc, s4, v12
	v_cndmask_b32_e32 v1, 0, v1, vcc
	v_cmp_nlt_f32_e32 vcc, s3, v12
	v_cndmask_b32_e32 v1, v18, v1, vcc
	v_add_f32_e32 v0, v0, v1
	v_ldexp_f32 v1, v3, v4
	v_sub_f32_e32 v3, v14, v25
	v_mul_f32_e32 v4, 0x3fb8aa3b, v3
	v_fma_f32 v5, v3, s2, -v4
	v_rndne_f32_e32 v6, v4
	v_fmac_f32_e32 v5, 0x32a5705f, v3
	v_sub_f32_e32 v4, v4, v6
	v_add_f32_e32 v4, v4, v5
	v_exp_f32_e32 v4, v4
	v_cvt_i32_f32_e32 v5, v6
	v_cmp_ngt_f32_e32 vcc, s4, v2
	v_cndmask_b32_e32 v1, 0, v1, vcc
	v_cmp_nlt_f32_e32 vcc, s3, v2
	v_cndmask_b32_e32 v1, v18, v1, vcc
	v_sub_f32_e32 v2, v15, v25
	v_add_f32_e32 v0, v0, v1
	v_ldexp_f32 v1, v4, v5
	v_mul_f32_e32 v4, 0x3fb8aa3b, v2
	v_fma_f32 v5, v2, s2, -v4
	v_rndne_f32_e32 v6, v4
	v_fmac_f32_e32 v5, 0x32a5705f, v2
	v_sub_f32_e32 v4, v4, v6
	v_add_f32_e32 v4, v4, v5
	v_exp_f32_e32 v4, v4
	v_cvt_i32_f32_e32 v5, v6
	v_cmp_ngt_f32_e32 vcc, s4, v3
	v_cndmask_b32_e32 v1, 0, v1, vcc
	v_cmp_nlt_f32_e32 vcc, s3, v3
	v_cndmask_b32_e32 v1, v18, v1, vcc
	v_add_f32_e32 v0, v0, v1
	v_ldexp_f32 v1, v4, v5
	v_cmp_ngt_f32_e32 vcc, s4, v2
	v_cndmask_b32_e32 v1, 0, v1, vcc
	v_cmp_nlt_f32_e32 vcc, s3, v2
	v_cndmask_b32_e32 v1, v18, v1, vcc
	v_add_f32_e32 v0, v0, v1
	v_cmp_eq_u32_e32 vcc, 0, v23
	s_nop 0
	v_mov_b32_dpp v1, v0 quad_perm:[1,0,3,2] row_mask:0xf bank_mask:0xf
	v_add_f32_e32 v0, v0, v1
	s_nop 1
	v_mov_b32_dpp v1, v0 quad_perm:[2,3,0,1] row_mask:0xf bank_mask:0xf
	v_add_f32_e32 v0, v0, v1
	s_nop 1
	v_mov_b32_dpp v1, v0 row_half_mirror row_mask:0xf bank_mask:0xf
	v_add_f32_e32 v0, v0, v1
	s_nop 1
	v_mov_b32_dpp v1, v0 row_mirror row_mask:0xf bank_mask:0xf
	s_and_b64 exec, exec, vcc
	s_cbranch_execz .LBB295_31
; %bb.19:
	v_add_f32_e32 v0, v0, v1
	v_add_f32_e32 v0, v24, v0
	v_cmp_neq_f32_e32 vcc, 0, v0
	s_and_b64 exec, exec, vcc
	s_cbranch_execz .LBB295_31
; %bb.20:
	s_andn2_b64 vcc, exec, s[44:45]
	s_cbranch_vccnz .LBB295_31
; %bb.21:
	v_div_scale_f32 v1, s[0:1], v0, v0, 1.0
	v_rcp_f32_e32 v2, v1
	v_div_scale_f32 v3, vcc, 1.0, v0, 1.0
	s_cmp_gt_u32 s36, 3
	v_fma_f32 v4, -v1, v2, 1.0
	v_fmac_f32_e32 v2, v4, v2
	v_mul_f32_e32 v4, v3, v2
	v_fma_f32 v5, -v1, v4, v3
	v_fmac_f32_e32 v4, v5, v2
	v_fma_f32 v1, -v1, v4, v3
	v_div_fmas_f32 v1, v1, v2, v4
	v_mul_lo_u32 v2, v22, s39
	v_div_fixup_f32 v0, v1, v0, 1.0
	v_ashrrev_i32_e32 v3, 31, v2
	s_cbranch_scc0 .LBB295_25
; %bb.22:
	v_lshlrev_b64 v[4:5], 2, v[2:3]
	v_mov_b32_e32 v6, s35
	v_add_co_u32_e32 v4, vcc, s34, v4
	v_addc_co_u32_e32 v5, vcc, v5, v6, vcc
	s_and_b32 s4, s36, 0x7ffffffc
	v_add_co_u32_e32 v4, vcc, 8, v4
	v_mov_b32_e32 v1, v0
	v_addc_co_u32_e32 v5, vcc, 0, v5, vcc
	s_mov_b32 s0, s4
.LBB295_23:                             ; =>This Inner Loop Header: Depth=1
	global_load_dwordx4 v[6:9], v[4:5], off offset:-8
	s_add_i32 s0, s0, -4
	s_cmp_lg_u32 s0, 0
	s_waitcnt vmcnt(0)
	v_pk_mul_f32 v[6:7], v[0:1], v[6:7]
	v_pk_mul_f32 v[8:9], v[0:1], v[8:9]
	global_store_dwordx4 v[4:5], v[6:9], off offset:-8
	v_add_co_u32_e32 v4, vcc, 16, v4
	v_addc_co_u32_e32 v5, vcc, 0, v5, vcc
	s_cbranch_scc1 .LBB295_23
; %bb.24:
	s_cmp_lg_u32 s4, s36
	s_mov_b64 s[2:3], 0
	s_cselect_b64 s[0:1], -1, 0
	s_branch .LBB295_26
.LBB295_25:
	s_mov_b64 s[2:3], -1
	s_mov_b64 s[0:1], 0
                                        ; implicit-def: $sgpr4
.LBB295_26:
	s_and_b64 vcc, exec, s[2:3]
	s_cbranch_vccz .LBB295_28
; %bb.27:
	s_mov_b64 s[0:1], -1
	s_mov_b32 s4, 0
.LBB295_28:
	s_andn2_b64 vcc, exec, s[0:1]
	s_cbranch_vccnz .LBB295_31
; %bb.29:
	v_add_co_u32_e32 v2, vcc, s4, v2
	v_addc_co_u32_e32 v3, vcc, 0, v3, vcc
	v_lshlrev_b64 v[2:3], 2, v[2:3]
	v_mov_b32_e32 v1, s35
	v_add_co_u32_e32 v2, vcc, s34, v2
	s_sub_i32 s0, s36, s4
	v_addc_co_u32_e32 v3, vcc, v1, v3, vcc
.LBB295_30:                             ; =>This Inner Loop Header: Depth=1
	global_load_dword v1, v[2:3], off
	s_add_i32 s0, s0, -1
	s_cmp_lg_u32 s0, 0
	s_waitcnt vmcnt(0)
	v_mul_f32_e32 v1, v0, v1
	global_store_dword v[2:3], v1, off
	v_add_co_u32_e32 v2, vcc, 4, v2
	v_addc_co_u32_e32 v3, vcc, 0, v3, vcc
	s_cbranch_scc1 .LBB295_30
.LBB295_31:
	s_endpgm
	.section	.rodata,"a",@progbits
	.p2align	6, 0x0
	.amdhsa_kernel _ZN4vllm3moe17topkGatingSoftmaxItLi16ELi256ELi8ELi32ELb0ELi4ELNS0_23SharedExpertScoringFuncE1EEEvPKT_PKbPfiPiS9_iiiiii
		.amdhsa_group_segment_fixed_size 0
		.amdhsa_private_segment_fixed_size 0
		.amdhsa_kernarg_size 72
		.amdhsa_user_sgpr_count 6
		.amdhsa_user_sgpr_private_segment_buffer 1
		.amdhsa_user_sgpr_dispatch_ptr 0
		.amdhsa_user_sgpr_queue_ptr 0
		.amdhsa_user_sgpr_kernarg_segment_ptr 1
		.amdhsa_user_sgpr_dispatch_id 0
		.amdhsa_user_sgpr_flat_scratch_init 0
		.amdhsa_user_sgpr_kernarg_preload_length 0
		.amdhsa_user_sgpr_kernarg_preload_offset 0
		.amdhsa_user_sgpr_private_segment_size 0
		.amdhsa_uses_dynamic_stack 0
		.amdhsa_system_sgpr_private_segment_wavefront_offset 0
		.amdhsa_system_sgpr_workgroup_id_x 1
		.amdhsa_system_sgpr_workgroup_id_y 0
		.amdhsa_system_sgpr_workgroup_id_z 0
		.amdhsa_system_sgpr_workgroup_info 0
		.amdhsa_system_vgpr_workitem_id 1
		.amdhsa_next_free_vgpr 50
		.amdhsa_next_free_sgpr 54
		.amdhsa_accum_offset 52
		.amdhsa_reserve_vcc 1
		.amdhsa_reserve_flat_scratch 0
		.amdhsa_float_round_mode_32 0
		.amdhsa_float_round_mode_16_64 0
		.amdhsa_float_denorm_mode_32 3
		.amdhsa_float_denorm_mode_16_64 3
		.amdhsa_dx10_clamp 1
		.amdhsa_ieee_mode 1
		.amdhsa_fp16_overflow 0
		.amdhsa_tg_split 0
		.amdhsa_exception_fp_ieee_invalid_op 0
		.amdhsa_exception_fp_denorm_src 0
		.amdhsa_exception_fp_ieee_div_zero 0
		.amdhsa_exception_fp_ieee_overflow 0
		.amdhsa_exception_fp_ieee_underflow 0
		.amdhsa_exception_fp_ieee_inexact 0
		.amdhsa_exception_int_div_zero 0
	.end_amdhsa_kernel
	.section	.text._ZN4vllm3moe17topkGatingSoftmaxItLi16ELi256ELi8ELi32ELb0ELi4ELNS0_23SharedExpertScoringFuncE1EEEvPKT_PKbPfiPiS9_iiiiii,"axG",@progbits,_ZN4vllm3moe17topkGatingSoftmaxItLi16ELi256ELi8ELi32ELb0ELi4ELNS0_23SharedExpertScoringFuncE1EEEvPKT_PKbPfiPiS9_iiiiii,comdat
.Lfunc_end295:
	.size	_ZN4vllm3moe17topkGatingSoftmaxItLi16ELi256ELi8ELi32ELb0ELi4ELNS0_23SharedExpertScoringFuncE1EEEvPKT_PKbPfiPiS9_iiiiii, .Lfunc_end295-_ZN4vllm3moe17topkGatingSoftmaxItLi16ELi256ELi8ELi32ELb0ELi4ELNS0_23SharedExpertScoringFuncE1EEEvPKT_PKbPfiPiS9_iiiiii
                                        ; -- End function
	.section	.AMDGPU.csdata,"",@progbits
; Kernel info:
; codeLenInByte = 4836
; NumSgprs: 58
; NumVgprs: 50
; NumAgprs: 0
; TotalNumVgprs: 50
; ScratchSize: 0
; MemoryBound: 0
; FloatMode: 240
; IeeeMode: 1
; LDSByteSize: 0 bytes/workgroup (compile time only)
; SGPRBlocks: 7
; VGPRBlocks: 6
; NumSGPRsForWavesPerEU: 58
; NumVGPRsForWavesPerEU: 50
; AccumOffset: 52
; Occupancy: 8
; WaveLimiterHint : 0
; COMPUTE_PGM_RSRC2:SCRATCH_EN: 0
; COMPUTE_PGM_RSRC2:USER_SGPR: 6
; COMPUTE_PGM_RSRC2:TRAP_HANDLER: 0
; COMPUTE_PGM_RSRC2:TGID_X_EN: 1
; COMPUTE_PGM_RSRC2:TGID_Y_EN: 0
; COMPUTE_PGM_RSRC2:TGID_Z_EN: 0
; COMPUTE_PGM_RSRC2:TIDIG_COMP_CNT: 1
; COMPUTE_PGM_RSRC3_GFX90A:ACCUM_OFFSET: 12
; COMPUTE_PGM_RSRC3_GFX90A:TG_SPLIT: 0
	.section	.text._ZN4vllm3moe17topkGatingSoftmaxItLi16ELi256ELi8ELi32ELb1ELi8ELNS0_23SharedExpertScoringFuncE1EEEvPKT_PKbPfiPiS9_iiiiii,"axG",@progbits,_ZN4vllm3moe17topkGatingSoftmaxItLi16ELi256ELi8ELi32ELb1ELi8ELNS0_23SharedExpertScoringFuncE1EEEvPKT_PKbPfiPiS9_iiiiii,comdat
	.protected	_ZN4vllm3moe17topkGatingSoftmaxItLi16ELi256ELi8ELi32ELb1ELi8ELNS0_23SharedExpertScoringFuncE1EEEvPKT_PKbPfiPiS9_iiiiii ; -- Begin function _ZN4vllm3moe17topkGatingSoftmaxItLi16ELi256ELi8ELi32ELb1ELi8ELNS0_23SharedExpertScoringFuncE1EEEvPKT_PKbPfiPiS9_iiiiii
	.globl	_ZN4vllm3moe17topkGatingSoftmaxItLi16ELi256ELi8ELi32ELb1ELi8ELNS0_23SharedExpertScoringFuncE1EEEvPKT_PKbPfiPiS9_iiiiii
	.p2align	8
	.type	_ZN4vllm3moe17topkGatingSoftmaxItLi16ELi256ELi8ELi32ELb1ELi8ELNS0_23SharedExpertScoringFuncE1EEEvPKT_PKbPfiPiS9_iiiiii,@function
_ZN4vllm3moe17topkGatingSoftmaxItLi16ELi256ELi8ELi32ELb1ELi8ELNS0_23SharedExpertScoringFuncE1EEEvPKT_PKbPfiPiS9_iiiiii: ; @_ZN4vllm3moe17topkGatingSoftmaxItLi16ELi256ELi8ELi32ELb1ELi8ELNS0_23SharedExpertScoringFuncE1EEEvPKT_PKbPfiPiS9_iiiiii
; %bb.0:
	s_load_dword s33, s[4:5], 0x18
	v_bfe_u32 v1, v0, 10, 10
	v_and_b32_e32 v0, 0x3ff, v0
	s_lshl_b32 s50, s6, 5
	v_lshlrev_b32_e32 v41, 2, v1
	v_lshrrev_b32_e32 v42, 4, v0
	v_add3_u32 v22, s50, v41, v42
	s_waitcnt lgkmcnt(0)
	v_cmp_gt_i32_e32 vcc, s33, v22
	s_and_saveexec_b64 s[0:1], vcc
	s_cbranch_execz .LBB296_29
; %bb.1:
	s_load_dwordx4 s[0:3], s[4:5], 0x0
	s_load_dwordx2 s[34:35], s[4:5], 0x10
	s_waitcnt lgkmcnt(0)
	s_cmp_eq_u64 s[2:3], 0
	s_cbranch_scc1 .LBB296_3
; %bb.2:
	v_ashrrev_i32_e32 v1, 31, v22
	v_mov_b32_e32 v3, s3
	v_add_co_u32_e32 v2, vcc, s2, v22
	v_addc_co_u32_e32 v3, vcc, v3, v1, vcc
	global_load_ubyte v1, v[2:3], off
	s_waitcnt vmcnt(0)
	v_and_b32_e32 v1, 1, v1
	v_cmp_eq_u32_e32 vcc, 1, v1
	s_xor_b64 s[2:3], vcc, -1
	s_orn2_b64 s[44:45], s[2:3], exec
	s_branch .LBB296_4
.LBB296_3:
	s_mov_b64 s[44:45], -1
.LBB296_4:
	s_load_dwordx2 s[8:9], s[4:5], 0x40
	s_load_dwordx4 s[36:39], s[4:5], 0x30
	v_mov_b32_e32 v4, s1
	v_and_b32_e32 v23, 15, v0
	v_lshlrev_b32_e32 v0, 5, v23
	s_waitcnt lgkmcnt(0)
	v_mul_lo_u32 v2, v22, s9
	v_ashrrev_i32_e32 v3, 31, v2
	v_lshlrev_b64 v[2:3], 1, v[2:3]
	v_add_co_u32_e32 v1, vcc, s0, v2
	v_addc_co_u32_e32 v2, vcc, v4, v3, vcc
	v_add_co_u32_e32 v8, vcc, v1, v0
	v_addc_co_u32_e32 v9, vcc, 0, v2, vcc
	global_load_dwordx4 v[12:15], v[8:9], off offset:16
	global_load_dwordx4 v[4:7], v[8:9], off
	v_lshlrev_b32_e32 v25, 4, v23
	v_mov_b32_e32 v24, 0
	v_cmp_gt_u32_e32 vcc, 8, v23
	s_and_saveexec_b64 s[0:1], vcc
	s_cbranch_execz .LBB296_6
; %bb.5:
	v_lshlrev_b32_e32 v0, 1, v23
	v_add_co_u32_e32 v0, vcc, v1, v0
	v_addc_co_u32_e32 v1, vcc, 0, v2, vcc
	global_load_ushort v0, v[0:1], off offset:512
	s_mov_b32 s2, 0xbfb8aa3b
	s_mov_b32 s3, 0x42ce8ed0
	;; [unrolled: 1-line block ×3, first 2 shown]
	v_mov_b32_e32 v3, 0x7f800000
	v_mul_lo_u32 v1, v22, s39
	v_mov_b32_e32 v10, s35
	s_waitcnt vmcnt(0)
	v_cvt_f32_u32_e32 v2, v0
	v_mul_f32_e32 v0, 0xbfb8aa3b, v2
	v_fma_f32 v8, v2, s2, -v0
	v_rndne_f32_e32 v9, v0
	v_fmac_f32_e32 v8, 0xb2a5705f, v2
	v_sub_f32_e32 v0, v0, v9
	v_add_f32_e32 v0, v0, v8
	v_cvt_i32_f32_e32 v9, v9
	v_exp_f32_e32 v8, v0
	v_cmp_nlt_f32_e32 vcc, s3, v2
	v_add3_u32 v0, v1, s36, v23
	v_ashrrev_i32_e32 v1, 31, v0
	v_ldexp_f32 v8, v8, v9
	v_cndmask_b32_e32 v8, 0, v8, vcc
	v_cmp_ngt_f32_e32 vcc, s6, v2
	v_cndmask_b32_e32 v2, v3, v8, vcc
	v_add_f32_e32 v2, 1.0, v2
	v_div_scale_f32 v3, s[2:3], v2, v2, 1.0
	v_rcp_f32_e32 v8, v3
	v_div_scale_f32 v9, vcc, 1.0, v2, 1.0
	v_lshlrev_b64 v[0:1], 2, v[0:1]
	v_fma_f32 v11, -v3, v8, 1.0
	v_fmac_f32_e32 v8, v11, v8
	v_mul_f32_e32 v11, v9, v8
	v_fma_f32 v16, -v3, v11, v9
	v_fmac_f32_e32 v11, v16, v8
	v_fma_f32 v3, -v3, v11, v9
	v_div_fmas_f32 v3, v3, v8, v11
	v_add_co_u32_e32 v0, vcc, s34, v0
	v_div_fixup_f32 v2, v3, v2, 1.0
	v_addc_co_u32_e32 v1, vcc, v10, v1, vcc
	global_store_dword v[0:1], v2, off
.LBB296_6:
	s_or_b64 exec, exec, s[0:1]
	s_waitcnt vmcnt(0)
	v_cvt_f32_u32_sdwa v1, v4 dst_sel:DWORD dst_unused:UNUSED_PAD src0_sel:WORD_1
	v_cvt_f32_u32_sdwa v0, v4 dst_sel:DWORD dst_unused:UNUSED_PAD src0_sel:WORD_0
	v_cvt_f32_u32_sdwa v2, v5 dst_sel:DWORD dst_unused:UNUSED_PAD src0_sel:WORD_0
	v_or_b32_e32 v26, 1, v25
	v_or_b32_e32 v27, 2, v25
	v_cmp_lt_f32_e32 vcc, v0, v1
	v_cndmask_b32_e32 v4, v0, v1, vcc
	v_cndmask_b32_e32 v3, v25, v26, vcc
	v_cmp_lt_f32_e32 vcc, v4, v2
	v_cndmask_b32_e32 v8, v3, v27, vcc
	v_cvt_f32_u32_sdwa v3, v5 dst_sel:DWORD dst_unused:UNUSED_PAD src0_sel:WORD_1
	v_cndmask_b32_e32 v4, v4, v2, vcc
	v_or_b32_e32 v28, 3, v25
	v_or_b32_e32 v29, 4, v25
	v_cmp_lt_f32_e32 vcc, v4, v3
	v_cndmask_b32_e32 v5, v8, v28, vcc
	v_cndmask_b32_e32 v8, v4, v3, vcc
	v_cvt_f32_u32_sdwa v4, v6 dst_sel:DWORD dst_unused:UNUSED_PAD src0_sel:WORD_0
	v_or_b32_e32 v30, 5, v25
	v_or_b32_e32 v31, 6, v25
	;; [unrolled: 1-line block ×3, first 2 shown]
	v_cmp_lt_f32_e32 vcc, v8, v4
	v_cndmask_b32_e32 v9, v5, v29, vcc
	v_cvt_f32_u32_sdwa v5, v6 dst_sel:DWORD dst_unused:UNUSED_PAD src0_sel:WORD_1
	v_cvt_f32_u32_sdwa v6, v7 dst_sel:DWORD dst_unused:UNUSED_PAD src0_sel:WORD_0
	v_cndmask_b32_e32 v8, v8, v4, vcc
	v_cvt_f32_u32_sdwa v7, v7 dst_sel:DWORD dst_unused:UNUSED_PAD src0_sel:WORD_1
	v_cmp_lt_f32_e32 vcc, v8, v5
	v_cndmask_b32_e32 v8, v8, v5, vcc
	v_cndmask_b32_e32 v9, v9, v30, vcc
	v_cmp_lt_f32_e32 vcc, v8, v6
	v_cndmask_b32_e32 v8, v8, v6, vcc
	v_cndmask_b32_e32 v9, v9, v31, vcc
	v_cmp_lt_f32_e32 vcc, v8, v7
	v_cndmask_b32_e32 v10, v8, v7, vcc
	v_cvt_f32_u32_sdwa v8, v12 dst_sel:DWORD dst_unused:UNUSED_PAD src0_sel:WORD_0
	v_cndmask_b32_e32 v9, v9, v32, vcc
	v_or_b32_e32 v33, 8, v25
	v_or_b32_e32 v34, 9, v25
	v_cmp_lt_f32_e32 vcc, v10, v8
	v_cndmask_b32_e32 v11, v9, v33, vcc
	v_cvt_f32_u32_sdwa v9, v12 dst_sel:DWORD dst_unused:UNUSED_PAD src0_sel:WORD_1
	v_cndmask_b32_e32 v10, v10, v8, vcc
	v_or_b32_e32 v35, 10, v25
	v_or_b32_e32 v36, 11, v25
	v_cmp_lt_f32_e32 vcc, v10, v9
	v_cndmask_b32_e32 v12, v10, v9, vcc
	v_cvt_f32_u32_sdwa v10, v13 dst_sel:DWORD dst_unused:UNUSED_PAD src0_sel:WORD_0
	v_cndmask_b32_e32 v11, v11, v34, vcc
	v_or_b32_e32 v37, 12, v25
	v_or_b32_e32 v38, 13, v25
	v_cmp_lt_f32_e32 vcc, v12, v10
	v_cndmask_b32_e32 v16, v11, v35, vcc
	v_cvt_f32_u32_sdwa v11, v13 dst_sel:DWORD dst_unused:UNUSED_PAD src0_sel:WORD_1
	v_cndmask_b32_e32 v12, v12, v10, vcc
	v_or_b32_e32 v39, 14, v25
	v_or_b32_e32 v40, 15, v25
	v_cmp_lt_f32_e32 vcc, v12, v11
	v_cndmask_b32_e32 v13, v16, v36, vcc
	v_cndmask_b32_e32 v16, v12, v11, vcc
	v_cvt_f32_u32_sdwa v12, v14 dst_sel:DWORD dst_unused:UNUSED_PAD src0_sel:WORD_0
	v_cmp_lt_f32_e32 vcc, v16, v12
	v_cndmask_b32_e32 v17, v13, v37, vcc
	v_cvt_f32_u32_sdwa v13, v14 dst_sel:DWORD dst_unused:UNUSED_PAD src0_sel:WORD_1
	v_cvt_f32_u32_sdwa v14, v15 dst_sel:DWORD dst_unused:UNUSED_PAD src0_sel:WORD_0
	v_cndmask_b32_e32 v16, v16, v12, vcc
	v_cvt_f32_u32_sdwa v15, v15 dst_sel:DWORD dst_unused:UNUSED_PAD src0_sel:WORD_1
	v_cmp_lt_f32_e32 vcc, v16, v13
	v_cndmask_b32_e32 v16, v16, v13, vcc
	v_cndmask_b32_e32 v17, v17, v38, vcc
	v_cmp_lt_f32_e32 vcc, v16, v14
	v_cndmask_b32_e32 v16, v16, v14, vcc
	v_cndmask_b32_e32 v17, v17, v39, vcc
	;; [unrolled: 3-line block ×3, first 2 shown]
	s_nop 0
	v_mov_b32_dpp v19, v17 quad_perm:[1,0,3,2] row_mask:0xf bank_mask:0xf
	v_mov_b32_dpp v18, v16 quad_perm:[1,0,3,2] row_mask:0xf bank_mask:0xf
	v_cmp_eq_f32_e64 s[0:1], v16, v18
	v_cmp_lt_i32_e64 s[2:3], v19, v17
	v_cmp_lt_f32_e32 vcc, v16, v18
	s_and_b64 s[0:1], s[0:1], s[2:3]
	s_or_b64 vcc, vcc, s[0:1]
	v_cndmask_b32_e32 v16, v16, v18, vcc
	v_cndmask_b32_e32 v17, v17, v19, vcc
	s_nop 0
	v_mov_b32_dpp v18, v16 quad_perm:[2,3,0,1] row_mask:0xf bank_mask:0xf
	v_mov_b32_dpp v19, v17 quad_perm:[2,3,0,1] row_mask:0xf bank_mask:0xf
	v_cmp_eq_f32_e64 s[0:1], v16, v18
	v_cmp_lt_i32_e64 s[2:3], v19, v17
	v_cmp_lt_f32_e32 vcc, v16, v18
	s_and_b64 s[0:1], s[0:1], s[2:3]
	s_or_b64 vcc, vcc, s[0:1]
	v_cndmask_b32_e32 v16, v16, v18, vcc
	v_cndmask_b32_e32 v17, v17, v19, vcc
	s_nop 0
	v_mov_b32_dpp v18, v16 row_half_mirror row_mask:0xf bank_mask:0xf
	v_mov_b32_dpp v19, v17 row_half_mirror row_mask:0xf bank_mask:0xf
	v_cmp_eq_f32_e64 s[0:1], v16, v18
	v_cmp_lt_i32_e64 s[2:3], v19, v17
	v_cmp_lt_f32_e32 vcc, v16, v18
	s_and_b64 s[0:1], s[0:1], s[2:3]
	s_or_b64 vcc, vcc, s[0:1]
	v_cndmask_b32_e32 v16, v16, v18, vcc
	v_cndmask_b32_e32 v17, v17, v19, vcc
	s_cmp_gt_i32 s36, 0
	s_cselect_b64 s[46:47], -1, 0
	s_cmp_lt_i32 s36, 1
	v_cmp_eq_u32_e32 vcc, 0, v23
	v_mov_b32_dpp v18, v17 row_mirror row_mask:0xf bank_mask:0xf
	v_mov_b32_dpp v19, v16 row_mirror row_mask:0xf bank_mask:0xf
	s_cbranch_scc1 .LBB296_18
; %bb.7:
	s_load_dwordx4 s[40:43], s[4:5], 0x20
	v_cmp_eq_f32_e64 s[2:3], v16, v19
	v_cmp_lt_i32_e64 s[6:7], v18, v17
	v_cmp_lt_f32_e64 s[0:1], v16, v19
	s_and_b64 s[2:3], s[2:3], s[6:7]
	s_or_b64 s[0:1], s[0:1], s[2:3]
	v_cndmask_b32_e64 v44, v17, v18, s[0:1]
	v_cndmask_b32_e64 v43, v16, v19, s[0:1]
	v_mul_lo_u32 v20, v22, s39
	v_mul_lo_u32 v18, v22, s8
	;; [unrolled: 1-line block ×3, first 2 shown]
	v_mov_b32_e32 v24, 0
	s_and_saveexec_b64 s[4:5], vcc
	s_cbranch_execz .LBB296_9
; %bb.8:
	v_sub_f32_e32 v17, v43, v43
	v_mul_f32_e32 v19, 0x3fb8aa3b, v17
	s_mov_b32 s0, 0x3fb8aa3b
	v_rndne_f32_e32 v21, v19
	v_sub_f32_e32 v24, v19, v21
	v_fma_f32 v19, v17, s0, -v19
	v_fmac_f32_e32 v19, 0x32a5705f, v17
	v_add_f32_e32 v19, v24, v19
	v_exp_f32_e32 v19, v19
	v_cvt_i32_f32_e32 v21, v21
	v_cmp_le_i32_e64 s[0:1], s37, v44
	v_cmp_gt_i32_e64 s[2:3], s38, v44
	s_and_b64 s[2:3], s[0:1], s[2:3]
	s_mov_b32 s0, 0xc2ce8ed0
	v_ldexp_f32 v19, v19, v21
	v_cmp_ngt_f32_e64 s[0:1], s0, v17
	v_cndmask_b32_e64 v19, 0, v19, s[0:1]
	s_mov_b32 s0, 0x42b17218
	v_mov_b32_e32 v21, 0x7f800000
	v_cmp_nlt_f32_e64 s[0:1], s0, v17
	v_cndmask_b32_e64 v24, v21, v19, s[0:1]
	v_ashrrev_i32_e32 v21, 31, v20
	v_lshlrev_b64 v[46:47], 2, v[20:21]
	v_mov_b32_e32 v17, s35
	v_add_co_u32_e64 v46, s[0:1], s34, v46
	v_addc_co_u32_e64 v47, s[0:1], v17, v47, s[0:1]
	v_subrev_u32_e32 v17, s37, v44
	v_mov_b32_e32 v19, 0x100
	s_and_b64 s[0:1], s[44:45], s[2:3]
	v_cndmask_b32_e64 v17, v19, v17, s[0:1]
	v_ashrrev_i32_e32 v19, 31, v18
	global_store_dword v[46:47], v24, off
	v_lshlrev_b64 v[46:47], 2, v[18:19]
	s_waitcnt lgkmcnt(0)
	v_mov_b32_e32 v19, s41
	v_add_co_u32_e64 v46, s[0:1], s40, v46
	v_addc_co_u32_e64 v47, s[0:1], v19, v47, s[0:1]
	global_store_dword v[46:47], v17, off
	v_ashrrev_i32_e32 v17, 31, v16
	v_lshlrev_b64 v[46:47], 2, v[16:17]
	v_mov_b32_e32 v17, s43
	v_add_co_u32_e64 v46, s[0:1], s42, v46
	v_addc_co_u32_e64 v47, s[0:1], v17, v47, s[0:1]
	global_store_dword v[46:47], v22, off
.LBB296_9:
	s_or_b64 exec, exec, s[4:5]
	v_ashrrev_i32_e32 v17, 31, v44
	v_lshrrev_b32_e32 v19, 28, v17
	v_add_u32_e32 v19, v44, v19
	v_ashrrev_i32_e32 v19, 4, v19
	v_lshrrev_b32_e32 v21, 28, v19
	v_add_u32_e32 v21, v19, v21
	v_and_b32_e32 v21, -16, v21
	v_sub_u32_e32 v21, v19, v21
	v_cmp_eq_u32_e64 s[0:1], v23, v21
	s_and_saveexec_b64 s[48:49], s[0:1]
	s_cbranch_execz .LBB296_11
; %bb.10:
	v_add_u32_sdwa v17, v44, v17 dst_sel:DWORD dst_unused:UNUSED_PAD src0_sel:DWORD src1_sel:BYTE_3
	v_lshlrev_b32_e32 v19, 4, v19
	v_sub_u32_e32 v19, v44, v19
	v_ashrrev_i32_e32 v17, 8, v17
	v_lshl_add_u32 v17, v17, 4, v19
	v_mov_b32_e32 v19, 0xff800000
	v_cmp_ne_u32_e64 s[0:1], 14, v17
	v_cmp_ne_u32_e64 s[2:3], 13, v17
	;; [unrolled: 1-line block ×16, first 2 shown]
	v_cndmask_b32_e64 v15, v19, v15, s[30:31]
	v_cndmask_b32_e64 v14, v19, v14, s[0:1]
	;; [unrolled: 1-line block ×16, first 2 shown]
.LBB296_11:
	s_or_b64 exec, exec, s[48:49]
	s_cmp_eq_u32 s36, 1
	s_cbranch_scc1 .LBB296_18
; %bb.12:
	s_add_i32 s50, s50, s33
	s_add_i32 s51, s36, -1
	v_add3_u32 v41, s50, v42, v41
	v_add_u32_e32 v16, 1, v16
	v_add_u32_e32 v18, 1, v18
	;; [unrolled: 1-line block ×3, first 2 shown]
	s_mov_b32 s50, 0x3fb8aa3b
	s_mov_b32 s52, 0xc2ce8ed0
	;; [unrolled: 1-line block ×3, first 2 shown]
	v_mov_b32_e32 v42, 0x7f800000
	v_mov_b32_e32 v44, 0x100
	;; [unrolled: 1-line block ×3, first 2 shown]
	s_branch .LBB296_14
.LBB296_13:                             ;   in Loop: Header=BB296_14 Depth=1
	s_or_b64 exec, exec, s[48:49]
	s_add_i32 s51, s51, -1
	v_add_u32_e32 v41, s33, v41
	v_add_u32_e32 v16, 1, v16
	;; [unrolled: 1-line block ×3, first 2 shown]
	s_cmp_eq_u32 s51, 0
	v_add_u32_e32 v20, 1, v20
	s_cbranch_scc1 .LBB296_18
.LBB296_14:                             ; =>This Inner Loop Header: Depth=1
	v_cmp_gt_f32_e64 s[0:1], v1, v0
	v_cndmask_b32_e64 v19, v0, v1, s[0:1]
	v_cndmask_b32_e64 v17, v25, v26, s[0:1]
	v_cmp_gt_f32_e64 s[0:1], v2, v19
	v_cndmask_b32_e64 v19, v19, v2, s[0:1]
	v_cndmask_b32_e64 v17, v17, v27, s[0:1]
	;; [unrolled: 3-line block ×15, first 2 shown]
	s_nop 0
	v_mov_b32_dpp v46, v17 quad_perm:[1,0,3,2] row_mask:0xf bank_mask:0xf
	v_mov_b32_dpp v21, v19 quad_perm:[1,0,3,2] row_mask:0xf bank_mask:0xf
	v_cmp_eq_f32_e64 s[2:3], v19, v21
	v_cmp_lt_i32_e64 s[4:5], v46, v17
	v_cmp_lt_f32_e64 s[0:1], v19, v21
	s_and_b64 s[2:3], s[2:3], s[4:5]
	s_or_b64 s[0:1], s[0:1], s[2:3]
	v_cndmask_b32_e64 v19, v19, v21, s[0:1]
	v_cndmask_b32_e64 v17, v17, v46, s[0:1]
	s_nop 0
	v_mov_b32_dpp v21, v19 quad_perm:[2,3,0,1] row_mask:0xf bank_mask:0xf
	v_mov_b32_dpp v46, v17 quad_perm:[2,3,0,1] row_mask:0xf bank_mask:0xf
	v_cmp_eq_f32_e64 s[2:3], v19, v21
	v_cmp_lt_i32_e64 s[4:5], v46, v17
	v_cmp_lt_f32_e64 s[0:1], v19, v21
	s_and_b64 s[2:3], s[2:3], s[4:5]
	s_or_b64 s[0:1], s[0:1], s[2:3]
	v_cndmask_b32_e64 v19, v19, v21, s[0:1]
	v_cndmask_b32_e64 v21, v17, v46, s[0:1]
	s_nop 0
	v_mov_b32_dpp v17, v19 row_half_mirror row_mask:0xf bank_mask:0xf
	v_mov_b32_dpp v46, v21 row_half_mirror row_mask:0xf bank_mask:0xf
	v_cmp_eq_f32_e64 s[2:3], v19, v17
	v_cmp_lt_i32_e64 s[4:5], v46, v21
	v_cmp_lt_f32_e64 s[0:1], v19, v17
	s_and_b64 s[2:3], s[2:3], s[4:5]
	s_or_b64 s[0:1], s[0:1], s[2:3]
	v_cndmask_b32_e64 v17, v19, v17, s[0:1]
	v_cndmask_b32_e64 v21, v21, v46, s[0:1]
	s_nop 0
	v_mov_b32_dpp v19, v17 row_mirror row_mask:0xf bank_mask:0xf
	v_mov_b32_dpp v46, v21 row_mirror row_mask:0xf bank_mask:0xf
	v_cmp_eq_f32_e64 s[2:3], v17, v19
	v_cmp_lt_i32_e64 s[4:5], v46, v21
	v_cmp_lt_f32_e64 s[0:1], v17, v19
	s_and_b64 s[2:3], s[2:3], s[4:5]
	s_or_b64 s[0:1], s[0:1], s[2:3]
	v_cndmask_b32_e64 v46, v21, v46, s[0:1]
	s_and_saveexec_b64 s[4:5], vcc
	s_cbranch_execz .LBB296_16
; %bb.15:                               ;   in Loop: Header=BB296_14 Depth=1
	v_cndmask_b32_e64 v17, v17, v19, s[0:1]
	v_sub_f32_e32 v17, v17, v43
	v_mul_f32_e32 v19, 0x3fb8aa3b, v17
	v_fma_f32 v21, v17, s50, -v19
	v_rndne_f32_e32 v47, v19
	v_fmac_f32_e32 v21, 0x32a5705f, v17
	v_sub_f32_e32 v19, v19, v47
	v_add_f32_e32 v19, v19, v21
	v_exp_f32_e32 v19, v19
	v_cvt_i32_f32_e32 v21, v47
	v_cmp_le_i32_e64 s[0:1], s37, v46
	v_cmp_gt_i32_e64 s[2:3], s38, v46
	s_and_b64 s[2:3], s[0:1], s[2:3]
	v_ldexp_f32 v19, v19, v21
	v_cmp_ngt_f32_e64 s[0:1], s52, v17
	v_ashrrev_i32_e32 v21, 31, v20
	v_cndmask_b32_e64 v19, 0, v19, s[0:1]
	v_cmp_nlt_f32_e64 s[0:1], s53, v17
	v_lshlrev_b64 v[48:49], 2, v[20:21]
	v_cndmask_b32_e64 v47, v42, v19, s[0:1]
	v_mov_b32_e32 v17, s35
	v_add_co_u32_e64 v48, s[0:1], s34, v48
	v_addc_co_u32_e64 v49, s[0:1], v17, v49, s[0:1]
	v_ashrrev_i32_e32 v19, 31, v18
	global_store_dword v[48:49], v47, off
	v_subrev_u32_e32 v17, s37, v46
	s_and_b64 s[0:1], s[44:45], s[2:3]
	v_lshlrev_b64 v[48:49], 2, v[18:19]
	v_cndmask_b32_e64 v17, v44, v17, s[0:1]
	s_waitcnt lgkmcnt(0)
	v_mov_b32_e32 v19, s41
	v_add_co_u32_e64 v48, s[0:1], s40, v48
	v_addc_co_u32_e64 v49, s[0:1], v19, v49, s[0:1]
	global_store_dword v[48:49], v17, off
	v_ashrrev_i32_e32 v17, 31, v16
	v_lshlrev_b64 v[48:49], 2, v[16:17]
	v_mov_b32_e32 v17, s43
	v_add_co_u32_e64 v48, s[0:1], s42, v48
	v_addc_co_u32_e64 v49, s[0:1], v17, v49, s[0:1]
	v_add_f32_e32 v24, v24, v47
	global_store_dword v[48:49], v41, off
.LBB296_16:                             ;   in Loop: Header=BB296_14 Depth=1
	s_or_b64 exec, exec, s[4:5]
	v_ashrrev_i32_e32 v17, 31, v46
	v_lshrrev_b32_e32 v19, 28, v17
	v_add_u32_e32 v19, v46, v19
	v_ashrrev_i32_e32 v19, 4, v19
	v_lshrrev_b32_e32 v21, 28, v19
	v_add_u32_e32 v21, v19, v21
	v_and_b32_e32 v21, -16, v21
	v_sub_u32_e32 v21, v19, v21
	v_cmp_eq_u32_e64 s[0:1], v23, v21
	s_and_saveexec_b64 s[48:49], s[0:1]
	s_cbranch_execz .LBB296_13
; %bb.17:                               ;   in Loop: Header=BB296_14 Depth=1
	v_add_u32_sdwa v17, v46, v17 dst_sel:DWORD dst_unused:UNUSED_PAD src0_sel:DWORD src1_sel:BYTE_3
	v_lshlrev_b32_e32 v19, 4, v19
	v_sub_u32_e32 v19, v46, v19
	v_ashrrev_i32_e32 v17, 8, v17
	v_lshl_add_u32 v17, v17, 4, v19
	v_cmp_ne_u32_e64 s[0:1], 14, v17
	v_cmp_ne_u32_e64 s[2:3], 13, v17
	;; [unrolled: 1-line block ×16, first 2 shown]
	v_cndmask_b32_e64 v15, v45, v15, s[30:31]
	v_cndmask_b32_e64 v14, v45, v14, s[0:1]
	;; [unrolled: 1-line block ×16, first 2 shown]
	s_branch .LBB296_13
.LBB296_18:
	v_cmp_eq_u32_e32 vcc, 0, v23
	v_cmp_neq_f32_e64 s[0:1], 0, v24
	s_and_b64 s[0:1], vcc, s[0:1]
	s_and_b64 exec, exec, s[0:1]
	s_cbranch_execz .LBB296_29
; %bb.19:
	s_andn2_b64 vcc, exec, s[46:47]
	s_cbranch_vccnz .LBB296_29
; %bb.20:
	v_div_scale_f32 v0, s[0:1], v24, v24, 1.0
	v_rcp_f32_e32 v1, v0
	v_div_scale_f32 v2, vcc, 1.0, v24, 1.0
	s_cmp_gt_u32 s36, 3
	v_fma_f32 v3, -v0, v1, 1.0
	v_fmac_f32_e32 v1, v3, v1
	v_mul_f32_e32 v3, v2, v1
	v_fma_f32 v4, -v0, v3, v2
	v_fmac_f32_e32 v3, v4, v1
	v_fma_f32 v0, -v0, v3, v2
	v_div_fmas_f32 v0, v0, v1, v3
	v_mul_lo_u32 v2, v22, s39
	v_div_fixup_f32 v0, v0, v24, 1.0
	v_ashrrev_i32_e32 v3, 31, v2
	s_cbranch_scc0 .LBB296_24
; %bb.21:
	v_lshlrev_b64 v[4:5], 2, v[2:3]
	v_mov_b32_e32 v6, s35
	v_add_co_u32_e32 v4, vcc, s34, v4
	v_addc_co_u32_e32 v5, vcc, v5, v6, vcc
	s_and_b32 s4, s36, 0x7ffffffc
	v_add_co_u32_e32 v4, vcc, 8, v4
	v_mov_b32_e32 v1, v0
	v_addc_co_u32_e32 v5, vcc, 0, v5, vcc
	s_mov_b32 s0, s4
.LBB296_22:                             ; =>This Inner Loop Header: Depth=1
	global_load_dwordx4 v[6:9], v[4:5], off offset:-8
	s_add_i32 s0, s0, -4
	s_cmp_lg_u32 s0, 0
	s_waitcnt vmcnt(0)
	v_pk_mul_f32 v[6:7], v[0:1], v[6:7]
	v_pk_mul_f32 v[8:9], v[0:1], v[8:9]
	global_store_dwordx4 v[4:5], v[6:9], off offset:-8
	v_add_co_u32_e32 v4, vcc, 16, v4
	v_addc_co_u32_e32 v5, vcc, 0, v5, vcc
	s_cbranch_scc1 .LBB296_22
; %bb.23:
	s_cmp_lg_u32 s4, s36
	s_cselect_b64 s[0:1], -1, 0
	s_branch .LBB296_26
.LBB296_24:
	s_mov_b64 s[0:1], 0
                                        ; implicit-def: $sgpr4
	s_cbranch_execz .LBB296_26
; %bb.25:
	s_mov_b64 s[0:1], -1
	s_mov_b32 s4, 0
.LBB296_26:
	s_andn2_b64 vcc, exec, s[0:1]
	s_cbranch_vccnz .LBB296_29
; %bb.27:
	v_add_co_u32_e32 v2, vcc, s4, v2
	v_addc_co_u32_e32 v3, vcc, 0, v3, vcc
	v_lshlrev_b64 v[2:3], 2, v[2:3]
	v_mov_b32_e32 v1, s35
	v_add_co_u32_e32 v2, vcc, s34, v2
	s_sub_i32 s0, s36, s4
	v_addc_co_u32_e32 v3, vcc, v1, v3, vcc
.LBB296_28:                             ; =>This Inner Loop Header: Depth=1
	global_load_dword v1, v[2:3], off
	s_add_i32 s0, s0, -1
	s_cmp_lg_u32 s0, 0
	s_waitcnt vmcnt(0)
	v_mul_f32_e32 v1, v0, v1
	global_store_dword v[2:3], v1, off
	v_add_co_u32_e32 v2, vcc, 4, v2
	v_addc_co_u32_e32 v3, vcc, 0, v3, vcc
	s_cbranch_scc1 .LBB296_28
.LBB296_29:
	s_endpgm
	.section	.rodata,"a",@progbits
	.p2align	6, 0x0
	.amdhsa_kernel _ZN4vllm3moe17topkGatingSoftmaxItLi16ELi256ELi8ELi32ELb1ELi8ELNS0_23SharedExpertScoringFuncE1EEEvPKT_PKbPfiPiS9_iiiiii
		.amdhsa_group_segment_fixed_size 0
		.amdhsa_private_segment_fixed_size 0
		.amdhsa_kernarg_size 72
		.amdhsa_user_sgpr_count 6
		.amdhsa_user_sgpr_private_segment_buffer 1
		.amdhsa_user_sgpr_dispatch_ptr 0
		.amdhsa_user_sgpr_queue_ptr 0
		.amdhsa_user_sgpr_kernarg_segment_ptr 1
		.amdhsa_user_sgpr_dispatch_id 0
		.amdhsa_user_sgpr_flat_scratch_init 0
		.amdhsa_user_sgpr_kernarg_preload_length 0
		.amdhsa_user_sgpr_kernarg_preload_offset 0
		.amdhsa_user_sgpr_private_segment_size 0
		.amdhsa_uses_dynamic_stack 0
		.amdhsa_system_sgpr_private_segment_wavefront_offset 0
		.amdhsa_system_sgpr_workgroup_id_x 1
		.amdhsa_system_sgpr_workgroup_id_y 0
		.amdhsa_system_sgpr_workgroup_id_z 0
		.amdhsa_system_sgpr_workgroup_info 0
		.amdhsa_system_vgpr_workitem_id 1
		.amdhsa_next_free_vgpr 50
		.amdhsa_next_free_sgpr 54
		.amdhsa_accum_offset 52
		.amdhsa_reserve_vcc 1
		.amdhsa_reserve_flat_scratch 0
		.amdhsa_float_round_mode_32 0
		.amdhsa_float_round_mode_16_64 0
		.amdhsa_float_denorm_mode_32 3
		.amdhsa_float_denorm_mode_16_64 3
		.amdhsa_dx10_clamp 1
		.amdhsa_ieee_mode 1
		.amdhsa_fp16_overflow 0
		.amdhsa_tg_split 0
		.amdhsa_exception_fp_ieee_invalid_op 0
		.amdhsa_exception_fp_denorm_src 0
		.amdhsa_exception_fp_ieee_div_zero 0
		.amdhsa_exception_fp_ieee_overflow 0
		.amdhsa_exception_fp_ieee_underflow 0
		.amdhsa_exception_fp_ieee_inexact 0
		.amdhsa_exception_int_div_zero 0
	.end_amdhsa_kernel
	.section	.text._ZN4vllm3moe17topkGatingSoftmaxItLi16ELi256ELi8ELi32ELb1ELi8ELNS0_23SharedExpertScoringFuncE1EEEvPKT_PKbPfiPiS9_iiiiii,"axG",@progbits,_ZN4vllm3moe17topkGatingSoftmaxItLi16ELi256ELi8ELi32ELb1ELi8ELNS0_23SharedExpertScoringFuncE1EEEvPKT_PKbPfiPiS9_iiiiii,comdat
.Lfunc_end296:
	.size	_ZN4vllm3moe17topkGatingSoftmaxItLi16ELi256ELi8ELi32ELb1ELi8ELNS0_23SharedExpertScoringFuncE1EEEvPKT_PKbPfiPiS9_iiiiii, .Lfunc_end296-_ZN4vllm3moe17topkGatingSoftmaxItLi16ELi256ELi8ELi32ELb1ELi8ELNS0_23SharedExpertScoringFuncE1EEEvPKT_PKbPfiPiS9_iiiiii
                                        ; -- End function
	.section	.AMDGPU.csdata,"",@progbits
; Kernel info:
; codeLenInByte = 3496
; NumSgprs: 58
; NumVgprs: 50
; NumAgprs: 0
; TotalNumVgprs: 50
; ScratchSize: 0
; MemoryBound: 0
; FloatMode: 240
; IeeeMode: 1
; LDSByteSize: 0 bytes/workgroup (compile time only)
; SGPRBlocks: 7
; VGPRBlocks: 6
; NumSGPRsForWavesPerEU: 58
; NumVGPRsForWavesPerEU: 50
; AccumOffset: 52
; Occupancy: 8
; WaveLimiterHint : 0
; COMPUTE_PGM_RSRC2:SCRATCH_EN: 0
; COMPUTE_PGM_RSRC2:USER_SGPR: 6
; COMPUTE_PGM_RSRC2:TRAP_HANDLER: 0
; COMPUTE_PGM_RSRC2:TGID_X_EN: 1
; COMPUTE_PGM_RSRC2:TGID_Y_EN: 0
; COMPUTE_PGM_RSRC2:TGID_Z_EN: 0
; COMPUTE_PGM_RSRC2:TIDIG_COMP_CNT: 1
; COMPUTE_PGM_RSRC3_GFX90A:ACCUM_OFFSET: 12
; COMPUTE_PGM_RSRC3_GFX90A:TG_SPLIT: 0
	.section	.text._ZN4vllm3moe17topkGatingSoftmaxItLi16ELi256ELi8ELi32ELb0ELi8ELNS0_23SharedExpertScoringFuncE1EEEvPKT_PKbPfiPiS9_iiiiii,"axG",@progbits,_ZN4vllm3moe17topkGatingSoftmaxItLi16ELi256ELi8ELi32ELb0ELi8ELNS0_23SharedExpertScoringFuncE1EEEvPKT_PKbPfiPiS9_iiiiii,comdat
	.protected	_ZN4vllm3moe17topkGatingSoftmaxItLi16ELi256ELi8ELi32ELb0ELi8ELNS0_23SharedExpertScoringFuncE1EEEvPKT_PKbPfiPiS9_iiiiii ; -- Begin function _ZN4vllm3moe17topkGatingSoftmaxItLi16ELi256ELi8ELi32ELb0ELi8ELNS0_23SharedExpertScoringFuncE1EEEvPKT_PKbPfiPiS9_iiiiii
	.globl	_ZN4vllm3moe17topkGatingSoftmaxItLi16ELi256ELi8ELi32ELb0ELi8ELNS0_23SharedExpertScoringFuncE1EEEvPKT_PKbPfiPiS9_iiiiii
	.p2align	8
	.type	_ZN4vllm3moe17topkGatingSoftmaxItLi16ELi256ELi8ELi32ELb0ELi8ELNS0_23SharedExpertScoringFuncE1EEEvPKT_PKbPfiPiS9_iiiiii,@function
_ZN4vllm3moe17topkGatingSoftmaxItLi16ELi256ELi8ELi32ELb0ELi8ELNS0_23SharedExpertScoringFuncE1EEEvPKT_PKbPfiPiS9_iiiiii: ; @_ZN4vllm3moe17topkGatingSoftmaxItLi16ELi256ELi8ELi32ELb0ELi8ELNS0_23SharedExpertScoringFuncE1EEEvPKT_PKbPfiPiS9_iiiiii
; %bb.0:
	s_load_dword s33, s[4:5], 0x18
	v_bfe_u32 v1, v0, 10, 10
	v_and_b32_e32 v0, 0x3ff, v0
	s_lshl_b32 s50, s6, 5
	v_lshlrev_b32_e32 v42, 2, v1
	v_lshrrev_b32_e32 v43, 4, v0
	v_add3_u32 v22, s50, v42, v43
	s_waitcnt lgkmcnt(0)
	v_cmp_gt_i32_e32 vcc, s33, v22
	s_and_saveexec_b64 s[0:1], vcc
	s_cbranch_execz .LBB297_31
; %bb.1:
	s_load_dwordx4 s[0:3], s[4:5], 0x0
	s_load_dwordx2 s[34:35], s[4:5], 0x10
	s_waitcnt lgkmcnt(0)
	s_cmp_eq_u64 s[2:3], 0
	s_cbranch_scc1 .LBB297_3
; %bb.2:
	v_ashrrev_i32_e32 v1, 31, v22
	v_mov_b32_e32 v3, s3
	v_add_co_u32_e32 v2, vcc, s2, v22
	v_addc_co_u32_e32 v3, vcc, v3, v1, vcc
	global_load_ubyte v1, v[2:3], off
	s_waitcnt vmcnt(0)
	v_and_b32_e32 v1, 1, v1
	v_cmp_eq_u32_e32 vcc, 1, v1
	s_xor_b64 s[2:3], vcc, -1
	s_orn2_b64 s[46:47], s[2:3], exec
	s_branch .LBB297_4
.LBB297_3:
	s_mov_b64 s[46:47], -1
.LBB297_4:
	s_load_dwordx2 s[6:7], s[4:5], 0x40
	s_load_dwordx4 s[36:39], s[4:5], 0x30
	v_mov_b32_e32 v4, s1
	v_and_b32_e32 v23, 15, v0
	v_lshlrev_b32_e32 v0, 5, v23
	s_waitcnt lgkmcnt(0)
	v_mul_lo_u32 v2, v22, s7
	v_ashrrev_i32_e32 v3, 31, v2
	v_lshlrev_b64 v[2:3], 1, v[2:3]
	v_add_co_u32_e32 v1, vcc, s0, v2
	v_addc_co_u32_e32 v2, vcc, v4, v3, vcc
	v_add_co_u32_e32 v8, vcc, v1, v0
	v_addc_co_u32_e32 v9, vcc, 0, v2, vcc
	global_load_dwordx4 v[12:15], v[8:9], off offset:16
	global_load_dwordx4 v[4:7], v[8:9], off
	v_lshlrev_b32_e32 v26, 4, v23
	v_mov_b32_e32 v24, 0
	v_cmp_gt_u32_e32 vcc, 8, v23
	s_and_saveexec_b64 s[0:1], vcc
	s_cbranch_execz .LBB297_6
; %bb.5:
	v_lshlrev_b32_e32 v0, 1, v23
	v_add_co_u32_e32 v0, vcc, v1, v0
	v_addc_co_u32_e32 v1, vcc, 0, v2, vcc
	global_load_ushort v0, v[0:1], off offset:512
	s_mov_b32 s2, 0xbfb8aa3b
	s_mov_b32 s3, 0x42ce8ed0
	;; [unrolled: 1-line block ×3, first 2 shown]
	v_mov_b32_e32 v3, 0x7f800000
	v_mul_lo_u32 v1, v22, s39
	v_mov_b32_e32 v10, s35
	s_waitcnt vmcnt(0)
	v_cvt_f32_u32_e32 v2, v0
	v_mul_f32_e32 v0, 0xbfb8aa3b, v2
	v_fma_f32 v8, v2, s2, -v0
	v_rndne_f32_e32 v9, v0
	v_fmac_f32_e32 v8, 0xb2a5705f, v2
	v_sub_f32_e32 v0, v0, v9
	v_add_f32_e32 v0, v0, v8
	v_cvt_i32_f32_e32 v9, v9
	v_exp_f32_e32 v8, v0
	v_cmp_nlt_f32_e32 vcc, s3, v2
	v_add3_u32 v0, v1, s36, v23
	v_ashrrev_i32_e32 v1, 31, v0
	v_ldexp_f32 v8, v8, v9
	v_cndmask_b32_e32 v8, 0, v8, vcc
	v_cmp_ngt_f32_e32 vcc, s7, v2
	v_cndmask_b32_e32 v2, v3, v8, vcc
	v_add_f32_e32 v2, 1.0, v2
	v_div_scale_f32 v3, s[2:3], v2, v2, 1.0
	v_rcp_f32_e32 v8, v3
	v_div_scale_f32 v9, vcc, 1.0, v2, 1.0
	v_lshlrev_b64 v[0:1], 2, v[0:1]
	v_fma_f32 v11, -v3, v8, 1.0
	v_fmac_f32_e32 v8, v11, v8
	v_mul_f32_e32 v11, v9, v8
	v_fma_f32 v16, -v3, v11, v9
	v_fmac_f32_e32 v11, v16, v8
	v_fma_f32 v3, -v3, v11, v9
	v_div_fmas_f32 v3, v3, v8, v11
	v_add_co_u32_e32 v0, vcc, s34, v0
	v_div_fixup_f32 v2, v3, v2, 1.0
	v_addc_co_u32_e32 v1, vcc, v10, v1, vcc
	global_store_dword v[0:1], v2, off
.LBB297_6:
	s_or_b64 exec, exec, s[0:1]
	s_waitcnt vmcnt(0)
	v_cvt_f32_u32_sdwa v1, v4 dst_sel:DWORD dst_unused:UNUSED_PAD src0_sel:WORD_1
	v_cvt_f32_u32_sdwa v0, v4 dst_sel:DWORD dst_unused:UNUSED_PAD src0_sel:WORD_0
	v_cvt_f32_u32_sdwa v2, v5 dst_sel:DWORD dst_unused:UNUSED_PAD src0_sel:WORD_0
	v_or_b32_e32 v27, 1, v26
	v_or_b32_e32 v28, 2, v26
	v_cmp_lt_f32_e32 vcc, v0, v1
	v_cndmask_b32_e32 v4, v0, v1, vcc
	v_cndmask_b32_e32 v3, v26, v27, vcc
	v_cmp_lt_f32_e32 vcc, v4, v2
	v_cndmask_b32_e32 v8, v3, v28, vcc
	v_cvt_f32_u32_sdwa v3, v5 dst_sel:DWORD dst_unused:UNUSED_PAD src0_sel:WORD_1
	v_cndmask_b32_e32 v4, v4, v2, vcc
	v_or_b32_e32 v29, 3, v26
	v_or_b32_e32 v30, 4, v26
	v_cmp_lt_f32_e32 vcc, v4, v3
	v_cndmask_b32_e32 v5, v8, v29, vcc
	v_cndmask_b32_e32 v8, v4, v3, vcc
	v_cvt_f32_u32_sdwa v4, v6 dst_sel:DWORD dst_unused:UNUSED_PAD src0_sel:WORD_0
	v_or_b32_e32 v31, 5, v26
	v_or_b32_e32 v32, 6, v26
	;; [unrolled: 1-line block ×3, first 2 shown]
	v_cmp_lt_f32_e32 vcc, v8, v4
	v_cndmask_b32_e32 v9, v5, v30, vcc
	v_cvt_f32_u32_sdwa v5, v6 dst_sel:DWORD dst_unused:UNUSED_PAD src0_sel:WORD_1
	v_cvt_f32_u32_sdwa v6, v7 dst_sel:DWORD dst_unused:UNUSED_PAD src0_sel:WORD_0
	v_cndmask_b32_e32 v8, v8, v4, vcc
	v_cvt_f32_u32_sdwa v7, v7 dst_sel:DWORD dst_unused:UNUSED_PAD src0_sel:WORD_1
	v_cmp_lt_f32_e32 vcc, v8, v5
	v_cndmask_b32_e32 v8, v8, v5, vcc
	v_cndmask_b32_e32 v9, v9, v31, vcc
	v_cmp_lt_f32_e32 vcc, v8, v6
	v_cndmask_b32_e32 v8, v8, v6, vcc
	v_cndmask_b32_e32 v9, v9, v32, vcc
	v_cmp_lt_f32_e32 vcc, v8, v7
	v_cndmask_b32_e32 v10, v8, v7, vcc
	v_cvt_f32_u32_sdwa v8, v12 dst_sel:DWORD dst_unused:UNUSED_PAD src0_sel:WORD_0
	v_cndmask_b32_e32 v9, v9, v33, vcc
	v_or_b32_e32 v34, 8, v26
	v_or_b32_e32 v35, 9, v26
	v_cmp_lt_f32_e32 vcc, v10, v8
	v_cndmask_b32_e32 v11, v9, v34, vcc
	v_cvt_f32_u32_sdwa v9, v12 dst_sel:DWORD dst_unused:UNUSED_PAD src0_sel:WORD_1
	v_cndmask_b32_e32 v10, v10, v8, vcc
	v_or_b32_e32 v36, 10, v26
	v_or_b32_e32 v37, 11, v26
	v_cmp_lt_f32_e32 vcc, v10, v9
	v_cndmask_b32_e32 v12, v10, v9, vcc
	v_cvt_f32_u32_sdwa v10, v13 dst_sel:DWORD dst_unused:UNUSED_PAD src0_sel:WORD_0
	v_cndmask_b32_e32 v11, v11, v35, vcc
	v_or_b32_e32 v38, 12, v26
	v_or_b32_e32 v39, 13, v26
	v_cmp_lt_f32_e32 vcc, v12, v10
	v_cndmask_b32_e32 v16, v11, v36, vcc
	v_cvt_f32_u32_sdwa v11, v13 dst_sel:DWORD dst_unused:UNUSED_PAD src0_sel:WORD_1
	v_cndmask_b32_e32 v12, v12, v10, vcc
	v_or_b32_e32 v40, 14, v26
	v_or_b32_e32 v41, 15, v26
	v_cmp_lt_f32_e32 vcc, v12, v11
	v_cndmask_b32_e32 v13, v16, v37, vcc
	v_cndmask_b32_e32 v16, v12, v11, vcc
	v_cvt_f32_u32_sdwa v12, v14 dst_sel:DWORD dst_unused:UNUSED_PAD src0_sel:WORD_0
	v_cmp_lt_f32_e32 vcc, v16, v12
	v_cndmask_b32_e32 v17, v13, v38, vcc
	v_cvt_f32_u32_sdwa v13, v14 dst_sel:DWORD dst_unused:UNUSED_PAD src0_sel:WORD_1
	v_cvt_f32_u32_sdwa v14, v15 dst_sel:DWORD dst_unused:UNUSED_PAD src0_sel:WORD_0
	v_cndmask_b32_e32 v16, v16, v12, vcc
	v_cvt_f32_u32_sdwa v15, v15 dst_sel:DWORD dst_unused:UNUSED_PAD src0_sel:WORD_1
	v_cmp_lt_f32_e32 vcc, v16, v13
	v_cndmask_b32_e32 v16, v16, v13, vcc
	v_cndmask_b32_e32 v17, v17, v39, vcc
	v_cmp_lt_f32_e32 vcc, v16, v14
	v_cndmask_b32_e32 v16, v16, v14, vcc
	v_cndmask_b32_e32 v17, v17, v40, vcc
	;; [unrolled: 3-line block ×3, first 2 shown]
	s_nop 0
	v_mov_b32_dpp v19, v17 quad_perm:[1,0,3,2] row_mask:0xf bank_mask:0xf
	v_mov_b32_dpp v18, v16 quad_perm:[1,0,3,2] row_mask:0xf bank_mask:0xf
	v_cmp_eq_f32_e64 s[0:1], v16, v18
	v_cmp_lt_i32_e64 s[2:3], v19, v17
	v_cmp_lt_f32_e32 vcc, v16, v18
	s_and_b64 s[0:1], s[0:1], s[2:3]
	s_or_b64 vcc, vcc, s[0:1]
	v_cndmask_b32_e32 v16, v16, v18, vcc
	v_cndmask_b32_e32 v17, v17, v19, vcc
	s_nop 0
	v_mov_b32_dpp v18, v16 quad_perm:[2,3,0,1] row_mask:0xf bank_mask:0xf
	v_mov_b32_dpp v19, v17 quad_perm:[2,3,0,1] row_mask:0xf bank_mask:0xf
	v_cmp_eq_f32_e64 s[0:1], v16, v18
	v_cmp_lt_i32_e64 s[2:3], v19, v17
	v_cmp_lt_f32_e32 vcc, v16, v18
	s_and_b64 s[0:1], s[0:1], s[2:3]
	s_or_b64 vcc, vcc, s[0:1]
	v_cndmask_b32_e32 v16, v16, v18, vcc
	v_cndmask_b32_e32 v17, v17, v19, vcc
	s_nop 0
	v_mov_b32_dpp v18, v16 row_half_mirror row_mask:0xf bank_mask:0xf
	v_mov_b32_dpp v19, v17 row_half_mirror row_mask:0xf bank_mask:0xf
	v_cmp_eq_f32_e64 s[0:1], v16, v18
	v_cmp_lt_i32_e64 s[2:3], v19, v17
	v_cmp_lt_f32_e32 vcc, v16, v18
	s_and_b64 s[0:1], s[0:1], s[2:3]
	s_or_b64 vcc, vcc, s[0:1]
	v_cndmask_b32_e32 v18, v16, v18, vcc
	v_cndmask_b32_e32 v16, v17, v19, vcc
	s_nop 0
	v_mov_b32_dpp v19, v18 row_mirror row_mask:0xf bank_mask:0xf
	v_mov_b32_dpp v17, v16 row_mirror row_mask:0xf bank_mask:0xf
	v_cmp_eq_f32_e64 s[0:1], v18, v19
	v_cmp_lt_i32_e64 s[2:3], v17, v16
	v_cmp_lt_f32_e32 vcc, v18, v19
	s_and_b64 s[0:1], s[0:1], s[2:3]
	s_or_b64 s[0:1], vcc, s[0:1]
	s_cmp_gt_i32 s36, 0
	v_cndmask_b32_e64 v25, v18, v19, s[0:1]
	s_cselect_b64 s[44:45], -1, 0
	s_cmp_lt_i32 s36, 1
	v_cmp_eq_u32_e32 vcc, 0, v23
	s_cbranch_scc1 .LBB297_18
; %bb.7:
	s_load_dwordx4 s[40:43], s[4:5], 0x20
	v_cndmask_b32_e64 v44, v16, v17, s[0:1]
	v_mul_lo_u32 v20, v22, s39
	v_mul_lo_u32 v18, v22, s6
	;; [unrolled: 1-line block ×3, first 2 shown]
	v_mov_b32_e32 v24, 0
	s_and_saveexec_b64 s[4:5], vcc
	s_cbranch_execz .LBB297_9
; %bb.8:
	v_sub_f32_e32 v17, v25, v25
	v_mul_f32_e32 v19, 0x3fb8aa3b, v17
	s_mov_b32 s0, 0x3fb8aa3b
	v_rndne_f32_e32 v21, v19
	v_sub_f32_e32 v24, v19, v21
	v_fma_f32 v19, v17, s0, -v19
	v_fmac_f32_e32 v19, 0x32a5705f, v17
	v_add_f32_e32 v19, v24, v19
	v_exp_f32_e32 v19, v19
	v_cvt_i32_f32_e32 v21, v21
	v_cmp_le_i32_e64 s[0:1], s37, v44
	v_cmp_gt_i32_e64 s[2:3], s38, v44
	s_and_b64 s[2:3], s[0:1], s[2:3]
	s_mov_b32 s0, 0xc2ce8ed0
	v_ldexp_f32 v19, v19, v21
	v_cmp_ngt_f32_e64 s[0:1], s0, v17
	v_cndmask_b32_e64 v19, 0, v19, s[0:1]
	s_mov_b32 s0, 0x42b17218
	v_mov_b32_e32 v21, 0x7f800000
	v_cmp_nlt_f32_e64 s[0:1], s0, v17
	v_cndmask_b32_e64 v24, v21, v19, s[0:1]
	v_ashrrev_i32_e32 v21, 31, v20
	v_lshlrev_b64 v[46:47], 2, v[20:21]
	v_mov_b32_e32 v17, s35
	v_add_co_u32_e64 v46, s[0:1], s34, v46
	v_addc_co_u32_e64 v47, s[0:1], v17, v47, s[0:1]
	v_subrev_u32_e32 v17, s37, v44
	v_mov_b32_e32 v19, 0x100
	s_and_b64 s[0:1], s[46:47], s[2:3]
	v_cndmask_b32_e64 v17, v19, v17, s[0:1]
	v_ashrrev_i32_e32 v19, 31, v18
	global_store_dword v[46:47], v24, off
	v_lshlrev_b64 v[46:47], 2, v[18:19]
	s_waitcnt lgkmcnt(0)
	v_mov_b32_e32 v19, s41
	v_add_co_u32_e64 v46, s[0:1], s40, v46
	v_addc_co_u32_e64 v47, s[0:1], v19, v47, s[0:1]
	global_store_dword v[46:47], v17, off
	v_ashrrev_i32_e32 v17, 31, v16
	v_lshlrev_b64 v[46:47], 2, v[16:17]
	v_mov_b32_e32 v17, s43
	v_add_co_u32_e64 v46, s[0:1], s42, v46
	v_addc_co_u32_e64 v47, s[0:1], v17, v47, s[0:1]
	global_store_dword v[46:47], v22, off
.LBB297_9:
	s_or_b64 exec, exec, s[4:5]
	v_ashrrev_i32_e32 v17, 31, v44
	v_lshrrev_b32_e32 v19, 28, v17
	v_add_u32_e32 v19, v44, v19
	v_ashrrev_i32_e32 v19, 4, v19
	v_lshrrev_b32_e32 v21, 28, v19
	v_add_u32_e32 v21, v19, v21
	v_and_b32_e32 v21, -16, v21
	v_sub_u32_e32 v21, v19, v21
	v_cmp_eq_u32_e64 s[0:1], v23, v21
	s_and_saveexec_b64 s[48:49], s[0:1]
	s_cbranch_execz .LBB297_11
; %bb.10:
	v_add_u32_sdwa v17, v44, v17 dst_sel:DWORD dst_unused:UNUSED_PAD src0_sel:DWORD src1_sel:BYTE_3
	v_lshlrev_b32_e32 v19, 4, v19
	v_sub_u32_e32 v19, v44, v19
	v_ashrrev_i32_e32 v17, 8, v17
	v_lshl_add_u32 v17, v17, 4, v19
	v_mov_b32_e32 v19, 0xff800000
	v_cmp_ne_u32_e64 s[0:1], 14, v17
	v_cmp_ne_u32_e64 s[2:3], 13, v17
	;; [unrolled: 1-line block ×16, first 2 shown]
	v_cndmask_b32_e64 v15, v19, v15, s[30:31]
	v_cndmask_b32_e64 v14, v19, v14, s[0:1]
	;; [unrolled: 1-line block ×16, first 2 shown]
.LBB297_11:
	s_or_b64 exec, exec, s[48:49]
	s_cmp_eq_u32 s36, 1
	s_cbranch_scc1 .LBB297_18
; %bb.12:
	s_add_i32 s50, s50, s33
	s_add_i32 s51, s36, -1
	v_add3_u32 v42, s50, v43, v42
	v_add_u32_e32 v16, 1, v16
	v_add_u32_e32 v18, 1, v18
	;; [unrolled: 1-line block ×3, first 2 shown]
	s_mov_b32 s50, 0x3fb8aa3b
	s_mov_b32 s52, 0xc2ce8ed0
	;; [unrolled: 1-line block ×3, first 2 shown]
	v_mov_b32_e32 v43, 0x7f800000
	v_mov_b32_e32 v44, 0x100
	;; [unrolled: 1-line block ×3, first 2 shown]
	s_branch .LBB297_14
.LBB297_13:                             ;   in Loop: Header=BB297_14 Depth=1
	s_or_b64 exec, exec, s[48:49]
	s_add_i32 s51, s51, -1
	v_add_u32_e32 v42, s33, v42
	v_add_u32_e32 v16, 1, v16
	;; [unrolled: 1-line block ×3, first 2 shown]
	s_cmp_eq_u32 s51, 0
	v_add_u32_e32 v20, 1, v20
	s_cbranch_scc1 .LBB297_18
.LBB297_14:                             ; =>This Inner Loop Header: Depth=1
	v_cmp_gt_f32_e64 s[0:1], v1, v0
	v_cndmask_b32_e64 v19, v0, v1, s[0:1]
	v_cndmask_b32_e64 v17, v26, v27, s[0:1]
	v_cmp_gt_f32_e64 s[0:1], v2, v19
	v_cndmask_b32_e64 v19, v19, v2, s[0:1]
	v_cndmask_b32_e64 v17, v17, v28, s[0:1]
	;; [unrolled: 3-line block ×15, first 2 shown]
	s_nop 0
	v_mov_b32_dpp v46, v17 quad_perm:[1,0,3,2] row_mask:0xf bank_mask:0xf
	v_mov_b32_dpp v21, v19 quad_perm:[1,0,3,2] row_mask:0xf bank_mask:0xf
	v_cmp_eq_f32_e64 s[2:3], v19, v21
	v_cmp_lt_i32_e64 s[4:5], v46, v17
	v_cmp_lt_f32_e64 s[0:1], v19, v21
	s_and_b64 s[2:3], s[2:3], s[4:5]
	s_or_b64 s[0:1], s[0:1], s[2:3]
	v_cndmask_b32_e64 v19, v19, v21, s[0:1]
	v_cndmask_b32_e64 v17, v17, v46, s[0:1]
	s_nop 0
	v_mov_b32_dpp v21, v19 quad_perm:[2,3,0,1] row_mask:0xf bank_mask:0xf
	v_mov_b32_dpp v46, v17 quad_perm:[2,3,0,1] row_mask:0xf bank_mask:0xf
	v_cmp_eq_f32_e64 s[2:3], v19, v21
	v_cmp_lt_i32_e64 s[4:5], v46, v17
	v_cmp_lt_f32_e64 s[0:1], v19, v21
	s_and_b64 s[2:3], s[2:3], s[4:5]
	s_or_b64 s[0:1], s[0:1], s[2:3]
	v_cndmask_b32_e64 v19, v19, v21, s[0:1]
	v_cndmask_b32_e64 v21, v17, v46, s[0:1]
	s_nop 0
	v_mov_b32_dpp v17, v19 row_half_mirror row_mask:0xf bank_mask:0xf
	v_mov_b32_dpp v46, v21 row_half_mirror row_mask:0xf bank_mask:0xf
	v_cmp_eq_f32_e64 s[2:3], v19, v17
	v_cmp_lt_i32_e64 s[4:5], v46, v21
	v_cmp_lt_f32_e64 s[0:1], v19, v17
	s_and_b64 s[2:3], s[2:3], s[4:5]
	s_or_b64 s[0:1], s[0:1], s[2:3]
	v_cndmask_b32_e64 v17, v19, v17, s[0:1]
	v_cndmask_b32_e64 v21, v21, v46, s[0:1]
	s_nop 0
	v_mov_b32_dpp v19, v17 row_mirror row_mask:0xf bank_mask:0xf
	v_mov_b32_dpp v46, v21 row_mirror row_mask:0xf bank_mask:0xf
	v_cmp_eq_f32_e64 s[2:3], v17, v19
	v_cmp_lt_i32_e64 s[4:5], v46, v21
	v_cmp_lt_f32_e64 s[0:1], v17, v19
	s_and_b64 s[2:3], s[2:3], s[4:5]
	s_or_b64 s[0:1], s[0:1], s[2:3]
	v_cndmask_b32_e64 v46, v21, v46, s[0:1]
	s_and_saveexec_b64 s[4:5], vcc
	s_cbranch_execz .LBB297_16
; %bb.15:                               ;   in Loop: Header=BB297_14 Depth=1
	v_cndmask_b32_e64 v17, v17, v19, s[0:1]
	v_sub_f32_e32 v17, v17, v25
	v_mul_f32_e32 v19, 0x3fb8aa3b, v17
	v_fma_f32 v21, v17, s50, -v19
	v_rndne_f32_e32 v47, v19
	v_fmac_f32_e32 v21, 0x32a5705f, v17
	v_sub_f32_e32 v19, v19, v47
	v_add_f32_e32 v19, v19, v21
	v_exp_f32_e32 v19, v19
	v_cvt_i32_f32_e32 v21, v47
	v_cmp_le_i32_e64 s[0:1], s37, v46
	v_cmp_gt_i32_e64 s[2:3], s38, v46
	s_and_b64 s[2:3], s[0:1], s[2:3]
	v_ldexp_f32 v19, v19, v21
	v_cmp_ngt_f32_e64 s[0:1], s52, v17
	v_ashrrev_i32_e32 v21, 31, v20
	v_cndmask_b32_e64 v19, 0, v19, s[0:1]
	v_cmp_nlt_f32_e64 s[0:1], s53, v17
	v_lshlrev_b64 v[48:49], 2, v[20:21]
	v_cndmask_b32_e64 v47, v43, v19, s[0:1]
	v_mov_b32_e32 v17, s35
	v_add_co_u32_e64 v48, s[0:1], s34, v48
	v_addc_co_u32_e64 v49, s[0:1], v17, v49, s[0:1]
	v_ashrrev_i32_e32 v19, 31, v18
	global_store_dword v[48:49], v47, off
	v_subrev_u32_e32 v17, s37, v46
	s_and_b64 s[0:1], s[46:47], s[2:3]
	v_lshlrev_b64 v[48:49], 2, v[18:19]
	v_cndmask_b32_e64 v17, v44, v17, s[0:1]
	s_waitcnt lgkmcnt(0)
	v_mov_b32_e32 v19, s41
	v_add_co_u32_e64 v48, s[0:1], s40, v48
	v_addc_co_u32_e64 v49, s[0:1], v19, v49, s[0:1]
	global_store_dword v[48:49], v17, off
	v_ashrrev_i32_e32 v17, 31, v16
	v_lshlrev_b64 v[48:49], 2, v[16:17]
	v_mov_b32_e32 v17, s43
	v_add_co_u32_e64 v48, s[0:1], s42, v48
	v_addc_co_u32_e64 v49, s[0:1], v17, v49, s[0:1]
	v_add_f32_e32 v24, v24, v47
	global_store_dword v[48:49], v42, off
.LBB297_16:                             ;   in Loop: Header=BB297_14 Depth=1
	s_or_b64 exec, exec, s[4:5]
	v_ashrrev_i32_e32 v17, 31, v46
	v_lshrrev_b32_e32 v19, 28, v17
	v_add_u32_e32 v19, v46, v19
	v_ashrrev_i32_e32 v19, 4, v19
	v_lshrrev_b32_e32 v21, 28, v19
	v_add_u32_e32 v21, v19, v21
	v_and_b32_e32 v21, -16, v21
	v_sub_u32_e32 v21, v19, v21
	v_cmp_eq_u32_e64 s[0:1], v23, v21
	s_and_saveexec_b64 s[48:49], s[0:1]
	s_cbranch_execz .LBB297_13
; %bb.17:                               ;   in Loop: Header=BB297_14 Depth=1
	v_add_u32_sdwa v17, v46, v17 dst_sel:DWORD dst_unused:UNUSED_PAD src0_sel:DWORD src1_sel:BYTE_3
	v_lshlrev_b32_e32 v19, 4, v19
	v_sub_u32_e32 v19, v46, v19
	v_ashrrev_i32_e32 v17, 8, v17
	v_lshl_add_u32 v17, v17, 4, v19
	v_cmp_ne_u32_e64 s[0:1], 14, v17
	v_cmp_ne_u32_e64 s[2:3], 13, v17
	;; [unrolled: 1-line block ×16, first 2 shown]
	v_cndmask_b32_e64 v15, v45, v15, s[30:31]
	v_cndmask_b32_e64 v14, v45, v14, s[0:1]
	;; [unrolled: 1-line block ×16, first 2 shown]
	s_branch .LBB297_13
.LBB297_18:
	v_sub_f32_e32 v0, v0, v25
	s_mov_b32 s2, 0x3fb8aa3b
	v_mul_f32_e32 v16, 0x3fb8aa3b, v0
	v_fma_f32 v17, v0, s2, -v16
	v_rndne_f32_e32 v18, v16
	v_fmac_f32_e32 v17, 0x32a5705f, v0
	v_sub_f32_e32 v16, v16, v18
	v_add_f32_e32 v16, v16, v17
	v_exp_f32_e32 v16, v16
	v_cvt_i32_f32_e32 v17, v18
	v_sub_f32_e32 v1, v1, v25
	s_mov_b32 s4, 0xc2ce8ed0
	s_mov_b32 s3, 0x42b17218
	v_ldexp_f32 v16, v16, v17
	v_mul_f32_e32 v17, 0x3fb8aa3b, v1
	v_fma_f32 v18, v1, s2, -v17
	v_rndne_f32_e32 v19, v17
	v_fmac_f32_e32 v18, 0x32a5705f, v1
	v_sub_f32_e32 v17, v17, v19
	v_add_f32_e32 v17, v17, v18
	v_exp_f32_e32 v17, v17
	v_cvt_i32_f32_e32 v18, v19
	v_cmp_ngt_f32_e32 vcc, s4, v1
	v_cmp_ngt_f32_e64 s[0:1], s4, v0
	v_sub_f32_e32 v2, v2, v25
	v_ldexp_f32 v17, v17, v18
	v_cndmask_b32_e32 v17, 0, v17, vcc
	v_mov_b32_e32 v18, 0x7f800000
	v_cmp_nlt_f32_e32 vcc, s3, v1
	v_cndmask_b32_e64 v1, 0, v16, s[0:1]
	v_cmp_nlt_f32_e64 s[0:1], s3, v0
	v_cndmask_b32_e64 v0, v18, v1, s[0:1]
	v_cndmask_b32_e32 v1, v18, v17, vcc
	v_add_f32_e32 v0, v0, v1
	v_mul_f32_e32 v1, 0x3fb8aa3b, v2
	v_fma_f32 v16, v2, s2, -v1
	v_rndne_f32_e32 v17, v1
	v_fmac_f32_e32 v16, 0x32a5705f, v2
	v_sub_f32_e32 v1, v1, v17
	v_add_f32_e32 v1, v1, v16
	v_exp_f32_e32 v1, v1
	v_cvt_i32_f32_e32 v16, v17
	v_cmp_ngt_f32_e32 vcc, s4, v2
	v_sub_f32_e32 v3, v3, v25
	v_sub_f32_e32 v4, v4, v25
	v_ldexp_f32 v1, v1, v16
	v_cndmask_b32_e32 v1, 0, v1, vcc
	v_cmp_nlt_f32_e32 vcc, s3, v2
	v_cndmask_b32_e32 v1, v18, v1, vcc
	v_add_f32_e32 v0, v0, v1
	v_mul_f32_e32 v1, 0x3fb8aa3b, v3
	v_fma_f32 v2, v3, s2, -v1
	v_rndne_f32_e32 v16, v1
	v_fmac_f32_e32 v2, 0x32a5705f, v3
	v_sub_f32_e32 v1, v1, v16
	v_add_f32_e32 v1, v1, v2
	v_exp_f32_e32 v1, v1
	v_cvt_i32_f32_e32 v2, v16
	v_cmp_ngt_f32_e32 vcc, s4, v3
	v_sub_f32_e32 v5, v5, v25
	v_sub_f32_e32 v6, v6, v25
	v_ldexp_f32 v1, v1, v2
	v_cndmask_b32_e32 v1, 0, v1, vcc
	v_cmp_nlt_f32_e32 vcc, s3, v3
	;; [unrolled: 16-line block ×5, first 2 shown]
	v_cndmask_b32_e32 v1, v18, v1, vcc
	v_add_f32_e32 v0, v0, v1
	v_mul_f32_e32 v1, 0x3fb8aa3b, v7
	v_fma_f32 v2, v7, s2, -v1
	v_rndne_f32_e32 v3, v1
	v_fmac_f32_e32 v2, 0x32a5705f, v7
	v_sub_f32_e32 v1, v1, v3
	v_add_f32_e32 v1, v1, v2
	v_exp_f32_e32 v1, v1
	v_cvt_i32_f32_e32 v2, v3
	v_cmp_ngt_f32_e32 vcc, s4, v7
	v_ldexp_f32 v1, v1, v2
	v_mul_f32_e32 v2, 0x3fb8aa3b, v8
	v_fma_f32 v3, v8, s2, -v2
	v_rndne_f32_e32 v4, v2
	v_fmac_f32_e32 v3, 0x32a5705f, v8
	v_sub_f32_e32 v2, v2, v4
	v_add_f32_e32 v2, v2, v3
	v_exp_f32_e32 v2, v2
	v_cvt_i32_f32_e32 v3, v4
	v_cndmask_b32_e32 v1, 0, v1, vcc
	v_cmp_nlt_f32_e32 vcc, s3, v7
	v_cndmask_b32_e32 v1, v18, v1, vcc
	v_add_f32_e32 v0, v0, v1
	v_ldexp_f32 v1, v2, v3
	v_mul_f32_e32 v2, 0x3fb8aa3b, v9
	v_fma_f32 v3, v9, s2, -v2
	v_rndne_f32_e32 v4, v2
	v_fmac_f32_e32 v3, 0x32a5705f, v9
	v_sub_f32_e32 v2, v2, v4
	v_add_f32_e32 v2, v2, v3
	v_exp_f32_e32 v2, v2
	v_cvt_i32_f32_e32 v3, v4
	v_cmp_ngt_f32_e32 vcc, s4, v8
	v_cndmask_b32_e32 v1, 0, v1, vcc
	v_cmp_nlt_f32_e32 vcc, s3, v8
	v_cndmask_b32_e32 v1, v18, v1, vcc
	v_add_f32_e32 v0, v0, v1
	v_ldexp_f32 v1, v2, v3
	v_mul_f32_e32 v2, 0x3fb8aa3b, v10
	v_fma_f32 v3, v10, s2, -v2
	v_rndne_f32_e32 v4, v2
	v_fmac_f32_e32 v3, 0x32a5705f, v10
	v_sub_f32_e32 v2, v2, v4
	v_add_f32_e32 v2, v2, v3
	v_exp_f32_e32 v2, v2
	v_cvt_i32_f32_e32 v3, v4
	v_cmp_ngt_f32_e32 vcc, s4, v9
	;; [unrolled: 14-line block ×4, first 2 shown]
	v_cndmask_b32_e32 v1, 0, v1, vcc
	v_cmp_nlt_f32_e32 vcc, s3, v11
	v_cndmask_b32_e32 v1, v18, v1, vcc
	v_add_f32_e32 v0, v0, v1
	v_ldexp_f32 v1, v2, v3
	v_sub_f32_e32 v2, v13, v25
	v_mul_f32_e32 v3, 0x3fb8aa3b, v2
	v_fma_f32 v4, v2, s2, -v3
	v_rndne_f32_e32 v5, v3
	v_fmac_f32_e32 v4, 0x32a5705f, v2
	v_sub_f32_e32 v3, v3, v5
	v_add_f32_e32 v3, v3, v4
	v_exp_f32_e32 v3, v3
	v_cvt_i32_f32_e32 v4, v5
	v_cmp_ngt_f32_e32 vcc, s4, v12
	v_cndmask_b32_e32 v1, 0, v1, vcc
	v_cmp_nlt_f32_e32 vcc, s3, v12
	v_cndmask_b32_e32 v1, v18, v1, vcc
	v_add_f32_e32 v0, v0, v1
	v_ldexp_f32 v1, v3, v4
	v_sub_f32_e32 v3, v14, v25
	v_mul_f32_e32 v4, 0x3fb8aa3b, v3
	v_fma_f32 v5, v3, s2, -v4
	v_rndne_f32_e32 v6, v4
	v_fmac_f32_e32 v5, 0x32a5705f, v3
	v_sub_f32_e32 v4, v4, v6
	v_add_f32_e32 v4, v4, v5
	v_exp_f32_e32 v4, v4
	v_cvt_i32_f32_e32 v5, v6
	v_cmp_ngt_f32_e32 vcc, s4, v2
	v_cndmask_b32_e32 v1, 0, v1, vcc
	v_cmp_nlt_f32_e32 vcc, s3, v2
	v_cndmask_b32_e32 v1, v18, v1, vcc
	v_sub_f32_e32 v2, v15, v25
	v_add_f32_e32 v0, v0, v1
	v_ldexp_f32 v1, v4, v5
	v_mul_f32_e32 v4, 0x3fb8aa3b, v2
	v_fma_f32 v5, v2, s2, -v4
	v_rndne_f32_e32 v6, v4
	v_fmac_f32_e32 v5, 0x32a5705f, v2
	v_sub_f32_e32 v4, v4, v6
	v_add_f32_e32 v4, v4, v5
	v_exp_f32_e32 v4, v4
	v_cvt_i32_f32_e32 v5, v6
	v_cmp_ngt_f32_e32 vcc, s4, v3
	v_cndmask_b32_e32 v1, 0, v1, vcc
	v_cmp_nlt_f32_e32 vcc, s3, v3
	v_cndmask_b32_e32 v1, v18, v1, vcc
	v_add_f32_e32 v0, v0, v1
	v_ldexp_f32 v1, v4, v5
	v_cmp_ngt_f32_e32 vcc, s4, v2
	v_cndmask_b32_e32 v1, 0, v1, vcc
	v_cmp_nlt_f32_e32 vcc, s3, v2
	v_cndmask_b32_e32 v1, v18, v1, vcc
	v_add_f32_e32 v0, v0, v1
	v_cmp_eq_u32_e32 vcc, 0, v23
	s_nop 0
	v_mov_b32_dpp v1, v0 quad_perm:[1,0,3,2] row_mask:0xf bank_mask:0xf
	v_add_f32_e32 v0, v0, v1
	s_nop 1
	v_mov_b32_dpp v1, v0 quad_perm:[2,3,0,1] row_mask:0xf bank_mask:0xf
	v_add_f32_e32 v0, v0, v1
	s_nop 1
	v_mov_b32_dpp v1, v0 row_half_mirror row_mask:0xf bank_mask:0xf
	v_add_f32_e32 v0, v0, v1
	s_nop 1
	v_mov_b32_dpp v1, v0 row_mirror row_mask:0xf bank_mask:0xf
	s_and_b64 exec, exec, vcc
	s_cbranch_execz .LBB297_31
; %bb.19:
	v_add_f32_e32 v0, v0, v1
	v_add_f32_e32 v0, v24, v0
	v_cmp_neq_f32_e32 vcc, 0, v0
	s_and_b64 exec, exec, vcc
	s_cbranch_execz .LBB297_31
; %bb.20:
	s_andn2_b64 vcc, exec, s[44:45]
	s_cbranch_vccnz .LBB297_31
; %bb.21:
	v_div_scale_f32 v1, s[0:1], v0, v0, 1.0
	v_rcp_f32_e32 v2, v1
	v_div_scale_f32 v3, vcc, 1.0, v0, 1.0
	s_cmp_gt_u32 s36, 3
	v_fma_f32 v4, -v1, v2, 1.0
	v_fmac_f32_e32 v2, v4, v2
	v_mul_f32_e32 v4, v3, v2
	v_fma_f32 v5, -v1, v4, v3
	v_fmac_f32_e32 v4, v5, v2
	v_fma_f32 v1, -v1, v4, v3
	v_div_fmas_f32 v1, v1, v2, v4
	v_mul_lo_u32 v2, v22, s39
	v_div_fixup_f32 v0, v1, v0, 1.0
	v_ashrrev_i32_e32 v3, 31, v2
	s_cbranch_scc0 .LBB297_25
; %bb.22:
	v_lshlrev_b64 v[4:5], 2, v[2:3]
	v_mov_b32_e32 v6, s35
	v_add_co_u32_e32 v4, vcc, s34, v4
	v_addc_co_u32_e32 v5, vcc, v5, v6, vcc
	s_and_b32 s4, s36, 0x7ffffffc
	v_add_co_u32_e32 v4, vcc, 8, v4
	v_mov_b32_e32 v1, v0
	v_addc_co_u32_e32 v5, vcc, 0, v5, vcc
	s_mov_b32 s0, s4
.LBB297_23:                             ; =>This Inner Loop Header: Depth=1
	global_load_dwordx4 v[6:9], v[4:5], off offset:-8
	s_add_i32 s0, s0, -4
	s_cmp_lg_u32 s0, 0
	s_waitcnt vmcnt(0)
	v_pk_mul_f32 v[6:7], v[0:1], v[6:7]
	v_pk_mul_f32 v[8:9], v[0:1], v[8:9]
	global_store_dwordx4 v[4:5], v[6:9], off offset:-8
	v_add_co_u32_e32 v4, vcc, 16, v4
	v_addc_co_u32_e32 v5, vcc, 0, v5, vcc
	s_cbranch_scc1 .LBB297_23
; %bb.24:
	s_cmp_lg_u32 s4, s36
	s_mov_b64 s[2:3], 0
	s_cselect_b64 s[0:1], -1, 0
	s_branch .LBB297_26
.LBB297_25:
	s_mov_b64 s[2:3], -1
	s_mov_b64 s[0:1], 0
                                        ; implicit-def: $sgpr4
.LBB297_26:
	s_and_b64 vcc, exec, s[2:3]
	s_cbranch_vccz .LBB297_28
; %bb.27:
	s_mov_b64 s[0:1], -1
	s_mov_b32 s4, 0
.LBB297_28:
	s_andn2_b64 vcc, exec, s[0:1]
	s_cbranch_vccnz .LBB297_31
; %bb.29:
	v_add_co_u32_e32 v2, vcc, s4, v2
	v_addc_co_u32_e32 v3, vcc, 0, v3, vcc
	v_lshlrev_b64 v[2:3], 2, v[2:3]
	v_mov_b32_e32 v1, s35
	v_add_co_u32_e32 v2, vcc, s34, v2
	s_sub_i32 s0, s36, s4
	v_addc_co_u32_e32 v3, vcc, v1, v3, vcc
.LBB297_30:                             ; =>This Inner Loop Header: Depth=1
	global_load_dword v1, v[2:3], off
	s_add_i32 s0, s0, -1
	s_cmp_lg_u32 s0, 0
	s_waitcnt vmcnt(0)
	v_mul_f32_e32 v1, v0, v1
	global_store_dword v[2:3], v1, off
	v_add_co_u32_e32 v2, vcc, 4, v2
	v_addc_co_u32_e32 v3, vcc, 0, v3, vcc
	s_cbranch_scc1 .LBB297_30
.LBB297_31:
	s_endpgm
	.section	.rodata,"a",@progbits
	.p2align	6, 0x0
	.amdhsa_kernel _ZN4vllm3moe17topkGatingSoftmaxItLi16ELi256ELi8ELi32ELb0ELi8ELNS0_23SharedExpertScoringFuncE1EEEvPKT_PKbPfiPiS9_iiiiii
		.amdhsa_group_segment_fixed_size 0
		.amdhsa_private_segment_fixed_size 0
		.amdhsa_kernarg_size 72
		.amdhsa_user_sgpr_count 6
		.amdhsa_user_sgpr_private_segment_buffer 1
		.amdhsa_user_sgpr_dispatch_ptr 0
		.amdhsa_user_sgpr_queue_ptr 0
		.amdhsa_user_sgpr_kernarg_segment_ptr 1
		.amdhsa_user_sgpr_dispatch_id 0
		.amdhsa_user_sgpr_flat_scratch_init 0
		.amdhsa_user_sgpr_kernarg_preload_length 0
		.amdhsa_user_sgpr_kernarg_preload_offset 0
		.amdhsa_user_sgpr_private_segment_size 0
		.amdhsa_uses_dynamic_stack 0
		.amdhsa_system_sgpr_private_segment_wavefront_offset 0
		.amdhsa_system_sgpr_workgroup_id_x 1
		.amdhsa_system_sgpr_workgroup_id_y 0
		.amdhsa_system_sgpr_workgroup_id_z 0
		.amdhsa_system_sgpr_workgroup_info 0
		.amdhsa_system_vgpr_workitem_id 1
		.amdhsa_next_free_vgpr 50
		.amdhsa_next_free_sgpr 54
		.amdhsa_accum_offset 52
		.amdhsa_reserve_vcc 1
		.amdhsa_reserve_flat_scratch 0
		.amdhsa_float_round_mode_32 0
		.amdhsa_float_round_mode_16_64 0
		.amdhsa_float_denorm_mode_32 3
		.amdhsa_float_denorm_mode_16_64 3
		.amdhsa_dx10_clamp 1
		.amdhsa_ieee_mode 1
		.amdhsa_fp16_overflow 0
		.amdhsa_tg_split 0
		.amdhsa_exception_fp_ieee_invalid_op 0
		.amdhsa_exception_fp_denorm_src 0
		.amdhsa_exception_fp_ieee_div_zero 0
		.amdhsa_exception_fp_ieee_overflow 0
		.amdhsa_exception_fp_ieee_underflow 0
		.amdhsa_exception_fp_ieee_inexact 0
		.amdhsa_exception_int_div_zero 0
	.end_amdhsa_kernel
	.section	.text._ZN4vllm3moe17topkGatingSoftmaxItLi16ELi256ELi8ELi32ELb0ELi8ELNS0_23SharedExpertScoringFuncE1EEEvPKT_PKbPfiPiS9_iiiiii,"axG",@progbits,_ZN4vllm3moe17topkGatingSoftmaxItLi16ELi256ELi8ELi32ELb0ELi8ELNS0_23SharedExpertScoringFuncE1EEEvPKT_PKbPfiPiS9_iiiiii,comdat
.Lfunc_end297:
	.size	_ZN4vllm3moe17topkGatingSoftmaxItLi16ELi256ELi8ELi32ELb0ELi8ELNS0_23SharedExpertScoringFuncE1EEEvPKT_PKbPfiPiS9_iiiiii, .Lfunc_end297-_ZN4vllm3moe17topkGatingSoftmaxItLi16ELi256ELi8ELi32ELb0ELi8ELNS0_23SharedExpertScoringFuncE1EEEvPKT_PKbPfiPiS9_iiiiii
                                        ; -- End function
	.section	.AMDGPU.csdata,"",@progbits
; Kernel info:
; codeLenInByte = 4836
; NumSgprs: 58
; NumVgprs: 50
; NumAgprs: 0
; TotalNumVgprs: 50
; ScratchSize: 0
; MemoryBound: 0
; FloatMode: 240
; IeeeMode: 1
; LDSByteSize: 0 bytes/workgroup (compile time only)
; SGPRBlocks: 7
; VGPRBlocks: 6
; NumSGPRsForWavesPerEU: 58
; NumVGPRsForWavesPerEU: 50
; AccumOffset: 52
; Occupancy: 8
; WaveLimiterHint : 0
; COMPUTE_PGM_RSRC2:SCRATCH_EN: 0
; COMPUTE_PGM_RSRC2:USER_SGPR: 6
; COMPUTE_PGM_RSRC2:TRAP_HANDLER: 0
; COMPUTE_PGM_RSRC2:TGID_X_EN: 1
; COMPUTE_PGM_RSRC2:TGID_Y_EN: 0
; COMPUTE_PGM_RSRC2:TGID_Z_EN: 0
; COMPUTE_PGM_RSRC2:TIDIG_COMP_CNT: 1
; COMPUTE_PGM_RSRC3_GFX90A:ACCUM_OFFSET: 12
; COMPUTE_PGM_RSRC3_GFX90A:TG_SPLIT: 0
	.section	.text._ZN4vllm3moe17topkGatingSoftmaxItLi32ELi512ELi2ELi64ELb1ELi0ELNS0_23SharedExpertScoringFuncE0EEEvPKT_PKbPfiPiS9_iiiiii,"axG",@progbits,_ZN4vllm3moe17topkGatingSoftmaxItLi32ELi512ELi2ELi64ELb1ELi0ELNS0_23SharedExpertScoringFuncE0EEEvPKT_PKbPfiPiS9_iiiiii,comdat
	.protected	_ZN4vllm3moe17topkGatingSoftmaxItLi32ELi512ELi2ELi64ELb1ELi0ELNS0_23SharedExpertScoringFuncE0EEEvPKT_PKbPfiPiS9_iiiiii ; -- Begin function _ZN4vllm3moe17topkGatingSoftmaxItLi32ELi512ELi2ELi64ELb1ELi0ELNS0_23SharedExpertScoringFuncE0EEEvPKT_PKbPfiPiS9_iiiiii
	.globl	_ZN4vllm3moe17topkGatingSoftmaxItLi32ELi512ELi2ELi64ELb1ELi0ELNS0_23SharedExpertScoringFuncE0EEEvPKT_PKbPfiPiS9_iiiiii
	.p2align	8
	.type	_ZN4vllm3moe17topkGatingSoftmaxItLi32ELi512ELi2ELi64ELb1ELi0ELNS0_23SharedExpertScoringFuncE0EEEvPKT_PKbPfiPiS9_iiiiii,@function
_ZN4vllm3moe17topkGatingSoftmaxItLi32ELi512ELi2ELi64ELb1ELi0ELNS0_23SharedExpertScoringFuncE0EEEvPKT_PKbPfiPiS9_iiiiii: ; @_ZN4vllm3moe17topkGatingSoftmaxItLi32ELi512ELi2ELi64ELb1ELi0ELNS0_23SharedExpertScoringFuncE0EEEvPKT_PKbPfiPiS9_iiiiii
; %bb.0:
	s_load_dword s28, s[4:5], 0x18
	s_add_u32 s0, s0, s9
	v_bfe_u32 v1, v0, 10, 10
	v_and_b32_e32 v0, 0x3ff, v0
	s_addc_u32 s1, s1, 0
	s_lshl_b32 s29, s8, 3
	v_lshlrev_b32_e32 v42, 2, v1
	v_lshrrev_b32_e32 v43, 4, v0
	v_add3_u32 v6, s29, v42, v43
	s_waitcnt lgkmcnt(0)
	v_cmp_gt_i32_e32 vcc, s28, v6
	s_and_saveexec_b64 s[6:7], vcc
	s_cbranch_execz .LBB298_27
; %bb.1:
	s_load_dwordx4 s[8:11], s[4:5], 0x0
	s_load_dwordx2 s[20:21], s[4:5], 0x10
	s_waitcnt lgkmcnt(0)
	s_cmp_eq_u64 s[10:11], 0
	s_cbranch_scc1 .LBB298_3
; %bb.2:
	v_ashrrev_i32_e32 v1, 31, v6
	v_mov_b32_e32 v3, s11
	v_add_co_u32_e32 v2, vcc, s10, v6
	v_addc_co_u32_e32 v3, vcc, v3, v1, vcc
	global_load_ubyte v1, v[2:3], off
	s_waitcnt vmcnt(0)
	v_and_b32_e32 v1, 1, v1
	v_cmp_eq_u32_e32 vcc, 1, v1
	s_xor_b64 s[6:7], vcc, -1
	s_orn2_b64 s[22:23], s[6:7], exec
	s_branch .LBB298_4
.LBB298_3:
	s_mov_b64 s[22:23], -1
.LBB298_4:
	s_load_dwordx2 s[26:27], s[4:5], 0x40
	s_load_dwordx4 s[12:15], s[4:5], 0x30
	v_mov_b32_e32 v1, s9
	v_and_b32_e32 v7, 15, v0
	v_lshlrev_b32_e32 v0, 6, v7
	s_waitcnt lgkmcnt(0)
	v_mul_lo_u32 v2, v6, s27
	v_ashrrev_i32_e32 v3, 31, v2
	v_lshlrev_b64 v[2:3], 1, v[2:3]
	v_add_co_u32_e32 v2, vcc, s8, v2
	v_addc_co_u32_e32 v1, vcc, v1, v3, vcc
	v_add_co_u32_e32 v4, vcc, v2, v0
	v_addc_co_u32_e32 v5, vcc, 0, v1, vcc
	global_load_dwordx4 v[0:3], v[4:5], off
	global_load_dwordx4 v[32:35], v[4:5], off offset:16
	global_load_dwordx4 v[36:39], v[4:5], off offset:32
	;; [unrolled: 1-line block ×3, first 2 shown]
	v_lshlrev_b32_e32 v9, 5, v7
	v_or_b32_e32 v10, 1, v9
	v_or_b32_e32 v11, 2, v9
	;; [unrolled: 1-line block ×22, first 2 shown]
	v_mov_b32_e32 v8, 0
	s_waitcnt vmcnt(3)
	v_cvt_f32_u32_sdwa v41, v3 dst_sel:DWORD dst_unused:UNUSED_PAD src0_sel:WORD_1
	s_waitcnt vmcnt(2)
	v_cvt_f32_u32_sdwa v51, v35 dst_sel:DWORD dst_unused:UNUSED_PAD src0_sel:WORD_1
	;; [unrolled: 2-line block ×4, first 2 shown]
	v_cvt_f32_u32_sdwa v47, v47 dst_sel:DWORD dst_unused:UNUSED_PAD src0_sel:WORD_0
	v_cvt_f32_u32_sdwa v58, v46 dst_sel:DWORD dst_unused:UNUSED_PAD src0_sel:WORD_1
	v_cvt_f32_u32_sdwa v52, v36 dst_sel:DWORD dst_unused:UNUSED_PAD src0_sel:WORD_1
	v_cvt_f32_u32_sdwa v46, v46 dst_sel:DWORD dst_unused:UNUSED_PAD src0_sel:WORD_0
	v_cvt_f32_u32_sdwa v36, v36 dst_sel:DWORD dst_unused:UNUSED_PAD src0_sel:WORD_0
	;; [unrolled: 1-line block ×3, first 2 shown]
	v_cvt_f32_u32_sdwa v54, v38 dst_sel:DWORD dst_unused:UNUSED_PAD src0_sel:WORD_1
	v_cvt_f32_u32_sdwa v38, v38 dst_sel:DWORD dst_unused:UNUSED_PAD src0_sel:WORD_0
	v_cvt_f32_u32_sdwa v55, v39 dst_sel:DWORD dst_unused:UNUSED_PAD src0_sel:WORD_1
	v_cvt_f32_u32_sdwa v39, v39 dst_sel:DWORD dst_unused:UNUSED_PAD src0_sel:WORD_0
	;; [unrolled: 2-line block ×4, first 2 shown]
	buffer_store_dword v59, off, s[0:3], 0 offset:124
	buffer_store_dword v47, off, s[0:3], 0 offset:120
	;; [unrolled: 1-line block ×13, first 2 shown]
	buffer_load_dword v36, off, s[0:3], 0 offset:64
	v_cvt_f32_u32_sdwa v35, v35 dst_sel:DWORD dst_unused:UNUSED_PAD src0_sel:WORD_0
	buffer_store_dword v53, off, s[0:3], 0 offset:76
	buffer_store_dword v52, off, s[0:3], 0 offset:68
	v_cvt_f32_u32_sdwa v50, v34 dst_sel:DWORD dst_unused:UNUSED_PAD src0_sel:WORD_1
	buffer_load_dword v38, off, s[0:3], 0 offset:68
	v_cvt_f32_u32_sdwa v34, v34 dst_sel:DWORD dst_unused:UNUSED_PAD src0_sel:WORD_0
	buffer_store_dword v37, off, s[0:3], 0 offset:72
	buffer_store_dword v51, off, s[0:3], 0 offset:60
	v_cvt_f32_u32_sdwa v49, v33 dst_sel:DWORD dst_unused:UNUSED_PAD src0_sel:WORD_1
	;; [unrolled: 5-line block ×3, first 2 shown]
	buffer_load_dword v39, off, s[0:3], 0 offset:76
	v_cvt_f32_u32_sdwa v32, v32 dst_sel:DWORD dst_unused:UNUSED_PAD src0_sel:WORD_0
	buffer_store_dword v34, off, s[0:3], 0 offset:48
	buffer_store_dword v49, off, s[0:3], 0 offset:44
	buffer_load_dword v44, off, s[0:3], 0 offset:80
	v_cvt_f32_u32_sdwa v3, v3 dst_sel:DWORD dst_unused:UNUSED_PAD src0_sel:WORD_0
	buffer_store_dword v33, off, s[0:3], 0 offset:40
	buffer_store_dword v48, off, s[0:3], 0 offset:36
	v_cvt_f32_u32_sdwa v40, v2 dst_sel:DWORD dst_unused:UNUSED_PAD src0_sel:WORD_1
	buffer_load_dword v45, off, s[0:3], 0 offset:84
	v_cvt_f32_u32_sdwa v5, v1 dst_sel:DWORD dst_unused:UNUSED_PAD src0_sel:WORD_1
	v_cvt_f32_u32_sdwa v2, v2 dst_sel:DWORD dst_unused:UNUSED_PAD src0_sel:WORD_0
	buffer_store_dword v32, off, s[0:3], 0 offset:32
	buffer_store_dword v41, off, s[0:3], 0 offset:28
	v_cvt_f32_u32_sdwa v1, v1 dst_sel:DWORD dst_unused:UNUSED_PAD src0_sel:WORD_0
	buffer_load_dword v46, off, s[0:3], 0 offset:88
	v_cvt_f32_u32_sdwa v4, v0 dst_sel:DWORD dst_unused:UNUSED_PAD src0_sel:WORD_1
	buffer_store_dword v3, off, s[0:3], 0 offset:24
	buffer_store_dword v40, off, s[0:3], 0 offset:20
	;; [unrolled: 1-line block ×3, first 2 shown]
	buffer_load_dword v47, off, s[0:3], 0 offset:92
	s_nop 0
	buffer_store_dword v5, off, s[0:3], 0 offset:12
	buffer_store_dword v1, off, s[0:3], 0 offset:8
	;; [unrolled: 1-line block ×3, first 2 shown]
	buffer_load_dword v52, off, s[0:3], 0 offset:96
	buffer_load_dword v54, off, s[0:3], 0 offset:100
	v_cvt_f32_u32_sdwa v0, v0 dst_sel:DWORD dst_unused:UNUSED_PAD src0_sel:WORD_0
	buffer_store_dword v0, off, s[0:3], 0
	v_cmp_lt_f32_e32 vcc, v0, v4
	v_cndmask_b32_e32 v0, v0, v4, vcc
	buffer_load_dword v4, off, s[0:3], 0 offset:104
	buffer_load_dword v55, off, s[0:3], 0 offset:108
	;; [unrolled: 1-line block ×6, first 2 shown]
	v_cndmask_b32_e32 v53, v9, v10, vcc
	v_cmp_lt_f32_e32 vcc, v0, v1
	v_cndmask_b32_e32 v0, v0, v1, vcc
	v_cndmask_b32_e32 v53, v53, v11, vcc
	v_cmp_lt_f32_e32 vcc, v0, v5
	v_cndmask_b32_e32 v0, v0, v5, vcc
	;; [unrolled: 3-line block ×14, first 2 shown]
	v_cndmask_b32_e32 v1, v1, v24, vcc
	s_waitcnt vmcnt(34)
	v_cmp_lt_f32_e32 vcc, v0, v36
	v_cndmask_b32_e32 v0, v0, v36, vcc
	v_cndmask_b32_e32 v1, v1, v25, vcc
	s_waitcnt vmcnt(31)
	v_cmp_lt_f32_e32 vcc, v0, v38
	v_cndmask_b32_e32 v0, v0, v38, vcc
	;; [unrolled: 4-line block ×3, first 2 shown]
	v_cndmask_b32_e32 v1, v1, v27, vcc
	v_or_b32_e32 v32, 23, v9
	s_waitcnt vmcnt(25)
	v_cmp_lt_f32_e32 vcc, v0, v39
	v_cndmask_b32_e32 v0, v0, v39, vcc
	v_cndmask_b32_e32 v1, v1, v28, vcc
	s_waitcnt vmcnt(22)
	v_cmp_lt_f32_e32 vcc, v0, v44
	v_cndmask_b32_e32 v0, v0, v44, vcc
	v_cndmask_b32_e32 v1, v1, v29, vcc
	v_or_b32_e32 v33, 24, v9
	s_waitcnt vmcnt(19)
	v_cmp_lt_f32_e32 vcc, v0, v45
	v_cndmask_b32_e32 v0, v0, v45, vcc
	v_cndmask_b32_e32 v1, v1, v30, vcc
	v_or_b32_e32 v34, 25, v9
	v_or_b32_e32 v35, 26, v9
	s_waitcnt vmcnt(16)
	v_cmp_lt_f32_e32 vcc, v0, v46
	v_cndmask_b32_e32 v0, v0, v46, vcc
	v_cndmask_b32_e32 v1, v1, v31, vcc
	s_waitcnt vmcnt(12)
	v_cmp_lt_f32_e32 vcc, v0, v47
	v_cndmask_b32_e32 v0, v0, v47, vcc
	v_cndmask_b32_e32 v1, v1, v32, vcc
	;; [unrolled: 4-line block ×5, first 2 shown]
	s_waitcnt vmcnt(4)
	v_cmp_lt_f32_e32 vcc, v0, v55
	v_or_b32_e32 v36, 27, v9
	v_cndmask_b32_e32 v0, v0, v55, vcc
	v_cndmask_b32_e32 v1, v1, v36, vcc
	s_waitcnt vmcnt(3)
	v_cmp_lt_f32_e32 vcc, v0, v56
	v_or_b32_e32 v37, 28, v9
	v_cndmask_b32_e32 v0, v0, v56, vcc
	v_cndmask_b32_e32 v1, v1, v37, vcc
	;; [unrolled: 5-line block ×4, first 2 shown]
	v_or_b32_e32 v40, 31, v9
	s_waitcnt vmcnt(0)
	v_cmp_lt_f32_e32 vcc, v0, v59
	v_cndmask_b32_e32 v1, v1, v40, vcc
	v_cndmask_b32_e32 v0, v0, v59, vcc
	s_nop 0
	v_mov_b32_dpp v2, v1 quad_perm:[1,0,3,2] row_mask:0xf bank_mask:0xf
	v_mov_b32_dpp v3, v0 quad_perm:[1,0,3,2] row_mask:0xf bank_mask:0xf
	v_cmp_eq_f32_e64 s[6:7], v0, v3
	v_cmp_lt_i32_e64 s[8:9], v2, v1
	v_cmp_lt_f32_e32 vcc, v0, v3
	s_and_b64 s[6:7], s[6:7], s[8:9]
	s_or_b64 vcc, vcc, s[6:7]
	v_cndmask_b32_e32 v0, v0, v3, vcc
	v_cndmask_b32_e32 v1, v1, v2, vcc
	s_nop 0
	v_mov_b32_dpp v3, v0 quad_perm:[2,3,0,1] row_mask:0xf bank_mask:0xf
	v_mov_b32_dpp v2, v1 quad_perm:[2,3,0,1] row_mask:0xf bank_mask:0xf
	v_cmp_eq_f32_e64 s[6:7], v0, v3
	v_cmp_lt_i32_e64 s[8:9], v2, v1
	v_cmp_lt_f32_e32 vcc, v0, v3
	s_and_b64 s[6:7], s[6:7], s[8:9]
	s_or_b64 vcc, vcc, s[6:7]
	v_cndmask_b32_e32 v0, v0, v3, vcc
	v_cndmask_b32_e32 v1, v1, v2, vcc
	s_nop 0
	v_mov_b32_dpp v3, v0 row_half_mirror row_mask:0xf bank_mask:0xf
	v_mov_b32_dpp v2, v1 row_half_mirror row_mask:0xf bank_mask:0xf
	v_cmp_eq_f32_e64 s[6:7], v0, v3
	v_cmp_lt_i32_e64 s[8:9], v2, v1
	v_cmp_lt_f32_e32 vcc, v0, v3
	s_and_b64 s[6:7], s[6:7], s[8:9]
	s_or_b64 vcc, vcc, s[6:7]
	v_cndmask_b32_e32 v0, v0, v3, vcc
	v_cndmask_b32_e32 v1, v1, v2, vcc
	s_cmp_gt_i32 s12, 0
	v_mov_b32_dpp v3, v0 row_mirror row_mask:0xf bank_mask:0xf
	v_mov_b32_dpp v2, v1 row_mirror row_mask:0xf bank_mask:0xf
	s_cselect_b64 s[24:25], -1, 0
	s_cmp_lt_i32 s12, 1
	v_cmp_eq_u32_e32 vcc, 0, v7
	s_cbranch_scc1 .LBB298_16
; %bb.5:
	s_load_dwordx4 s[16:19], s[4:5], 0x20
	v_cmp_eq_f32_e64 s[8:9], v0, v3
	v_cmp_lt_i32_e64 s[10:11], v2, v1
	v_cmp_lt_f32_e64 s[6:7], v0, v3
	s_and_b64 s[8:9], s[8:9], s[10:11]
	s_or_b64 s[6:7], s[6:7], s[8:9]
	v_cndmask_b32_e64 v44, v1, v2, s[6:7]
	v_cndmask_b32_e64 v41, v0, v3, s[6:7]
	v_mul_lo_u32 v4, v6, s15
	v_mul_lo_u32 v2, v6, s26
	;; [unrolled: 1-line block ×3, first 2 shown]
	v_mov_b32_e32 v8, 0
	s_and_saveexec_b64 s[8:9], vcc
	s_cbranch_execz .LBB298_7
; %bb.6:
	v_sub_f32_e32 v1, v41, v41
	v_mul_f32_e32 v3, 0x3fb8aa3b, v1
	s_mov_b32 s4, 0x3fb8aa3b
	v_rndne_f32_e32 v5, v3
	v_sub_f32_e32 v8, v3, v5
	v_fma_f32 v3, v1, s4, -v3
	v_fmac_f32_e32 v3, 0x32a5705f, v1
	v_add_f32_e32 v3, v8, v3
	v_exp_f32_e32 v3, v3
	v_cvt_i32_f32_e32 v5, v5
	v_cmp_le_i32_e64 s[4:5], s13, v44
	v_cmp_gt_i32_e64 s[6:7], s14, v44
	s_and_b64 s[6:7], s[4:5], s[6:7]
	s_mov_b32 s4, 0xc2ce8ed0
	v_ldexp_f32 v3, v3, v5
	v_cmp_ngt_f32_e64 s[4:5], s4, v1
	v_cndmask_b32_e64 v3, 0, v3, s[4:5]
	s_mov_b32 s4, 0x42b17218
	v_mov_b32_e32 v5, 0x7f800000
	v_cmp_nlt_f32_e64 s[4:5], s4, v1
	v_cndmask_b32_e64 v8, v5, v3, s[4:5]
	v_ashrrev_i32_e32 v5, 31, v4
	v_lshlrev_b64 v[46:47], 2, v[4:5]
	v_mov_b32_e32 v1, s21
	v_add_co_u32_e64 v46, s[4:5], s20, v46
	v_addc_co_u32_e64 v47, s[4:5], v1, v47, s[4:5]
	v_subrev_u32_e32 v1, s13, v44
	v_mov_b32_e32 v3, 0x200
	s_and_b64 s[4:5], s[22:23], s[6:7]
	v_cndmask_b32_e64 v1, v3, v1, s[4:5]
	v_ashrrev_i32_e32 v3, 31, v2
	global_store_dword v[46:47], v8, off
	v_lshlrev_b64 v[46:47], 2, v[2:3]
	s_waitcnt lgkmcnt(0)
	v_mov_b32_e32 v3, s17
	v_add_co_u32_e64 v46, s[4:5], s16, v46
	v_addc_co_u32_e64 v47, s[4:5], v3, v47, s[4:5]
	global_store_dword v[46:47], v1, off
	v_ashrrev_i32_e32 v1, 31, v0
	v_lshlrev_b64 v[46:47], 2, v[0:1]
	v_mov_b32_e32 v1, s19
	v_add_co_u32_e64 v46, s[4:5], s18, v46
	v_addc_co_u32_e64 v47, s[4:5], v1, v47, s[4:5]
	global_store_dword v[46:47], v6, off
.LBB298_7:
	s_or_b64 exec, exec, s[8:9]
	v_ashrrev_i32_e32 v3, 31, v44
	v_lshrrev_b32_e32 v1, 27, v3
	v_add_u32_e32 v1, v44, v1
	v_ashrrev_i32_e32 v1, 5, v1
	v_lshrrev_b32_e32 v5, 28, v1
	v_add_u32_e32 v5, v1, v5
	v_and_b32_e32 v5, -16, v5
	v_sub_u32_e32 v5, v1, v5
	v_cmp_eq_u32_e64 s[4:5], v7, v5
	s_and_saveexec_b64 s[6:7], s[4:5]
	s_cbranch_execz .LBB298_9
; %bb.8:
	v_lshrrev_b32_e32 v3, 23, v3
	v_add_u32_e32 v3, v44, v3
	v_lshlrev_b32_e32 v1, 5, v1
	v_ashrrev_i32_e32 v3, 9, v3
	v_sub_u32_e32 v1, v44, v1
	v_lshl_add_u32 v1, v3, 5, v1
	v_mov_b32_e32 v3, 0
	v_lshl_add_u32 v1, v1, 2, v3
	v_mov_b32_e32 v3, 0xff800000
	buffer_store_dword v3, v1, s[0:3], 0 offen
.LBB298_9:
	s_or_b64 exec, exec, s[6:7]
	s_cmp_eq_u32 s12, 1
	s_cbranch_scc1 .LBB298_16
; %bb.10:
	s_add_i32 s29, s29, s28
	s_add_i32 s10, s12, -1
	v_add3_u32 v42, s29, v43, v42
	v_add_u32_e32 v0, 1, v0
	v_add_u32_e32 v2, 1, v2
	;; [unrolled: 1-line block ×3, first 2 shown]
	s_mov_b32 s11, 0x3fb8aa3b
	s_mov_b32 s26, 0xc2ce8ed0
	;; [unrolled: 1-line block ×3, first 2 shown]
	v_mov_b32_e32 v43, 0
	v_mov_b32_e32 v44, 0xff800000
	;; [unrolled: 1-line block ×4, first 2 shown]
	s_branch .LBB298_12
.LBB298_11:                             ;   in Loop: Header=BB298_12 Depth=1
	s_or_b64 exec, exec, s[6:7]
	s_add_i32 s10, s10, -1
	v_add_u32_e32 v42, s28, v42
	v_add_u32_e32 v0, 1, v0
	;; [unrolled: 1-line block ×3, first 2 shown]
	s_cmp_eq_u32 s10, 0
	v_add_u32_e32 v4, 1, v4
	s_cbranch_scc1 .LBB298_16
.LBB298_12:                             ; =>This Inner Loop Header: Depth=1
	buffer_load_dword v1, off, s[0:3], 0
	buffer_load_dword v3, off, s[0:3], 0 offset:4
	buffer_load_dword v5, off, s[0:3], 0 offset:8
	;; [unrolled: 1-line block ×15, first 2 shown]
	s_waitcnt vmcnt(14)
	v_cmp_gt_f32_e64 s[4:5], v3, v1
	v_cndmask_b32_e64 v1, v1, v3, s[4:5]
	v_cndmask_b32_e64 v60, v9, v10, s[4:5]
	s_waitcnt vmcnt(13)
	v_cmp_gt_f32_e64 s[4:5], v5, v1
	v_cndmask_b32_e64 v1, v1, v5, s[4:5]
	buffer_load_dword v5, off, s[0:3], 0 offset:64
	v_cndmask_b32_e64 v3, v60, v11, s[4:5]
	s_waitcnt vmcnt(13)
	v_cmp_gt_f32_e64 s[4:5], v47, v1
	v_cndmask_b32_e64 v1, v1, v47, s[4:5]
	v_cndmask_b32_e64 v3, v3, v12, s[4:5]
	s_waitcnt vmcnt(12)
	v_cmp_gt_f32_e64 s[4:5], v48, v1
	v_cndmask_b32_e64 v1, v1, v48, s[4:5]
	;; [unrolled: 4-line block ×14, first 2 shown]
	buffer_load_dword v5, off, s[0:3], 0 offset:68
	v_cndmask_b32_e64 v3, v3, v25, s[4:5]
	s_waitcnt vmcnt(0)
	v_cmp_gt_f32_e64 s[4:5], v5, v1
	v_cndmask_b32_e64 v1, v1, v5, s[4:5]
	buffer_load_dword v5, off, s[0:3], 0 offset:72
	v_cndmask_b32_e64 v3, v3, v26, s[4:5]
	s_waitcnt vmcnt(0)
	v_cmp_gt_f32_e64 s[4:5], v5, v1
	v_cndmask_b32_e64 v1, v1, v5, s[4:5]
	buffer_load_dword v5, off, s[0:3], 0 offset:76
	v_cndmask_b32_e64 v3, v3, v27, s[4:5]
	s_waitcnt vmcnt(0)
	v_cmp_gt_f32_e64 s[4:5], v5, v1
	v_cndmask_b32_e64 v1, v1, v5, s[4:5]
	buffer_load_dword v5, off, s[0:3], 0 offset:80
	v_cndmask_b32_e64 v3, v3, v28, s[4:5]
	s_waitcnt vmcnt(0)
	v_cmp_gt_f32_e64 s[4:5], v5, v1
	v_cndmask_b32_e64 v1, v1, v5, s[4:5]
	buffer_load_dword v5, off, s[0:3], 0 offset:84
	v_cndmask_b32_e64 v3, v3, v29, s[4:5]
	s_waitcnt vmcnt(0)
	v_cmp_gt_f32_e64 s[4:5], v5, v1
	v_cndmask_b32_e64 v1, v1, v5, s[4:5]
	buffer_load_dword v5, off, s[0:3], 0 offset:88
	v_cndmask_b32_e64 v3, v3, v30, s[4:5]
	s_waitcnt vmcnt(0)
	v_cmp_gt_f32_e64 s[4:5], v5, v1
	v_cndmask_b32_e64 v1, v1, v5, s[4:5]
	buffer_load_dword v5, off, s[0:3], 0 offset:92
	v_cndmask_b32_e64 v3, v3, v31, s[4:5]
	s_waitcnt vmcnt(0)
	v_cmp_gt_f32_e64 s[4:5], v5, v1
	v_cndmask_b32_e64 v1, v1, v5, s[4:5]
	buffer_load_dword v5, off, s[0:3], 0 offset:96
	v_cndmask_b32_e64 v3, v3, v32, s[4:5]
	s_waitcnt vmcnt(0)
	v_cmp_gt_f32_e64 s[4:5], v5, v1
	v_cndmask_b32_e64 v1, v1, v5, s[4:5]
	buffer_load_dword v5, off, s[0:3], 0 offset:100
	v_cndmask_b32_e64 v3, v3, v33, s[4:5]
	s_waitcnt vmcnt(0)
	v_cmp_gt_f32_e64 s[4:5], v5, v1
	v_cndmask_b32_e64 v1, v1, v5, s[4:5]
	buffer_load_dword v5, off, s[0:3], 0 offset:104
	v_cndmask_b32_e64 v3, v3, v34, s[4:5]
	s_waitcnt vmcnt(0)
	v_cmp_gt_f32_e64 s[4:5], v5, v1
	v_cndmask_b32_e64 v1, v1, v5, s[4:5]
	buffer_load_dword v5, off, s[0:3], 0 offset:108
	v_cndmask_b32_e64 v3, v3, v35, s[4:5]
	s_waitcnt vmcnt(0)
	v_cmp_gt_f32_e64 s[4:5], v5, v1
	v_cndmask_b32_e64 v1, v1, v5, s[4:5]
	buffer_load_dword v5, off, s[0:3], 0 offset:112
	v_cndmask_b32_e64 v3, v3, v36, s[4:5]
	s_waitcnt vmcnt(0)
	v_cmp_gt_f32_e64 s[4:5], v5, v1
	v_cndmask_b32_e64 v1, v1, v5, s[4:5]
	buffer_load_dword v5, off, s[0:3], 0 offset:116
	v_cndmask_b32_e64 v3, v3, v37, s[4:5]
	s_waitcnt vmcnt(0)
	v_cmp_gt_f32_e64 s[4:5], v5, v1
	v_cndmask_b32_e64 v1, v1, v5, s[4:5]
	buffer_load_dword v5, off, s[0:3], 0 offset:120
	v_cndmask_b32_e64 v3, v3, v38, s[4:5]
	s_waitcnt vmcnt(0)
	v_cmp_gt_f32_e64 s[4:5], v5, v1
	v_cndmask_b32_e64 v1, v1, v5, s[4:5]
	buffer_load_dword v5, off, s[0:3], 0 offset:124
	v_cndmask_b32_e64 v3, v3, v39, s[4:5]
	s_waitcnt vmcnt(0)
	v_cmp_gt_f32_e64 s[4:5], v5, v1
	v_cndmask_b32_e64 v3, v3, v40, s[4:5]
	v_cndmask_b32_e64 v1, v1, v5, s[4:5]
	s_nop 0
	v_mov_b32_dpp v5, v3 quad_perm:[1,0,3,2] row_mask:0xf bank_mask:0xf
	v_mov_b32_dpp v47, v1 quad_perm:[1,0,3,2] row_mask:0xf bank_mask:0xf
	v_cmp_eq_f32_e64 s[6:7], v1, v47
	v_cmp_lt_i32_e64 s[8:9], v5, v3
	v_cmp_lt_f32_e64 s[4:5], v1, v47
	s_and_b64 s[6:7], s[6:7], s[8:9]
	s_or_b64 s[4:5], s[4:5], s[6:7]
	v_cndmask_b32_e64 v1, v1, v47, s[4:5]
	v_cndmask_b32_e64 v3, v3, v5, s[4:5]
	s_nop 0
	v_mov_b32_dpp v47, v1 quad_perm:[2,3,0,1] row_mask:0xf bank_mask:0xf
	v_mov_b32_dpp v5, v3 quad_perm:[2,3,0,1] row_mask:0xf bank_mask:0xf
	v_cmp_eq_f32_e64 s[6:7], v1, v47
	v_cmp_lt_i32_e64 s[8:9], v5, v3
	v_cmp_lt_f32_e64 s[4:5], v1, v47
	s_and_b64 s[6:7], s[6:7], s[8:9]
	s_or_b64 s[4:5], s[4:5], s[6:7]
	v_cndmask_b32_e64 v1, v1, v47, s[4:5]
	v_cndmask_b32_e64 v3, v3, v5, s[4:5]
	s_nop 0
	v_mov_b32_dpp v47, v1 row_half_mirror row_mask:0xf bank_mask:0xf
	v_mov_b32_dpp v5, v3 row_half_mirror row_mask:0xf bank_mask:0xf
	v_cmp_eq_f32_e64 s[6:7], v1, v47
	v_cmp_lt_i32_e64 s[8:9], v5, v3
	v_cmp_lt_f32_e64 s[4:5], v1, v47
	s_and_b64 s[6:7], s[6:7], s[8:9]
	s_or_b64 s[4:5], s[4:5], s[6:7]
	v_cndmask_b32_e64 v1, v1, v47, s[4:5]
	v_cndmask_b32_e64 v5, v3, v5, s[4:5]
	s_nop 0
	v_mov_b32_dpp v3, v1 row_mirror row_mask:0xf bank_mask:0xf
	v_mov_b32_dpp v47, v5 row_mirror row_mask:0xf bank_mask:0xf
	v_cmp_eq_f32_e64 s[6:7], v1, v3
	v_cmp_lt_i32_e64 s[8:9], v47, v5
	v_cmp_lt_f32_e64 s[4:5], v1, v3
	s_and_b64 s[6:7], s[6:7], s[8:9]
	s_or_b64 s[4:5], s[4:5], s[6:7]
	v_cndmask_b32_e64 v47, v5, v47, s[4:5]
	s_and_saveexec_b64 s[8:9], vcc
	s_cbranch_execz .LBB298_14
; %bb.13:                               ;   in Loop: Header=BB298_12 Depth=1
	v_cndmask_b32_e64 v1, v1, v3, s[4:5]
	v_sub_f32_e32 v1, v1, v41
	v_mul_f32_e32 v3, 0x3fb8aa3b, v1
	v_fma_f32 v5, v1, s11, -v3
	v_rndne_f32_e32 v48, v3
	v_fmac_f32_e32 v5, 0x32a5705f, v1
	v_sub_f32_e32 v3, v3, v48
	v_add_f32_e32 v3, v3, v5
	v_exp_f32_e32 v3, v3
	v_cvt_i32_f32_e32 v5, v48
	v_cmp_le_i32_e64 s[4:5], s13, v47
	v_cmp_gt_i32_e64 s[6:7], s14, v47
	s_and_b64 s[6:7], s[4:5], s[6:7]
	v_ldexp_f32 v3, v3, v5
	v_cmp_ngt_f32_e64 s[4:5], s26, v1
	v_ashrrev_i32_e32 v5, 31, v4
	v_cndmask_b32_e64 v3, 0, v3, s[4:5]
	v_cmp_nlt_f32_e64 s[4:5], s27, v1
	v_lshlrev_b64 v[48:49], 2, v[4:5]
	v_cndmask_b32_e64 v50, v45, v3, s[4:5]
	v_mov_b32_e32 v1, s21
	v_add_co_u32_e64 v48, s[4:5], s20, v48
	v_addc_co_u32_e64 v49, s[4:5], v1, v49, s[4:5]
	v_ashrrev_i32_e32 v3, 31, v2
	global_store_dword v[48:49], v50, off
	v_subrev_u32_e32 v1, s13, v47
	s_and_b64 s[4:5], s[22:23], s[6:7]
	v_lshlrev_b64 v[48:49], 2, v[2:3]
	v_cndmask_b32_e64 v1, v46, v1, s[4:5]
	s_waitcnt lgkmcnt(0)
	v_mov_b32_e32 v3, s17
	v_add_co_u32_e64 v48, s[4:5], s16, v48
	v_addc_co_u32_e64 v49, s[4:5], v3, v49, s[4:5]
	global_store_dword v[48:49], v1, off
	v_ashrrev_i32_e32 v1, 31, v0
	v_lshlrev_b64 v[48:49], 2, v[0:1]
	v_mov_b32_e32 v1, s19
	v_add_co_u32_e64 v48, s[4:5], s18, v48
	v_addc_co_u32_e64 v49, s[4:5], v1, v49, s[4:5]
	v_add_f32_e32 v8, v8, v50
	global_store_dword v[48:49], v42, off
.LBB298_14:                             ;   in Loop: Header=BB298_12 Depth=1
	s_or_b64 exec, exec, s[8:9]
	v_ashrrev_i32_e32 v3, 31, v47
	v_lshrrev_b32_e32 v1, 27, v3
	v_add_u32_e32 v1, v47, v1
	v_ashrrev_i32_e32 v1, 5, v1
	v_lshrrev_b32_e32 v5, 28, v1
	v_add_u32_e32 v5, v1, v5
	v_and_b32_e32 v5, -16, v5
	v_sub_u32_e32 v5, v1, v5
	v_cmp_eq_u32_e64 s[4:5], v7, v5
	s_and_saveexec_b64 s[6:7], s[4:5]
	s_cbranch_execz .LBB298_11
; %bb.15:                               ;   in Loop: Header=BB298_12 Depth=1
	v_lshrrev_b32_e32 v3, 23, v3
	v_add_u32_e32 v3, v47, v3
	v_lshlrev_b32_e32 v1, 5, v1
	v_ashrrev_i32_e32 v3, 9, v3
	v_sub_u32_e32 v1, v47, v1
	v_lshl_add_u32 v1, v3, 5, v1
	v_lshl_add_u32 v1, v1, 2, v43
	buffer_store_dword v44, v1, s[0:3], 0 offen
	s_branch .LBB298_11
.LBB298_16:
	v_cmp_eq_u32_e32 vcc, 0, v7
	v_cmp_neq_f32_e64 s[4:5], 0, v8
	s_and_b64 s[4:5], vcc, s[4:5]
	s_and_b64 exec, exec, s[4:5]
	s_cbranch_execz .LBB298_27
; %bb.17:
	s_andn2_b64 vcc, exec, s[24:25]
	s_cbranch_vccnz .LBB298_27
; %bb.18:
	v_div_scale_f32 v0, s[4:5], v8, v8, 1.0
	v_rcp_f32_e32 v1, v0
	v_div_scale_f32 v2, vcc, 1.0, v8, 1.0
	s_cmp_gt_u32 s12, 3
	v_fma_f32 v3, -v0, v1, 1.0
	v_fmac_f32_e32 v1, v3, v1
	v_mul_f32_e32 v3, v2, v1
	v_fma_f32 v4, -v0, v3, v2
	v_fmac_f32_e32 v3, v4, v1
	v_fma_f32 v0, -v0, v3, v2
	v_div_fmas_f32 v0, v0, v1, v3
	v_mul_lo_u32 v2, v6, s15
	v_div_fixup_f32 v0, v0, v8, 1.0
	v_ashrrev_i32_e32 v3, 31, v2
	s_cbranch_scc0 .LBB298_22
; %bb.19:
	v_lshlrev_b64 v[4:5], 2, v[2:3]
	v_mov_b32_e32 v6, s21
	v_add_co_u32_e32 v4, vcc, s20, v4
	v_addc_co_u32_e32 v5, vcc, v5, v6, vcc
	s_and_b32 s8, s12, 0x7ffffffc
	v_add_co_u32_e32 v4, vcc, 8, v4
	v_mov_b32_e32 v1, v0
	v_addc_co_u32_e32 v5, vcc, 0, v5, vcc
	s_mov_b32 s4, s8
.LBB298_20:                             ; =>This Inner Loop Header: Depth=1
	global_load_dwordx4 v[6:9], v[4:5], off offset:-8
	s_add_i32 s4, s4, -4
	s_cmp_lg_u32 s4, 0
	s_waitcnt vmcnt(0)
	v_pk_mul_f32 v[6:7], v[0:1], v[6:7]
	v_pk_mul_f32 v[8:9], v[0:1], v[8:9]
	global_store_dwordx4 v[4:5], v[6:9], off offset:-8
	v_add_co_u32_e32 v4, vcc, 16, v4
	v_addc_co_u32_e32 v5, vcc, 0, v5, vcc
	s_cbranch_scc1 .LBB298_20
; %bb.21:
	s_cmp_lg_u32 s8, s12
	s_cselect_b64 s[4:5], -1, 0
	s_branch .LBB298_24
.LBB298_22:
	s_mov_b64 s[4:5], 0
                                        ; implicit-def: $sgpr8
	s_cbranch_execz .LBB298_24
; %bb.23:
	s_mov_b64 s[4:5], -1
	s_mov_b32 s8, 0
.LBB298_24:
	s_andn2_b64 vcc, exec, s[4:5]
	s_cbranch_vccnz .LBB298_27
; %bb.25:
	v_add_co_u32_e32 v2, vcc, s8, v2
	v_addc_co_u32_e32 v3, vcc, 0, v3, vcc
	v_lshlrev_b64 v[2:3], 2, v[2:3]
	v_mov_b32_e32 v1, s21
	v_add_co_u32_e32 v2, vcc, s20, v2
	s_sub_i32 s4, s12, s8
	v_addc_co_u32_e32 v3, vcc, v1, v3, vcc
.LBB298_26:                             ; =>This Inner Loop Header: Depth=1
	global_load_dword v1, v[2:3], off
	s_add_i32 s4, s4, -1
	s_cmp_lg_u32 s4, 0
	s_waitcnt vmcnt(0)
	v_mul_f32_e32 v1, v0, v1
	global_store_dword v[2:3], v1, off
	v_add_co_u32_e32 v2, vcc, 4, v2
	v_addc_co_u32_e32 v3, vcc, 0, v3, vcc
	s_cbranch_scc1 .LBB298_26
.LBB298_27:
	s_endpgm
	.section	.rodata,"a",@progbits
	.p2align	6, 0x0
	.amdhsa_kernel _ZN4vllm3moe17topkGatingSoftmaxItLi32ELi512ELi2ELi64ELb1ELi0ELNS0_23SharedExpertScoringFuncE0EEEvPKT_PKbPfiPiS9_iiiiii
		.amdhsa_group_segment_fixed_size 0
		.amdhsa_private_segment_fixed_size 144
		.amdhsa_kernarg_size 72
		.amdhsa_user_sgpr_count 8
		.amdhsa_user_sgpr_private_segment_buffer 1
		.amdhsa_user_sgpr_dispatch_ptr 0
		.amdhsa_user_sgpr_queue_ptr 0
		.amdhsa_user_sgpr_kernarg_segment_ptr 1
		.amdhsa_user_sgpr_dispatch_id 0
		.amdhsa_user_sgpr_flat_scratch_init 1
		.amdhsa_user_sgpr_kernarg_preload_length 0
		.amdhsa_user_sgpr_kernarg_preload_offset 0
		.amdhsa_user_sgpr_private_segment_size 0
		.amdhsa_uses_dynamic_stack 0
		.amdhsa_system_sgpr_private_segment_wavefront_offset 1
		.amdhsa_system_sgpr_workgroup_id_x 1
		.amdhsa_system_sgpr_workgroup_id_y 0
		.amdhsa_system_sgpr_workgroup_id_z 0
		.amdhsa_system_sgpr_workgroup_info 0
		.amdhsa_system_vgpr_workitem_id 1
		.amdhsa_next_free_vgpr 61
		.amdhsa_next_free_sgpr 30
		.amdhsa_accum_offset 64
		.amdhsa_reserve_vcc 1
		.amdhsa_reserve_flat_scratch 0
		.amdhsa_float_round_mode_32 0
		.amdhsa_float_round_mode_16_64 0
		.amdhsa_float_denorm_mode_32 3
		.amdhsa_float_denorm_mode_16_64 3
		.amdhsa_dx10_clamp 1
		.amdhsa_ieee_mode 1
		.amdhsa_fp16_overflow 0
		.amdhsa_tg_split 0
		.amdhsa_exception_fp_ieee_invalid_op 0
		.amdhsa_exception_fp_denorm_src 0
		.amdhsa_exception_fp_ieee_div_zero 0
		.amdhsa_exception_fp_ieee_overflow 0
		.amdhsa_exception_fp_ieee_underflow 0
		.amdhsa_exception_fp_ieee_inexact 0
		.amdhsa_exception_int_div_zero 0
	.end_amdhsa_kernel
	.section	.text._ZN4vllm3moe17topkGatingSoftmaxItLi32ELi512ELi2ELi64ELb1ELi0ELNS0_23SharedExpertScoringFuncE0EEEvPKT_PKbPfiPiS9_iiiiii,"axG",@progbits,_ZN4vllm3moe17topkGatingSoftmaxItLi32ELi512ELi2ELi64ELb1ELi0ELNS0_23SharedExpertScoringFuncE0EEEvPKT_PKbPfiPiS9_iiiiii,comdat
.Lfunc_end298:
	.size	_ZN4vllm3moe17topkGatingSoftmaxItLi32ELi512ELi2ELi64ELb1ELi0ELNS0_23SharedExpertScoringFuncE0EEEvPKT_PKbPfiPiS9_iiiiii, .Lfunc_end298-_ZN4vllm3moe17topkGatingSoftmaxItLi32ELi512ELi2ELi64ELb1ELi0ELNS0_23SharedExpertScoringFuncE0EEEvPKT_PKbPfiPiS9_iiiiii
                                        ; -- End function
	.section	.AMDGPU.csdata,"",@progbits
; Kernel info:
; codeLenInByte = 4392
; NumSgprs: 34
; NumVgprs: 61
; NumAgprs: 0
; TotalNumVgprs: 61
; ScratchSize: 144
; MemoryBound: 0
; FloatMode: 240
; IeeeMode: 1
; LDSByteSize: 0 bytes/workgroup (compile time only)
; SGPRBlocks: 4
; VGPRBlocks: 7
; NumSGPRsForWavesPerEU: 34
; NumVGPRsForWavesPerEU: 61
; AccumOffset: 64
; Occupancy: 8
; WaveLimiterHint : 0
; COMPUTE_PGM_RSRC2:SCRATCH_EN: 1
; COMPUTE_PGM_RSRC2:USER_SGPR: 8
; COMPUTE_PGM_RSRC2:TRAP_HANDLER: 0
; COMPUTE_PGM_RSRC2:TGID_X_EN: 1
; COMPUTE_PGM_RSRC2:TGID_Y_EN: 0
; COMPUTE_PGM_RSRC2:TGID_Z_EN: 0
; COMPUTE_PGM_RSRC2:TIDIG_COMP_CNT: 1
; COMPUTE_PGM_RSRC3_GFX90A:ACCUM_OFFSET: 15
; COMPUTE_PGM_RSRC3_GFX90A:TG_SPLIT: 0
	.section	.text._ZN4vllm3moe17topkGatingSoftmaxItLi32ELi512ELi2ELi64ELb0ELi0ELNS0_23SharedExpertScoringFuncE0EEEvPKT_PKbPfiPiS9_iiiiii,"axG",@progbits,_ZN4vllm3moe17topkGatingSoftmaxItLi32ELi512ELi2ELi64ELb0ELi0ELNS0_23SharedExpertScoringFuncE0EEEvPKT_PKbPfiPiS9_iiiiii,comdat
	.protected	_ZN4vllm3moe17topkGatingSoftmaxItLi32ELi512ELi2ELi64ELb0ELi0ELNS0_23SharedExpertScoringFuncE0EEEvPKT_PKbPfiPiS9_iiiiii ; -- Begin function _ZN4vllm3moe17topkGatingSoftmaxItLi32ELi512ELi2ELi64ELb0ELi0ELNS0_23SharedExpertScoringFuncE0EEEvPKT_PKbPfiPiS9_iiiiii
	.globl	_ZN4vllm3moe17topkGatingSoftmaxItLi32ELi512ELi2ELi64ELb0ELi0ELNS0_23SharedExpertScoringFuncE0EEEvPKT_PKbPfiPiS9_iiiiii
	.p2align	8
	.type	_ZN4vllm3moe17topkGatingSoftmaxItLi32ELi512ELi2ELi64ELb0ELi0ELNS0_23SharedExpertScoringFuncE0EEEvPKT_PKbPfiPiS9_iiiiii,@function
_ZN4vllm3moe17topkGatingSoftmaxItLi32ELi512ELi2ELi64ELb0ELi0ELNS0_23SharedExpertScoringFuncE0EEEvPKT_PKbPfiPiS9_iiiiii: ; @_ZN4vllm3moe17topkGatingSoftmaxItLi32ELi512ELi2ELi64ELb0ELi0ELNS0_23SharedExpertScoringFuncE0EEEvPKT_PKbPfiPiS9_iiiiii
; %bb.0:
	s_load_dword s26, s[4:5], 0x18
	s_add_u32 s0, s0, s9
	v_bfe_u32 v1, v0, 10, 10
	v_and_b32_e32 v0, 0x3ff, v0
	s_addc_u32 s1, s1, 0
	s_lshl_b32 s27, s8, 3
	v_lshlrev_b32_e32 v42, 2, v1
	v_lshrrev_b32_e32 v43, 4, v0
	v_add3_u32 v6, s27, v42, v43
	s_waitcnt lgkmcnt(0)
	v_cmp_gt_i32_e32 vcc, s26, v6
	s_and_saveexec_b64 s[6:7], vcc
	s_cbranch_execz .LBB299_30
; %bb.1:
	s_load_dwordx4 s[8:11], s[4:5], 0x0
	s_load_dwordx2 s[20:21], s[4:5], 0x10
	s_waitcnt lgkmcnt(0)
	s_cmp_eq_u64 s[10:11], 0
	s_cbranch_scc1 .LBB299_3
; %bb.2:
	v_ashrrev_i32_e32 v1, 31, v6
	v_mov_b32_e32 v3, s11
	v_add_co_u32_e32 v2, vcc, s10, v6
	v_addc_co_u32_e32 v3, vcc, v3, v1, vcc
	global_load_ubyte v1, v[2:3], off
	s_waitcnt vmcnt(0)
	v_and_b32_e32 v1, 1, v1
	v_cmp_eq_u32_e32 vcc, 1, v1
	s_xor_b64 s[6:7], vcc, -1
	s_orn2_b64 s[22:23], s[6:7], exec
	s_branch .LBB299_4
.LBB299_3:
	s_mov_b64 s[22:23], -1
.LBB299_4:
	s_load_dwordx2 s[24:25], s[4:5], 0x40
	s_load_dwordx4 s[12:15], s[4:5], 0x30
	v_mov_b32_e32 v1, s9
	v_and_b32_e32 v7, 15, v0
	v_lshlrev_b32_e32 v0, 6, v7
	s_waitcnt lgkmcnt(0)
	v_mul_lo_u32 v2, v6, s25
	v_ashrrev_i32_e32 v3, 31, v2
	v_lshlrev_b64 v[2:3], 1, v[2:3]
	v_add_co_u32_e32 v2, vcc, s8, v2
	v_addc_co_u32_e32 v1, vcc, v1, v3, vcc
	v_add_co_u32_e32 v4, vcc, v2, v0
	v_addc_co_u32_e32 v5, vcc, 0, v1, vcc
	global_load_dwordx4 v[0:3], v[4:5], off
	global_load_dwordx4 v[32:35], v[4:5], off offset:16
	global_load_dwordx4 v[36:39], v[4:5], off offset:32
	;; [unrolled: 1-line block ×3, first 2 shown]
	v_lshlrev_b32_e32 v10, 5, v7
	v_or_b32_e32 v11, 1, v10
	v_or_b32_e32 v12, 2, v10
	;; [unrolled: 1-line block ×21, first 2 shown]
	v_mov_b32_e32 v8, 0
	s_waitcnt vmcnt(3)
	v_cvt_f32_u32_sdwa v4, v0 dst_sel:DWORD dst_unused:UNUSED_PAD src0_sel:WORD_1
	v_cvt_f32_u32_sdwa v5, v0 dst_sel:DWORD dst_unused:UNUSED_PAD src0_sel:WORD_0
	v_cvt_f32_u32_sdwa v9, v1 dst_sel:DWORD dst_unused:UNUSED_PAD src0_sel:WORD_1
	s_waitcnt vmcnt(0)
	v_cvt_f32_u32_sdwa v59, v47 dst_sel:DWORD dst_unused:UNUSED_PAD src0_sel:WORD_1
	v_cvt_f32_u32_sdwa v47, v47 dst_sel:DWORD dst_unused:UNUSED_PAD src0_sel:WORD_0
	v_cvt_f32_u32_sdwa v40, v1 dst_sel:DWORD dst_unused:UNUSED_PAD src0_sel:WORD_0
	v_cvt_f32_u32_sdwa v0, v36 dst_sel:DWORD dst_unused:UNUSED_PAD src0_sel:WORD_1
	v_cvt_f32_u32_sdwa v1, v36 dst_sel:DWORD dst_unused:UNUSED_PAD src0_sel:WORD_0
	v_cvt_f32_u32_sdwa v36, v37 dst_sel:DWORD dst_unused:UNUSED_PAD src0_sel:WORD_1
	v_cvt_f32_u32_sdwa v58, v46 dst_sel:DWORD dst_unused:UNUSED_PAD src0_sel:WORD_1
	v_cvt_f32_u32_sdwa v46, v46 dst_sel:DWORD dst_unused:UNUSED_PAD src0_sel:WORD_0
	v_cvt_f32_u32_sdwa v37, v37 dst_sel:DWORD dst_unused:UNUSED_PAD src0_sel:WORD_0
	v_cvt_f32_u32_sdwa v54, v38 dst_sel:DWORD dst_unused:UNUSED_PAD src0_sel:WORD_1
	v_cvt_f32_u32_sdwa v38, v38 dst_sel:DWORD dst_unused:UNUSED_PAD src0_sel:WORD_0
	v_cvt_f32_u32_sdwa v55, v39 dst_sel:DWORD dst_unused:UNUSED_PAD src0_sel:WORD_1
	;; [unrolled: 2-line block ×4, first 2 shown]
	v_cvt_f32_u32_sdwa v45, v45 dst_sel:DWORD dst_unused:UNUSED_PAD src0_sel:WORD_0
	buffer_store_dword v59, off, s[0:3], 0 offset:124
	buffer_store_dword v47, off, s[0:3], 0 offset:120
	buffer_store_dword v58, off, s[0:3], 0 offset:116
	buffer_store_dword v46, off, s[0:3], 0 offset:112
	buffer_store_dword v57, off, s[0:3], 0 offset:108
	buffer_store_dword v45, off, s[0:3], 0 offset:104
	buffer_store_dword v56, off, s[0:3], 0 offset:100
	buffer_store_dword v44, off, s[0:3], 0 offset:96
	buffer_store_dword v55, off, s[0:3], 0 offset:92
	buffer_store_dword v39, off, s[0:3], 0 offset:88
	buffer_store_dword v54, off, s[0:3], 0 offset:84
	buffer_store_dword v38, off, s[0:3], 0 offset:80
	buffer_store_dword v1, off, s[0:3], 0 offset:64
	v_cvt_f32_u32_sdwa v53, v35 dst_sel:DWORD dst_unused:UNUSED_PAD src0_sel:WORD_1
	buffer_load_dword v38, off, s[0:3], 0 offset:64
	v_cvt_f32_u32_sdwa v35, v35 dst_sel:DWORD dst_unused:UNUSED_PAD src0_sel:WORD_0
	buffer_store_dword v36, off, s[0:3], 0 offset:76
	buffer_store_dword v0, off, s[0:3], 0 offset:68
	v_cvt_f32_u32_sdwa v52, v34 dst_sel:DWORD dst_unused:UNUSED_PAD src0_sel:WORD_1
	buffer_load_dword v36, off, s[0:3], 0 offset:68
	v_cvt_f32_u32_sdwa v34, v34 dst_sel:DWORD dst_unused:UNUSED_PAD src0_sel:WORD_0
	buffer_store_dword v37, off, s[0:3], 0 offset:72
	buffer_store_dword v53, off, s[0:3], 0 offset:60
	;; [unrolled: 5-line block ×6, first 2 shown]
	buffer_load_dword v46, off, s[0:3], 0 offset:88
	s_nop 0
	buffer_store_dword v3, off, s[0:3], 0 offset:24
	buffer_store_dword v41, off, s[0:3], 0 offset:20
	;; [unrolled: 1-line block ×3, first 2 shown]
	buffer_load_dword v1, off, s[0:3], 0 offset:92
	s_nop 0
	buffer_store_dword v9, off, s[0:3], 0 offset:12
	buffer_store_dword v40, off, s[0:3], 0 offset:8
	;; [unrolled: 1-line block ×3, first 2 shown]
	buffer_load_dword v0, off, s[0:3], 0 offset:96
	buffer_load_dword v54, off, s[0:3], 0 offset:100
	v_cmp_lt_f32_e32 vcc, v5, v4
	buffer_store_dword v5, off, s[0:3], 0
	v_cndmask_b32_e32 v4, v5, v4, vcc
	buffer_load_dword v5, off, s[0:3], 0 offset:104
	buffer_load_dword v55, off, s[0:3], 0 offset:108
	;; [unrolled: 1-line block ×6, first 2 shown]
	v_cndmask_b32_e32 v47, v10, v11, vcc
	v_cmp_lt_f32_e32 vcc, v4, v40
	v_cndmask_b32_e32 v4, v4, v40, vcc
	v_cndmask_b32_e32 v47, v47, v12, vcc
	v_cmp_lt_f32_e32 vcc, v4, v9
	v_cndmask_b32_e32 v4, v4, v9, vcc
	;; [unrolled: 3-line block ×14, first 2 shown]
	v_cndmask_b32_e32 v3, v3, v25, vcc
	v_or_b32_e32 v32, 22, v10
	v_or_b32_e32 v33, 23, v10
	v_or_b32_e32 v34, 24, v10
	v_or_b32_e32 v35, 25, v10
	s_waitcnt vmcnt(34)
	v_cmp_lt_f32_e32 vcc, v2, v38
	v_cndmask_b32_e32 v2, v2, v38, vcc
	v_cndmask_b32_e32 v3, v3, v26, vcc
	v_or_b32_e32 v38, 28, v10
	s_waitcnt vmcnt(31)
	v_cmp_lt_f32_e32 vcc, v2, v36
	v_cndmask_b32_e32 v2, v2, v36, vcc
	v_cndmask_b32_e32 v3, v3, v27, vcc
	v_or_b32_e32 v36, 26, v10
	;; [unrolled: 5-line block ×5, first 2 shown]
	s_waitcnt vmcnt(19)
	v_cmp_lt_f32_e32 vcc, v2, v45
	v_cndmask_b32_e32 v2, v2, v45, vcc
	v_cndmask_b32_e32 v3, v3, v31, vcc
	s_waitcnt vmcnt(16)
	v_cmp_lt_f32_e32 vcc, v2, v46
	v_cndmask_b32_e32 v2, v2, v46, vcc
	v_cndmask_b32_e32 v3, v3, v32, vcc
	;; [unrolled: 4-line block ×10, first 2 shown]
	v_or_b32_e32 v41, 31, v10
	s_waitcnt vmcnt(0)
	v_cmp_lt_f32_e32 vcc, v2, v59
	v_cndmask_b32_e32 v3, v3, v41, vcc
	v_cndmask_b32_e32 v2, v2, v59, vcc
	s_nop 0
	v_mov_b32_dpp v4, v3 quad_perm:[1,0,3,2] row_mask:0xf bank_mask:0xf
	v_mov_b32_dpp v5, v2 quad_perm:[1,0,3,2] row_mask:0xf bank_mask:0xf
	v_cmp_eq_f32_e64 s[6:7], v2, v5
	v_cmp_lt_i32_e64 s[8:9], v4, v3
	v_cmp_lt_f32_e32 vcc, v2, v5
	s_and_b64 s[6:7], s[6:7], s[8:9]
	s_or_b64 vcc, vcc, s[6:7]
	v_cndmask_b32_e32 v2, v2, v5, vcc
	v_cndmask_b32_e32 v3, v3, v4, vcc
	s_nop 0
	v_mov_b32_dpp v5, v2 quad_perm:[2,3,0,1] row_mask:0xf bank_mask:0xf
	v_mov_b32_dpp v4, v3 quad_perm:[2,3,0,1] row_mask:0xf bank_mask:0xf
	v_cmp_eq_f32_e64 s[6:7], v2, v5
	v_cmp_lt_i32_e64 s[8:9], v4, v3
	v_cmp_lt_f32_e32 vcc, v2, v5
	s_and_b64 s[6:7], s[6:7], s[8:9]
	s_or_b64 vcc, vcc, s[6:7]
	v_cndmask_b32_e32 v2, v2, v5, vcc
	v_cndmask_b32_e32 v3, v3, v4, vcc
	s_nop 0
	v_mov_b32_dpp v5, v2 row_half_mirror row_mask:0xf bank_mask:0xf
	v_mov_b32_dpp v4, v3 row_half_mirror row_mask:0xf bank_mask:0xf
	v_cmp_eq_f32_e64 s[6:7], v2, v5
	v_cmp_lt_i32_e64 s[8:9], v4, v3
	v_cmp_lt_f32_e32 vcc, v2, v5
	s_and_b64 s[6:7], s[6:7], s[8:9]
	s_or_b64 vcc, vcc, s[6:7]
	v_cndmask_b32_e32 v5, v2, v5, vcc
	v_cndmask_b32_e32 v2, v3, v4, vcc
	s_nop 0
	v_mov_b32_dpp v4, v5 row_mirror row_mask:0xf bank_mask:0xf
	v_mov_b32_dpp v3, v2 row_mirror row_mask:0xf bank_mask:0xf
	v_cmp_eq_f32_e64 s[6:7], v5, v4
	v_cmp_lt_i32_e64 s[8:9], v3, v2
	v_cmp_lt_f32_e32 vcc, v5, v4
	s_and_b64 s[6:7], s[6:7], s[8:9]
	s_or_b64 s[6:7], vcc, s[6:7]
	s_cmp_gt_i32 s12, 0
	v_cndmask_b32_e64 v9, v5, v4, s[6:7]
	s_cselect_b64 s[10:11], -1, 0
	s_cmp_lt_i32 s12, 1
	v_cmp_eq_u32_e32 vcc, 0, v7
	s_cbranch_scc1 .LBB299_17
; %bb.5:
	s_load_dwordx4 s[16:19], s[4:5], 0x20
	v_cndmask_b32_e64 v44, v2, v3, s[6:7]
	v_mul_lo_u32 v4, v6, s15
	v_mul_lo_u32 v2, v6, s24
	;; [unrolled: 1-line block ×3, first 2 shown]
	v_mov_b32_e32 v8, 0
	s_and_saveexec_b64 s[8:9], vcc
	s_cbranch_execz .LBB299_7
; %bb.6:
	v_sub_f32_e32 v1, v9, v9
	v_mul_f32_e32 v3, 0x3fb8aa3b, v1
	s_mov_b32 s4, 0x3fb8aa3b
	v_rndne_f32_e32 v5, v3
	v_sub_f32_e32 v8, v3, v5
	v_fma_f32 v3, v1, s4, -v3
	v_fmac_f32_e32 v3, 0x32a5705f, v1
	v_add_f32_e32 v3, v8, v3
	v_exp_f32_e32 v3, v3
	v_cvt_i32_f32_e32 v5, v5
	v_cmp_le_i32_e64 s[4:5], s13, v44
	v_cmp_gt_i32_e64 s[6:7], s14, v44
	s_and_b64 s[6:7], s[4:5], s[6:7]
	s_mov_b32 s4, 0xc2ce8ed0
	v_ldexp_f32 v3, v3, v5
	v_cmp_ngt_f32_e64 s[4:5], s4, v1
	v_cndmask_b32_e64 v3, 0, v3, s[4:5]
	s_mov_b32 s4, 0x42b17218
	v_mov_b32_e32 v5, 0x7f800000
	v_cmp_nlt_f32_e64 s[4:5], s4, v1
	v_cndmask_b32_e64 v8, v5, v3, s[4:5]
	v_ashrrev_i32_e32 v5, 31, v4
	v_lshlrev_b64 v[46:47], 2, v[4:5]
	v_mov_b32_e32 v1, s21
	v_add_co_u32_e64 v46, s[4:5], s20, v46
	v_addc_co_u32_e64 v47, s[4:5], v1, v47, s[4:5]
	v_subrev_u32_e32 v1, s13, v44
	v_mov_b32_e32 v3, 0x200
	s_and_b64 s[4:5], s[22:23], s[6:7]
	v_cndmask_b32_e64 v1, v3, v1, s[4:5]
	v_ashrrev_i32_e32 v3, 31, v2
	global_store_dword v[46:47], v8, off
	v_lshlrev_b64 v[46:47], 2, v[2:3]
	s_waitcnt lgkmcnt(0)
	v_mov_b32_e32 v3, s17
	v_add_co_u32_e64 v46, s[4:5], s16, v46
	v_addc_co_u32_e64 v47, s[4:5], v3, v47, s[4:5]
	global_store_dword v[46:47], v1, off
	v_ashrrev_i32_e32 v1, 31, v0
	v_lshlrev_b64 v[46:47], 2, v[0:1]
	v_mov_b32_e32 v1, s19
	v_add_co_u32_e64 v46, s[4:5], s18, v46
	v_addc_co_u32_e64 v47, s[4:5], v1, v47, s[4:5]
	global_store_dword v[46:47], v6, off
.LBB299_7:
	s_or_b64 exec, exec, s[8:9]
	v_ashrrev_i32_e32 v3, 31, v44
	v_lshrrev_b32_e32 v1, 27, v3
	v_add_u32_e32 v1, v44, v1
	v_ashrrev_i32_e32 v1, 5, v1
	v_lshrrev_b32_e32 v5, 28, v1
	v_add_u32_e32 v5, v1, v5
	v_and_b32_e32 v5, -16, v5
	v_sub_u32_e32 v5, v1, v5
	v_cmp_eq_u32_e64 s[4:5], v7, v5
	s_and_saveexec_b64 s[6:7], s[4:5]
	s_cbranch_execz .LBB299_9
; %bb.8:
	v_lshrrev_b32_e32 v3, 23, v3
	v_add_u32_e32 v3, v44, v3
	v_lshlrev_b32_e32 v1, 5, v1
	v_ashrrev_i32_e32 v3, 9, v3
	v_sub_u32_e32 v1, v44, v1
	v_lshl_add_u32 v1, v3, 5, v1
	v_mov_b32_e32 v3, 0
	v_lshl_add_u32 v1, v1, 2, v3
	v_mov_b32_e32 v3, 0xff800000
	buffer_store_dword v3, v1, s[0:3], 0 offen
.LBB299_9:
	s_or_b64 exec, exec, s[6:7]
	s_cmp_eq_u32 s12, 1
	s_cbranch_scc1 .LBB299_16
; %bb.10:
	s_add_i32 s27, s27, s26
	s_add_i32 s24, s12, -1
	v_add3_u32 v42, s27, v43, v42
	v_add_u32_e32 v0, 1, v0
	v_add_u32_e32 v2, 1, v2
	;; [unrolled: 1-line block ×3, first 2 shown]
	s_mov_b32 s25, 0x3fb8aa3b
	s_mov_b32 s27, 0xc2ce8ed0
	;; [unrolled: 1-line block ×3, first 2 shown]
	v_mov_b32_e32 v43, 0
	v_mov_b32_e32 v44, 0xff800000
	;; [unrolled: 1-line block ×4, first 2 shown]
	s_branch .LBB299_12
.LBB299_11:                             ;   in Loop: Header=BB299_12 Depth=1
	s_or_b64 exec, exec, s[6:7]
	s_add_i32 s24, s24, -1
	v_add_u32_e32 v42, s26, v42
	v_add_u32_e32 v0, 1, v0
	;; [unrolled: 1-line block ×3, first 2 shown]
	s_cmp_eq_u32 s24, 0
	v_add_u32_e32 v4, 1, v4
	s_cbranch_scc1 .LBB299_16
.LBB299_12:                             ; =>This Inner Loop Header: Depth=1
	buffer_load_dword v1, off, s[0:3], 0
	buffer_load_dword v3, off, s[0:3], 0 offset:4
	buffer_load_dword v5, off, s[0:3], 0 offset:8
	;; [unrolled: 1-line block ×15, first 2 shown]
	s_waitcnt vmcnt(14)
	v_cmp_gt_f32_e64 s[4:5], v3, v1
	v_cndmask_b32_e64 v1, v1, v3, s[4:5]
	v_cndmask_b32_e64 v60, v10, v11, s[4:5]
	s_waitcnt vmcnt(13)
	v_cmp_gt_f32_e64 s[4:5], v5, v1
	v_cndmask_b32_e64 v1, v1, v5, s[4:5]
	buffer_load_dword v5, off, s[0:3], 0 offset:64
	v_cndmask_b32_e64 v3, v60, v12, s[4:5]
	s_waitcnt vmcnt(13)
	v_cmp_gt_f32_e64 s[4:5], v47, v1
	v_cndmask_b32_e64 v1, v1, v47, s[4:5]
	v_cndmask_b32_e64 v3, v3, v13, s[4:5]
	s_waitcnt vmcnt(12)
	v_cmp_gt_f32_e64 s[4:5], v48, v1
	v_cndmask_b32_e64 v1, v1, v48, s[4:5]
	;; [unrolled: 4-line block ×14, first 2 shown]
	buffer_load_dword v5, off, s[0:3], 0 offset:68
	v_cndmask_b32_e64 v3, v3, v26, s[4:5]
	s_waitcnt vmcnt(0)
	v_cmp_gt_f32_e64 s[4:5], v5, v1
	v_cndmask_b32_e64 v1, v1, v5, s[4:5]
	buffer_load_dword v5, off, s[0:3], 0 offset:72
	v_cndmask_b32_e64 v3, v3, v27, s[4:5]
	s_waitcnt vmcnt(0)
	v_cmp_gt_f32_e64 s[4:5], v5, v1
	v_cndmask_b32_e64 v1, v1, v5, s[4:5]
	;; [unrolled: 5-line block ×15, first 2 shown]
	v_cndmask_b32_e64 v1, v1, v5, s[4:5]
	s_nop 0
	v_mov_b32_dpp v5, v3 quad_perm:[1,0,3,2] row_mask:0xf bank_mask:0xf
	v_mov_b32_dpp v47, v1 quad_perm:[1,0,3,2] row_mask:0xf bank_mask:0xf
	v_cmp_eq_f32_e64 s[6:7], v1, v47
	v_cmp_lt_i32_e64 s[8:9], v5, v3
	v_cmp_lt_f32_e64 s[4:5], v1, v47
	s_and_b64 s[6:7], s[6:7], s[8:9]
	s_or_b64 s[4:5], s[4:5], s[6:7]
	v_cndmask_b32_e64 v1, v1, v47, s[4:5]
	v_cndmask_b32_e64 v3, v3, v5, s[4:5]
	s_nop 0
	v_mov_b32_dpp v47, v1 quad_perm:[2,3,0,1] row_mask:0xf bank_mask:0xf
	v_mov_b32_dpp v5, v3 quad_perm:[2,3,0,1] row_mask:0xf bank_mask:0xf
	v_cmp_eq_f32_e64 s[6:7], v1, v47
	v_cmp_lt_i32_e64 s[8:9], v5, v3
	v_cmp_lt_f32_e64 s[4:5], v1, v47
	s_and_b64 s[6:7], s[6:7], s[8:9]
	s_or_b64 s[4:5], s[4:5], s[6:7]
	v_cndmask_b32_e64 v1, v1, v47, s[4:5]
	v_cndmask_b32_e64 v3, v3, v5, s[4:5]
	s_nop 0
	v_mov_b32_dpp v47, v1 row_half_mirror row_mask:0xf bank_mask:0xf
	v_mov_b32_dpp v5, v3 row_half_mirror row_mask:0xf bank_mask:0xf
	v_cmp_eq_f32_e64 s[6:7], v1, v47
	v_cmp_lt_i32_e64 s[8:9], v5, v3
	v_cmp_lt_f32_e64 s[4:5], v1, v47
	s_and_b64 s[6:7], s[6:7], s[8:9]
	s_or_b64 s[4:5], s[4:5], s[6:7]
	v_cndmask_b32_e64 v1, v1, v47, s[4:5]
	v_cndmask_b32_e64 v5, v3, v5, s[4:5]
	s_nop 0
	v_mov_b32_dpp v3, v1 row_mirror row_mask:0xf bank_mask:0xf
	v_mov_b32_dpp v47, v5 row_mirror row_mask:0xf bank_mask:0xf
	v_cmp_eq_f32_e64 s[6:7], v1, v3
	v_cmp_lt_i32_e64 s[8:9], v47, v5
	v_cmp_lt_f32_e64 s[4:5], v1, v3
	s_and_b64 s[6:7], s[6:7], s[8:9]
	s_or_b64 s[4:5], s[4:5], s[6:7]
	v_cndmask_b32_e64 v47, v5, v47, s[4:5]
	s_and_saveexec_b64 s[8:9], vcc
	s_cbranch_execz .LBB299_14
; %bb.13:                               ;   in Loop: Header=BB299_12 Depth=1
	v_cndmask_b32_e64 v1, v1, v3, s[4:5]
	v_sub_f32_e32 v1, v1, v9
	v_mul_f32_e32 v3, 0x3fb8aa3b, v1
	v_fma_f32 v5, v1, s25, -v3
	v_rndne_f32_e32 v48, v3
	v_fmac_f32_e32 v5, 0x32a5705f, v1
	v_sub_f32_e32 v3, v3, v48
	v_add_f32_e32 v3, v3, v5
	v_exp_f32_e32 v3, v3
	v_cvt_i32_f32_e32 v5, v48
	v_cmp_le_i32_e64 s[4:5], s13, v47
	v_cmp_gt_i32_e64 s[6:7], s14, v47
	s_and_b64 s[6:7], s[4:5], s[6:7]
	v_ldexp_f32 v3, v3, v5
	v_cmp_ngt_f32_e64 s[4:5], s27, v1
	v_ashrrev_i32_e32 v5, 31, v4
	v_cndmask_b32_e64 v3, 0, v3, s[4:5]
	v_cmp_nlt_f32_e64 s[4:5], s28, v1
	v_lshlrev_b64 v[48:49], 2, v[4:5]
	v_cndmask_b32_e64 v50, v45, v3, s[4:5]
	v_mov_b32_e32 v1, s21
	v_add_co_u32_e64 v48, s[4:5], s20, v48
	v_addc_co_u32_e64 v49, s[4:5], v1, v49, s[4:5]
	v_ashrrev_i32_e32 v3, 31, v2
	global_store_dword v[48:49], v50, off
	v_subrev_u32_e32 v1, s13, v47
	s_and_b64 s[4:5], s[22:23], s[6:7]
	v_lshlrev_b64 v[48:49], 2, v[2:3]
	v_cndmask_b32_e64 v1, v46, v1, s[4:5]
	s_waitcnt lgkmcnt(0)
	v_mov_b32_e32 v3, s17
	v_add_co_u32_e64 v48, s[4:5], s16, v48
	v_addc_co_u32_e64 v49, s[4:5], v3, v49, s[4:5]
	global_store_dword v[48:49], v1, off
	v_ashrrev_i32_e32 v1, 31, v0
	v_lshlrev_b64 v[48:49], 2, v[0:1]
	v_mov_b32_e32 v1, s19
	v_add_co_u32_e64 v48, s[4:5], s18, v48
	v_addc_co_u32_e64 v49, s[4:5], v1, v49, s[4:5]
	v_add_f32_e32 v8, v8, v50
	global_store_dword v[48:49], v42, off
.LBB299_14:                             ;   in Loop: Header=BB299_12 Depth=1
	s_or_b64 exec, exec, s[8:9]
	v_ashrrev_i32_e32 v3, 31, v47
	v_lshrrev_b32_e32 v1, 27, v3
	v_add_u32_e32 v1, v47, v1
	v_ashrrev_i32_e32 v1, 5, v1
	v_lshrrev_b32_e32 v5, 28, v1
	v_add_u32_e32 v5, v1, v5
	v_and_b32_e32 v5, -16, v5
	v_sub_u32_e32 v5, v1, v5
	v_cmp_eq_u32_e64 s[4:5], v7, v5
	s_and_saveexec_b64 s[6:7], s[4:5]
	s_cbranch_execz .LBB299_11
; %bb.15:                               ;   in Loop: Header=BB299_12 Depth=1
	v_lshrrev_b32_e32 v3, 23, v3
	v_add_u32_e32 v3, v47, v3
	v_lshlrev_b32_e32 v1, 5, v1
	v_ashrrev_i32_e32 v3, 9, v3
	v_sub_u32_e32 v1, v47, v1
	v_lshl_add_u32 v1, v3, 5, v1
	v_lshl_add_u32 v1, v1, 2, v43
	buffer_store_dword v44, v1, s[0:3], 0 offen
	s_branch .LBB299_11
.LBB299_16:
	buffer_load_dword v1, off, s[0:3], 0 offset:92
	buffer_load_dword v0, off, s[0:3], 0 offset:96
.LBB299_17:
	buffer_load_dword v3, off, s[0:3], 0
	buffer_load_dword v4, off, s[0:3], 0 offset:4
	buffer_load_dword v5, off, s[0:3], 0 offset:8
	;; [unrolled: 1-line block ×15, first 2 shown]
	s_mov_b32 s5, 0x3fb8aa3b
	s_mov_b32 s4, 0xc2ce8ed0
	;; [unrolled: 1-line block ×3, first 2 shown]
	v_mov_b32_e32 v2, 0x7f800000
	s_waitcnt vmcnt(17)
	v_sub_f32_e32 v1, v1, v9
	s_waitcnt vmcnt(16)
	v_sub_f32_e32 v0, v0, v9
	;; [unrolled: 2-line block ×4, first 2 shown]
	v_mul_f32_e32 v23, 0x3fb8aa3b, v3
	s_waitcnt vmcnt(13)
	v_sub_f32_e32 v5, v5, v9
	v_mul_f32_e32 v24, 0x3fb8aa3b, v4
	v_fma_f32 v29, v3, s5, -v23
	v_rndne_f32_e32 v30, v23
	s_waitcnt vmcnt(12)
	v_sub_f32_e32 v10, v10, v9
	v_mul_f32_e32 v25, 0x3fb8aa3b, v5
	v_fma_f32 v31, v4, s5, -v24
	v_rndne_f32_e32 v32, v24
	v_fmac_f32_e32 v29, 0x32a5705f, v3
	v_sub_f32_e32 v23, v23, v30
	s_waitcnt vmcnt(11)
	v_sub_f32_e32 v11, v11, v9
	v_mul_f32_e32 v26, 0x3fb8aa3b, v10
	v_fma_f32 v33, v5, s5, -v25
	v_rndne_f32_e32 v34, v25
	v_fmac_f32_e32 v31, 0x32a5705f, v4
	v_sub_f32_e32 v24, v24, v32
	v_add_f32_e32 v23, v23, v29
	v_mul_f32_e32 v27, 0x3fb8aa3b, v11
	v_fma_f32 v35, v10, s5, -v26
	v_rndne_f32_e32 v36, v26
	v_cvt_i32_f32_e32 v30, v30
	v_fmac_f32_e32 v33, 0x32a5705f, v5
	v_sub_f32_e32 v25, v25, v34
	v_add_f32_e32 v24, v24, v31
	v_exp_f32_e32 v23, v23
	v_fma_f32 v37, v11, s5, -v27
	v_rndne_f32_e32 v38, v27
	v_cvt_i32_f32_e32 v32, v32
	v_fmac_f32_e32 v35, 0x32a5705f, v10
	v_sub_f32_e32 v26, v26, v36
	v_add_f32_e32 v25, v25, v33
	v_exp_f32_e32 v24, v24
	v_cvt_i32_f32_e32 v34, v34
	v_fmac_f32_e32 v37, 0x32a5705f, v11
	v_sub_f32_e32 v27, v27, v38
	v_add_f32_e32 v26, v26, v35
	v_exp_f32_e32 v25, v25
	v_cvt_i32_f32_e32 v36, v36
	v_add_f32_e32 v27, v27, v37
	v_exp_f32_e32 v26, v26
	v_cvt_i32_f32_e32 v38, v38
	v_exp_f32_e32 v27, v27
	v_ldexp_f32 v23, v23, v30
	v_cmp_ngt_f32_e32 vcc, s4, v3
	v_ldexp_f32 v24, v24, v32
	v_cndmask_b32_e32 v23, 0, v23, vcc
	v_cmp_ngt_f32_e32 vcc, s4, v4
	v_ldexp_f32 v25, v25, v34
	v_cndmask_b32_e32 v24, 0, v24, vcc
	;; [unrolled: 3-line block ×4, first 2 shown]
	v_cmp_ngt_f32_e32 vcc, s4, v11
	v_cndmask_b32_e32 v27, 0, v27, vcc
	v_cmp_nlt_f32_e32 vcc, s6, v3
	s_waitcnt vmcnt(10)
	v_sub_f32_e32 v12, v12, v9
	v_cndmask_b32_e32 v3, v2, v23, vcc
	v_cmp_nlt_f32_e32 vcc, s6, v4
	v_mul_f32_e32 v28, 0x3fb8aa3b, v12
	v_cndmask_b32_e32 v4, v2, v24, vcc
	v_cmp_nlt_f32_e32 vcc, s6, v5
	v_fma_f32 v39, v12, s5, -v28
	v_cndmask_b32_e32 v5, v2, v25, vcc
	v_add_f32_e32 v3, v3, v4
	v_rndne_f32_e32 v4, v28
	v_fmac_f32_e32 v39, 0x32a5705f, v12
	v_add_f32_e32 v3, v3, v5
	v_sub_f32_e32 v5, v28, v4
	v_add_f32_e32 v5, v5, v39
	v_exp_f32_e32 v5, v5
	v_cvt_i32_f32_e32 v4, v4
	v_cmp_nlt_f32_e32 vcc, s6, v10
	v_cndmask_b32_e32 v10, v2, v26, vcc
	v_cmp_nlt_f32_e32 vcc, s6, v11
	v_add_f32_e32 v3, v3, v10
	v_cndmask_b32_e32 v10, v2, v27, vcc
	v_ldexp_f32 v4, v5, v4
	s_waitcnt vmcnt(9)
	v_sub_f32_e32 v5, v13, v9
	v_add_f32_e32 v3, v3, v10
	v_mul_f32_e32 v10, 0x3fb8aa3b, v5
	v_fma_f32 v11, v5, s5, -v10
	v_rndne_f32_e32 v13, v10
	v_fmac_f32_e32 v11, 0x32a5705f, v5
	v_sub_f32_e32 v10, v10, v13
	v_add_f32_e32 v10, v10, v11
	v_exp_f32_e32 v10, v10
	v_cvt_i32_f32_e32 v11, v13
	v_cmp_ngt_f32_e32 vcc, s4, v12
	v_cndmask_b32_e32 v4, 0, v4, vcc
	v_cmp_nlt_f32_e32 vcc, s6, v12
	v_cndmask_b32_e32 v4, v2, v4, vcc
	v_add_f32_e32 v3, v3, v4
	v_ldexp_f32 v4, v10, v11
	s_waitcnt vmcnt(8)
	v_sub_f32_e32 v10, v14, v9
	v_mul_f32_e32 v11, 0x3fb8aa3b, v10
	v_fma_f32 v12, v10, s5, -v11
	v_rndne_f32_e32 v13, v11
	v_fmac_f32_e32 v12, 0x32a5705f, v10
	v_sub_f32_e32 v11, v11, v13
	v_add_f32_e32 v11, v11, v12
	v_exp_f32_e32 v11, v11
	v_cvt_i32_f32_e32 v12, v13
	v_cmp_ngt_f32_e32 vcc, s4, v5
	v_cndmask_b32_e32 v4, 0, v4, vcc
	v_cmp_nlt_f32_e32 vcc, s6, v5
	v_cndmask_b32_e32 v4, v2, v4, vcc
	s_waitcnt vmcnt(7)
	v_sub_f32_e32 v5, v15, v9
	v_add_f32_e32 v3, v3, v4
	v_ldexp_f32 v4, v11, v12
	v_mul_f32_e32 v11, 0x3fb8aa3b, v5
	v_fma_f32 v12, v5, s5, -v11
	v_rndne_f32_e32 v13, v11
	v_fmac_f32_e32 v12, 0x32a5705f, v5
	v_sub_f32_e32 v11, v11, v13
	v_add_f32_e32 v11, v11, v12
	v_exp_f32_e32 v11, v11
	v_cvt_i32_f32_e32 v12, v13
	v_cmp_ngt_f32_e32 vcc, s4, v10
	v_cndmask_b32_e32 v4, 0, v4, vcc
	v_cmp_nlt_f32_e32 vcc, s6, v10
	v_cndmask_b32_e32 v4, v2, v4, vcc
	s_waitcnt vmcnt(6)
	v_sub_f32_e32 v10, v16, v9
	v_add_f32_e32 v3, v3, v4
	v_ldexp_f32 v4, v11, v12
	v_mul_f32_e32 v11, 0x3fb8aa3b, v10
	v_fma_f32 v12, v10, s5, -v11
	v_rndne_f32_e32 v13, v11
	v_fmac_f32_e32 v12, 0x32a5705f, v10
	v_sub_f32_e32 v11, v11, v13
	v_add_f32_e32 v11, v11, v12
	v_exp_f32_e32 v11, v11
	v_cvt_i32_f32_e32 v12, v13
	v_cmp_ngt_f32_e32 vcc, s4, v5
	v_cndmask_b32_e32 v4, 0, v4, vcc
	v_cmp_nlt_f32_e32 vcc, s6, v5
	v_cndmask_b32_e32 v4, v2, v4, vcc
	s_waitcnt vmcnt(5)
	v_sub_f32_e32 v5, v17, v9
	v_add_f32_e32 v3, v3, v4
	v_ldexp_f32 v4, v11, v12
	v_mul_f32_e32 v11, 0x3fb8aa3b, v5
	v_fma_f32 v12, v5, s5, -v11
	v_rndne_f32_e32 v13, v11
	v_fmac_f32_e32 v12, 0x32a5705f, v5
	v_sub_f32_e32 v11, v11, v13
	v_add_f32_e32 v11, v11, v12
	v_exp_f32_e32 v11, v11
	v_cvt_i32_f32_e32 v12, v13
	v_cmp_ngt_f32_e32 vcc, s4, v10
	v_cndmask_b32_e32 v4, 0, v4, vcc
	v_cmp_nlt_f32_e32 vcc, s6, v10
	v_cndmask_b32_e32 v4, v2, v4, vcc
	s_waitcnt vmcnt(4)
	v_sub_f32_e32 v10, v18, v9
	v_add_f32_e32 v3, v3, v4
	v_ldexp_f32 v4, v11, v12
	v_mul_f32_e32 v11, 0x3fb8aa3b, v10
	v_fma_f32 v12, v10, s5, -v11
	v_rndne_f32_e32 v14, v11
	buffer_load_dword v13, off, s[0:3], 0 offset:64
	v_fmac_f32_e32 v12, 0x32a5705f, v10
	v_sub_f32_e32 v11, v11, v14
	v_add_f32_e32 v11, v11, v12
	v_exp_f32_e32 v11, v11
	v_cvt_i32_f32_e32 v12, v14
	v_cmp_ngt_f32_e32 vcc, s4, v5
	v_cndmask_b32_e32 v4, 0, v4, vcc
	v_cmp_nlt_f32_e32 vcc, s6, v5
	v_cndmask_b32_e32 v4, v2, v4, vcc
	s_waitcnt vmcnt(4)
	v_sub_f32_e32 v5, v19, v9
	v_add_f32_e32 v3, v3, v4
	v_ldexp_f32 v4, v11, v12
	buffer_load_dword v12, off, s[0:3], 0 offset:68
	v_mul_f32_e32 v11, 0x3fb8aa3b, v5
	v_fma_f32 v14, v5, s5, -v11
	v_rndne_f32_e32 v15, v11
	v_fmac_f32_e32 v14, 0x32a5705f, v5
	v_sub_f32_e32 v11, v11, v15
	v_add_f32_e32 v11, v11, v14
	v_exp_f32_e32 v11, v11
	v_cvt_i32_f32_e32 v14, v15
	v_cmp_ngt_f32_e32 vcc, s4, v10
	v_cndmask_b32_e32 v4, 0, v4, vcc
	v_cmp_nlt_f32_e32 vcc, s6, v10
	v_cndmask_b32_e32 v4, v2, v4, vcc
	v_add_f32_e32 v3, v3, v4
	v_ldexp_f32 v4, v11, v14
	buffer_load_dword v11, off, s[0:3], 0 offset:72
	s_waitcnt vmcnt(5)
	v_sub_f32_e32 v10, v20, v9
	v_mul_f32_e32 v14, 0x3fb8aa3b, v10
	v_cmp_ngt_f32_e32 vcc, s4, v5
	v_fma_f32 v15, v10, s5, -v14
	v_rndne_f32_e32 v16, v14
	v_cndmask_b32_e32 v4, 0, v4, vcc
	v_fmac_f32_e32 v15, 0x32a5705f, v10
	v_sub_f32_e32 v14, v14, v16
	v_cmp_nlt_f32_e32 vcc, s6, v5
	buffer_load_dword v5, off, s[0:3], 0 offset:76
	v_add_f32_e32 v14, v14, v15
	v_exp_f32_e32 v14, v14
	v_cvt_i32_f32_e32 v15, v16
	v_cndmask_b32_e32 v4, v2, v4, vcc
	v_add_f32_e32 v3, v3, v4
	v_cmp_ngt_f32_e32 vcc, s4, v10
	v_ldexp_f32 v4, v14, v15
	s_waitcnt vmcnt(5)
	v_sub_f32_e32 v14, v21, v9
	v_cndmask_b32_e32 v4, 0, v4, vcc
	v_mul_f32_e32 v15, 0x3fb8aa3b, v14
	v_cmp_nlt_f32_e32 vcc, s6, v10
	buffer_load_dword v10, off, s[0:3], 0 offset:80
	v_fma_f32 v16, v14, s5, -v15
	v_rndne_f32_e32 v17, v15
	v_fmac_f32_e32 v16, 0x32a5705f, v14
	v_sub_f32_e32 v15, v15, v17
	v_add_f32_e32 v15, v15, v16
	v_exp_f32_e32 v15, v15
	v_cvt_i32_f32_e32 v16, v17
	v_cndmask_b32_e32 v4, v2, v4, vcc
	v_add_f32_e32 v3, v3, v4
	v_cmp_ngt_f32_e32 vcc, s4, v14
	v_ldexp_f32 v4, v15, v16
	v_cndmask_b32_e32 v4, 0, v4, vcc
	v_cmp_nlt_f32_e32 vcc, s6, v14
	buffer_load_dword v14, off, s[0:3], 0 offset:84
	s_waitcnt vmcnt(6)
	v_sub_f32_e32 v15, v22, v9
	v_mul_f32_e32 v16, 0x3fb8aa3b, v15
	v_fma_f32 v17, v15, s5, -v16
	v_rndne_f32_e32 v18, v16
	v_fmac_f32_e32 v17, 0x32a5705f, v15
	v_sub_f32_e32 v16, v16, v18
	v_add_f32_e32 v16, v16, v17
	v_exp_f32_e32 v16, v16
	v_cvt_i32_f32_e32 v17, v18
	v_cndmask_b32_e32 v4, v2, v4, vcc
	v_add_f32_e32 v3, v3, v4
	v_cmp_ngt_f32_e32 vcc, s4, v15
	v_ldexp_f32 v4, v16, v17
	buffer_load_dword v16, off, s[0:3], 0 offset:88
	buffer_load_dword v17, off, s[0:3], 0 offset:100
	v_cndmask_b32_e32 v4, 0, v4, vcc
	s_waitcnt vmcnt(7)
	v_sub_f32_e32 v13, v13, v9
	v_mul_f32_e32 v18, 0x3fb8aa3b, v13
	v_fma_f32 v19, v13, s5, -v18
	v_rndne_f32_e32 v20, v18
	v_fmac_f32_e32 v19, 0x32a5705f, v13
	v_sub_f32_e32 v18, v18, v20
	v_add_f32_e32 v18, v18, v19
	v_exp_f32_e32 v18, v18
	v_cvt_i32_f32_e32 v19, v20
	v_cmp_nlt_f32_e32 vcc, s6, v15
	v_cndmask_b32_e32 v4, v2, v4, vcc
	v_add_f32_e32 v3, v3, v4
	v_ldexp_f32 v4, v18, v19
	s_waitcnt vmcnt(6)
	v_sub_f32_e32 v12, v12, v9
	v_mul_f32_e32 v15, 0x3fb8aa3b, v12
	v_fma_f32 v18, v12, s5, -v15
	v_rndne_f32_e32 v19, v15
	v_fmac_f32_e32 v18, 0x32a5705f, v12
	v_sub_f32_e32 v15, v15, v19
	v_add_f32_e32 v15, v15, v18
	v_exp_f32_e32 v15, v15
	v_cvt_i32_f32_e32 v18, v19
	v_cmp_ngt_f32_e32 vcc, s4, v13
	v_cndmask_b32_e32 v4, 0, v4, vcc
	v_cmp_nlt_f32_e32 vcc, s6, v13
	v_cndmask_b32_e32 v4, v2, v4, vcc
	v_add_f32_e32 v3, v3, v4
	v_ldexp_f32 v4, v15, v18
	s_waitcnt vmcnt(5)
	v_sub_f32_e32 v11, v11, v9
	v_mul_f32_e32 v13, 0x3fb8aa3b, v11
	v_fma_f32 v15, v11, s5, -v13
	v_rndne_f32_e32 v18, v13
	v_fmac_f32_e32 v15, 0x32a5705f, v11
	v_sub_f32_e32 v13, v13, v18
	v_add_f32_e32 v13, v13, v15
	v_exp_f32_e32 v13, v13
	v_cvt_i32_f32_e32 v15, v18
	v_cmp_ngt_f32_e32 vcc, s4, v12
	v_cndmask_b32_e32 v4, 0, v4, vcc
	v_cmp_nlt_f32_e32 vcc, s6, v12
	s_waitcnt vmcnt(4)
	v_sub_f32_e32 v5, v5, v9
	v_cndmask_b32_e32 v4, v2, v4, vcc
	v_mul_f32_e32 v12, 0x3fb8aa3b, v5
	v_add_f32_e32 v3, v3, v4
	v_ldexp_f32 v4, v13, v15
	v_fma_f32 v13, v5, s5, -v12
	v_rndne_f32_e32 v15, v12
	v_fmac_f32_e32 v13, 0x32a5705f, v5
	v_sub_f32_e32 v12, v12, v15
	v_add_f32_e32 v12, v12, v13
	v_exp_f32_e32 v12, v12
	v_cvt_i32_f32_e32 v13, v15
	v_cmp_ngt_f32_e32 vcc, s4, v11
	v_cndmask_b32_e32 v4, 0, v4, vcc
	v_cmp_nlt_f32_e32 vcc, s6, v11
	s_waitcnt vmcnt(3)
	v_sub_f32_e32 v10, v10, v9
	v_cndmask_b32_e32 v4, v2, v4, vcc
	v_mul_f32_e32 v11, 0x3fb8aa3b, v10
	v_add_f32_e32 v3, v3, v4
	v_ldexp_f32 v4, v12, v13
	v_fma_f32 v12, v10, s5, -v11
	v_rndne_f32_e32 v13, v11
	v_fmac_f32_e32 v12, 0x32a5705f, v10
	v_sub_f32_e32 v11, v11, v13
	v_add_f32_e32 v11, v11, v12
	v_exp_f32_e32 v11, v11
	v_cvt_i32_f32_e32 v12, v13
	v_cmp_ngt_f32_e32 vcc, s4, v5
	v_cndmask_b32_e32 v4, 0, v4, vcc
	v_cmp_nlt_f32_e32 vcc, s6, v5
	v_cndmask_b32_e32 v4, v2, v4, vcc
	v_add_f32_e32 v3, v3, v4
	v_ldexp_f32 v4, v11, v12
	s_waitcnt vmcnt(2)
	v_sub_f32_e32 v5, v14, v9
	buffer_load_dword v11, off, s[0:3], 0 offset:104
	v_mul_f32_e32 v12, 0x3fb8aa3b, v5
	v_fma_f32 v13, v5, s5, -v12
	v_rndne_f32_e32 v14, v12
	v_fmac_f32_e32 v13, 0x32a5705f, v5
	v_sub_f32_e32 v12, v12, v14
	v_add_f32_e32 v12, v12, v13
	v_exp_f32_e32 v12, v12
	v_cvt_i32_f32_e32 v13, v14
	v_cmp_ngt_f32_e32 vcc, s4, v10
	v_cndmask_b32_e32 v4, 0, v4, vcc
	v_cmp_nlt_f32_e32 vcc, s6, v10
	buffer_load_dword v10, off, s[0:3], 0 offset:108
	v_cndmask_b32_e32 v4, v2, v4, vcc
	v_add_f32_e32 v3, v3, v4
	v_ldexp_f32 v4, v12, v13
	s_waitcnt vmcnt(3)
	v_sub_f32_e32 v12, v16, v9
	v_mul_f32_e32 v13, 0x3fb8aa3b, v12
	v_fma_f32 v14, v12, s5, -v13
	v_rndne_f32_e32 v15, v13
	v_fmac_f32_e32 v14, 0x32a5705f, v12
	v_sub_f32_e32 v13, v13, v15
	v_cmp_ngt_f32_e32 vcc, s4, v5
	v_add_f32_e32 v13, v13, v14
	v_cndmask_b32_e32 v4, 0, v4, vcc
	v_exp_f32_e32 v13, v13
	v_cvt_i32_f32_e32 v14, v15
	v_cmp_nlt_f32_e32 vcc, s6, v5
	buffer_load_dword v5, off, s[0:3], 0 offset:112
	v_cndmask_b32_e32 v4, v2, v4, vcc
	v_add_f32_e32 v3, v3, v4
	v_ldexp_f32 v4, v13, v14
	v_mul_f32_e32 v13, 0x3fb8aa3b, v1
	v_fma_f32 v14, v1, s5, -v13
	v_rndne_f32_e32 v15, v13
	v_fmac_f32_e32 v14, 0x32a5705f, v1
	v_sub_f32_e32 v13, v13, v15
	v_cmp_ngt_f32_e32 vcc, s4, v12
	v_add_f32_e32 v13, v13, v14
	v_cndmask_b32_e32 v4, 0, v4, vcc
	v_exp_f32_e32 v13, v13
	v_cvt_i32_f32_e32 v14, v15
	v_cmp_nlt_f32_e32 vcc, s6, v12
	buffer_load_dword v12, off, s[0:3], 0 offset:116
	v_cndmask_b32_e32 v4, v2, v4, vcc
	v_add_f32_e32 v3, v3, v4
	v_ldexp_f32 v4, v13, v14
	v_cmp_ngt_f32_e32 vcc, s4, v1
	v_cndmask_b32_e32 v4, 0, v4, vcc
	v_mul_f32_e32 v13, 0x3fb8aa3b, v0
	v_cmp_nlt_f32_e32 vcc, s6, v1
	v_fma_f32 v14, v0, s5, -v13
	v_rndne_f32_e32 v15, v13
	v_cndmask_b32_e32 v1, v2, v4, vcc
	v_fmac_f32_e32 v14, 0x32a5705f, v0
	v_sub_f32_e32 v13, v13, v15
	v_add_f32_e32 v1, v3, v1
	buffer_load_dword v3, off, s[0:3], 0 offset:120
	v_add_f32_e32 v13, v13, v14
	v_exp_f32_e32 v13, v13
	v_cvt_i32_f32_e32 v14, v15
	v_cmp_ngt_f32_e32 vcc, s4, v0
	v_ldexp_f32 v4, v13, v14
	v_cndmask_b32_e32 v4, 0, v4, vcc
	v_cmp_nlt_f32_e32 vcc, s6, v0
	v_cndmask_b32_e32 v0, v2, v4, vcc
	buffer_load_dword v4, off, s[0:3], 0 offset:124
	s_waitcnt vmcnt(6)
	v_sub_f32_e32 v13, v17, v9
	v_mul_f32_e32 v14, 0x3fb8aa3b, v13
	v_fma_f32 v15, v13, s5, -v14
	v_rndne_f32_e32 v16, v14
	v_fmac_f32_e32 v15, 0x32a5705f, v13
	v_sub_f32_e32 v14, v14, v16
	v_add_f32_e32 v14, v14, v15
	v_exp_f32_e32 v14, v14
	v_cvt_i32_f32_e32 v15, v16
	v_add_f32_e32 v0, v1, v0
	v_cmp_ngt_f32_e32 vcc, s4, v13
	s_waitcnt vmcnt(5)
	v_sub_f32_e32 v11, v11, v9
	v_ldexp_f32 v1, v14, v15
	v_mul_f32_e32 v14, 0x3fb8aa3b, v11
	v_fma_f32 v15, v11, s5, -v14
	v_rndne_f32_e32 v16, v14
	v_fmac_f32_e32 v15, 0x32a5705f, v11
	v_sub_f32_e32 v14, v14, v16
	v_add_f32_e32 v14, v14, v15
	v_exp_f32_e32 v14, v14
	v_cvt_i32_f32_e32 v15, v16
	v_cndmask_b32_e32 v1, 0, v1, vcc
	v_cmp_nlt_f32_e32 vcc, s6, v13
	s_waitcnt vmcnt(4)
	v_sub_f32_e32 v10, v10, v9
	v_cndmask_b32_e32 v1, v2, v1, vcc
	v_mul_f32_e32 v13, 0x3fb8aa3b, v10
	v_add_f32_e32 v0, v0, v1
	v_ldexp_f32 v1, v14, v15
	v_fma_f32 v14, v10, s5, -v13
	v_rndne_f32_e32 v15, v13
	v_fmac_f32_e32 v14, 0x32a5705f, v10
	v_sub_f32_e32 v13, v13, v15
	v_add_f32_e32 v13, v13, v14
	v_exp_f32_e32 v13, v13
	v_cvt_i32_f32_e32 v14, v15
	v_cmp_ngt_f32_e32 vcc, s4, v11
	v_cndmask_b32_e32 v1, 0, v1, vcc
	v_cmp_nlt_f32_e32 vcc, s6, v11
	v_cndmask_b32_e32 v1, v2, v1, vcc
	s_waitcnt vmcnt(3)
	v_sub_f32_e32 v5, v5, v9
	v_mul_f32_e32 v11, 0x3fb8aa3b, v5
	v_add_f32_e32 v0, v0, v1
	v_ldexp_f32 v1, v13, v14
	v_fma_f32 v13, v5, s5, -v11
	v_rndne_f32_e32 v14, v11
	v_fmac_f32_e32 v13, 0x32a5705f, v5
	v_sub_f32_e32 v11, v11, v14
	v_add_f32_e32 v11, v11, v13
	v_exp_f32_e32 v11, v11
	v_cvt_i32_f32_e32 v13, v14
	v_cmp_ngt_f32_e32 vcc, s4, v10
	v_cndmask_b32_e32 v1, 0, v1, vcc
	v_cmp_nlt_f32_e32 vcc, s6, v10
	v_cndmask_b32_e32 v1, v2, v1, vcc
	s_waitcnt vmcnt(2)
	v_sub_f32_e32 v10, v12, v9
	v_add_f32_e32 v0, v0, v1
	v_ldexp_f32 v1, v11, v13
	v_mul_f32_e32 v11, 0x3fb8aa3b, v10
	v_fma_f32 v12, v10, s5, -v11
	v_rndne_f32_e32 v13, v11
	v_fmac_f32_e32 v12, 0x32a5705f, v10
	v_sub_f32_e32 v11, v11, v13
	v_add_f32_e32 v11, v11, v12
	v_exp_f32_e32 v11, v11
	v_cvt_i32_f32_e32 v12, v13
	v_cmp_ngt_f32_e32 vcc, s4, v5
	v_cndmask_b32_e32 v1, 0, v1, vcc
	v_cmp_nlt_f32_e32 vcc, s6, v5
	s_waitcnt vmcnt(1)
	v_sub_f32_e32 v3, v3, v9
	v_cndmask_b32_e32 v1, v2, v1, vcc
	v_mul_f32_e32 v5, 0x3fb8aa3b, v3
	v_add_f32_e32 v0, v0, v1
	v_ldexp_f32 v1, v11, v12
	v_fma_f32 v11, v3, s5, -v5
	v_rndne_f32_e32 v12, v5
	v_fmac_f32_e32 v11, 0x32a5705f, v3
	v_sub_f32_e32 v5, v5, v12
	v_add_f32_e32 v5, v5, v11
	v_exp_f32_e32 v5, v5
	v_cvt_i32_f32_e32 v11, v12
	v_cmp_ngt_f32_e32 vcc, s4, v10
	v_cndmask_b32_e32 v1, 0, v1, vcc
	v_cmp_nlt_f32_e32 vcc, s6, v10
	v_cndmask_b32_e32 v1, v2, v1, vcc
	s_waitcnt vmcnt(0)
	v_sub_f32_e32 v4, v4, v9
	v_add_f32_e32 v0, v0, v1
	v_ldexp_f32 v1, v5, v11
	v_mul_f32_e32 v5, 0x3fb8aa3b, v4
	v_fma_f32 v9, v4, s5, -v5
	v_rndne_f32_e32 v10, v5
	v_fmac_f32_e32 v9, 0x32a5705f, v4
	v_sub_f32_e32 v5, v5, v10
	v_add_f32_e32 v5, v5, v9
	v_exp_f32_e32 v5, v5
	v_cvt_i32_f32_e32 v9, v10
	v_cmp_ngt_f32_e32 vcc, s4, v3
	v_cndmask_b32_e32 v1, 0, v1, vcc
	v_cmp_nlt_f32_e32 vcc, s6, v3
	v_cndmask_b32_e32 v1, v2, v1, vcc
	v_add_f32_e32 v0, v0, v1
	v_ldexp_f32 v1, v5, v9
	v_cmp_ngt_f32_e32 vcc, s4, v4
	v_cndmask_b32_e32 v1, 0, v1, vcc
	v_cmp_nlt_f32_e32 vcc, s6, v4
	v_cndmask_b32_e32 v1, v2, v1, vcc
	v_add_f32_e32 v0, v0, v1
	v_cmp_eq_u32_e32 vcc, 0, v7
	s_nop 0
	v_mov_b32_dpp v1, v0 quad_perm:[1,0,3,2] row_mask:0xf bank_mask:0xf
	v_add_f32_e32 v0, v0, v1
	s_nop 1
	v_mov_b32_dpp v1, v0 quad_perm:[2,3,0,1] row_mask:0xf bank_mask:0xf
	v_add_f32_e32 v0, v0, v1
	s_nop 1
	v_mov_b32_dpp v1, v0 row_half_mirror row_mask:0xf bank_mask:0xf
	v_add_f32_e32 v0, v0, v1
	s_nop 1
	v_mov_b32_dpp v1, v0 row_mirror row_mask:0xf bank_mask:0xf
	s_and_b64 exec, exec, vcc
	s_cbranch_execz .LBB299_30
; %bb.18:
	v_add_f32_e32 v0, v0, v1
	v_add_f32_e32 v0, v8, v0
	v_cmp_neq_f32_e32 vcc, 0, v0
	s_and_b64 exec, exec, vcc
	s_cbranch_execz .LBB299_30
; %bb.19:
	s_andn2_b64 vcc, exec, s[10:11]
	s_cbranch_vccnz .LBB299_30
; %bb.20:
	v_div_scale_f32 v1, s[4:5], v0, v0, 1.0
	v_rcp_f32_e32 v2, v1
	v_div_scale_f32 v3, vcc, 1.0, v0, 1.0
	s_cmp_gt_u32 s12, 3
	v_fma_f32 v4, -v1, v2, 1.0
	v_fmac_f32_e32 v2, v4, v2
	v_mul_f32_e32 v4, v3, v2
	v_fma_f32 v5, -v1, v4, v3
	v_fmac_f32_e32 v4, v5, v2
	v_fma_f32 v1, -v1, v4, v3
	v_div_fmas_f32 v1, v1, v2, v4
	v_mul_lo_u32 v2, v6, s15
	v_div_fixup_f32 v0, v1, v0, 1.0
	v_ashrrev_i32_e32 v3, 31, v2
	s_cbranch_scc0 .LBB299_24
; %bb.21:
	v_lshlrev_b64 v[4:5], 2, v[2:3]
	v_mov_b32_e32 v6, s21
	v_add_co_u32_e32 v4, vcc, s20, v4
	v_addc_co_u32_e32 v5, vcc, v5, v6, vcc
	s_and_b32 s8, s12, 0x7ffffffc
	v_add_co_u32_e32 v4, vcc, 8, v4
	v_mov_b32_e32 v1, v0
	v_addc_co_u32_e32 v5, vcc, 0, v5, vcc
	s_mov_b32 s4, s8
.LBB299_22:                             ; =>This Inner Loop Header: Depth=1
	global_load_dwordx4 v[6:9], v[4:5], off offset:-8
	s_add_i32 s4, s4, -4
	s_cmp_lg_u32 s4, 0
	s_waitcnt vmcnt(0)
	v_pk_mul_f32 v[6:7], v[0:1], v[6:7]
	v_pk_mul_f32 v[8:9], v[0:1], v[8:9]
	global_store_dwordx4 v[4:5], v[6:9], off offset:-8
	v_add_co_u32_e32 v4, vcc, 16, v4
	v_addc_co_u32_e32 v5, vcc, 0, v5, vcc
	s_cbranch_scc1 .LBB299_22
; %bb.23:
	s_cmp_lg_u32 s8, s12
	s_mov_b64 s[6:7], 0
	s_cselect_b64 s[4:5], -1, 0
	s_branch .LBB299_25
.LBB299_24:
	s_mov_b64 s[6:7], -1
	s_mov_b64 s[4:5], 0
                                        ; implicit-def: $sgpr8
.LBB299_25:
	s_and_b64 vcc, exec, s[6:7]
	s_cbranch_vccz .LBB299_27
; %bb.26:
	s_mov_b64 s[4:5], -1
	s_mov_b32 s8, 0
.LBB299_27:
	s_andn2_b64 vcc, exec, s[4:5]
	s_cbranch_vccnz .LBB299_30
; %bb.28:
	v_add_co_u32_e32 v2, vcc, s8, v2
	v_addc_co_u32_e32 v3, vcc, 0, v3, vcc
	v_lshlrev_b64 v[2:3], 2, v[2:3]
	v_mov_b32_e32 v1, s21
	v_add_co_u32_e32 v2, vcc, s20, v2
	s_sub_i32 s4, s12, s8
	v_addc_co_u32_e32 v3, vcc, v1, v3, vcc
.LBB299_29:                             ; =>This Inner Loop Header: Depth=1
	global_load_dword v1, v[2:3], off
	s_add_i32 s4, s4, -1
	s_cmp_lg_u32 s4, 0
	s_waitcnt vmcnt(0)
	v_mul_f32_e32 v1, v0, v1
	global_store_dword v[2:3], v1, off
	v_add_co_u32_e32 v2, vcc, 4, v2
	v_addc_co_u32_e32 v3, vcc, 0, v3, vcc
	s_cbranch_scc1 .LBB299_29
.LBB299_30:
	s_endpgm
	.section	.rodata,"a",@progbits
	.p2align	6, 0x0
	.amdhsa_kernel _ZN4vllm3moe17topkGatingSoftmaxItLi32ELi512ELi2ELi64ELb0ELi0ELNS0_23SharedExpertScoringFuncE0EEEvPKT_PKbPfiPiS9_iiiiii
		.amdhsa_group_segment_fixed_size 0
		.amdhsa_private_segment_fixed_size 144
		.amdhsa_kernarg_size 72
		.amdhsa_user_sgpr_count 8
		.amdhsa_user_sgpr_private_segment_buffer 1
		.amdhsa_user_sgpr_dispatch_ptr 0
		.amdhsa_user_sgpr_queue_ptr 0
		.amdhsa_user_sgpr_kernarg_segment_ptr 1
		.amdhsa_user_sgpr_dispatch_id 0
		.amdhsa_user_sgpr_flat_scratch_init 1
		.amdhsa_user_sgpr_kernarg_preload_length 0
		.amdhsa_user_sgpr_kernarg_preload_offset 0
		.amdhsa_user_sgpr_private_segment_size 0
		.amdhsa_uses_dynamic_stack 0
		.amdhsa_system_sgpr_private_segment_wavefront_offset 1
		.amdhsa_system_sgpr_workgroup_id_x 1
		.amdhsa_system_sgpr_workgroup_id_y 0
		.amdhsa_system_sgpr_workgroup_id_z 0
		.amdhsa_system_sgpr_workgroup_info 0
		.amdhsa_system_vgpr_workitem_id 1
		.amdhsa_next_free_vgpr 61
		.amdhsa_next_free_sgpr 29
		.amdhsa_accum_offset 64
		.amdhsa_reserve_vcc 1
		.amdhsa_reserve_flat_scratch 0
		.amdhsa_float_round_mode_32 0
		.amdhsa_float_round_mode_16_64 0
		.amdhsa_float_denorm_mode_32 3
		.amdhsa_float_denorm_mode_16_64 3
		.amdhsa_dx10_clamp 1
		.amdhsa_ieee_mode 1
		.amdhsa_fp16_overflow 0
		.amdhsa_tg_split 0
		.amdhsa_exception_fp_ieee_invalid_op 0
		.amdhsa_exception_fp_denorm_src 0
		.amdhsa_exception_fp_ieee_div_zero 0
		.amdhsa_exception_fp_ieee_overflow 0
		.amdhsa_exception_fp_ieee_underflow 0
		.amdhsa_exception_fp_ieee_inexact 0
		.amdhsa_exception_int_div_zero 0
	.end_amdhsa_kernel
	.section	.text._ZN4vllm3moe17topkGatingSoftmaxItLi32ELi512ELi2ELi64ELb0ELi0ELNS0_23SharedExpertScoringFuncE0EEEvPKT_PKbPfiPiS9_iiiiii,"axG",@progbits,_ZN4vllm3moe17topkGatingSoftmaxItLi32ELi512ELi2ELi64ELb0ELi0ELNS0_23SharedExpertScoringFuncE0EEEvPKT_PKbPfiPiS9_iiiiii,comdat
.Lfunc_end299:
	.size	_ZN4vllm3moe17topkGatingSoftmaxItLi32ELi512ELi2ELi64ELb0ELi0ELNS0_23SharedExpertScoringFuncE0EEEvPKT_PKbPfiPiS9_iiiiii, .Lfunc_end299-_ZN4vllm3moe17topkGatingSoftmaxItLi32ELi512ELi2ELi64ELb0ELi0ELNS0_23SharedExpertScoringFuncE0EEEvPKT_PKbPfiPiS9_iiiiii
                                        ; -- End function
	.section	.AMDGPU.csdata,"",@progbits
; Kernel info:
; codeLenInByte = 7312
; NumSgprs: 33
; NumVgprs: 61
; NumAgprs: 0
; TotalNumVgprs: 61
; ScratchSize: 144
; MemoryBound: 0
; FloatMode: 240
; IeeeMode: 1
; LDSByteSize: 0 bytes/workgroup (compile time only)
; SGPRBlocks: 4
; VGPRBlocks: 7
; NumSGPRsForWavesPerEU: 33
; NumVGPRsForWavesPerEU: 61
; AccumOffset: 64
; Occupancy: 8
; WaveLimiterHint : 0
; COMPUTE_PGM_RSRC2:SCRATCH_EN: 1
; COMPUTE_PGM_RSRC2:USER_SGPR: 8
; COMPUTE_PGM_RSRC2:TRAP_HANDLER: 0
; COMPUTE_PGM_RSRC2:TGID_X_EN: 1
; COMPUTE_PGM_RSRC2:TGID_Y_EN: 0
; COMPUTE_PGM_RSRC2:TGID_Z_EN: 0
; COMPUTE_PGM_RSRC2:TIDIG_COMP_CNT: 1
; COMPUTE_PGM_RSRC3_GFX90A:ACCUM_OFFSET: 15
; COMPUTE_PGM_RSRC3_GFX90A:TG_SPLIT: 0
	.section	.text._ZN4vllm3moe17topkGatingSoftmaxItLi32ELi512ELi2ELi64ELb1ELi1ELNS0_23SharedExpertScoringFuncE1EEEvPKT_PKbPfiPiS9_iiiiii,"axG",@progbits,_ZN4vllm3moe17topkGatingSoftmaxItLi32ELi512ELi2ELi64ELb1ELi1ELNS0_23SharedExpertScoringFuncE1EEEvPKT_PKbPfiPiS9_iiiiii,comdat
	.protected	_ZN4vllm3moe17topkGatingSoftmaxItLi32ELi512ELi2ELi64ELb1ELi1ELNS0_23SharedExpertScoringFuncE1EEEvPKT_PKbPfiPiS9_iiiiii ; -- Begin function _ZN4vllm3moe17topkGatingSoftmaxItLi32ELi512ELi2ELi64ELb1ELi1ELNS0_23SharedExpertScoringFuncE1EEEvPKT_PKbPfiPiS9_iiiiii
	.globl	_ZN4vllm3moe17topkGatingSoftmaxItLi32ELi512ELi2ELi64ELb1ELi1ELNS0_23SharedExpertScoringFuncE1EEEvPKT_PKbPfiPiS9_iiiiii
	.p2align	8
	.type	_ZN4vllm3moe17topkGatingSoftmaxItLi32ELi512ELi2ELi64ELb1ELi1ELNS0_23SharedExpertScoringFuncE1EEEvPKT_PKbPfiPiS9_iiiiii,@function
_ZN4vllm3moe17topkGatingSoftmaxItLi32ELi512ELi2ELi64ELb1ELi1ELNS0_23SharedExpertScoringFuncE1EEEvPKT_PKbPfiPiS9_iiiiii: ; @_ZN4vllm3moe17topkGatingSoftmaxItLi32ELi512ELi2ELi64ELb1ELi1ELNS0_23SharedExpertScoringFuncE1EEEvPKT_PKbPfiPiS9_iiiiii
; %bb.0:
	s_load_dword s28, s[4:5], 0x18
	s_add_u32 s0, s0, s9
	v_bfe_u32 v1, v0, 10, 10
	v_and_b32_e32 v2, 0x3ff, v0
	s_addc_u32 s1, s1, 0
	s_lshl_b32 s29, s8, 3
	v_lshlrev_b32_e32 v41, 2, v1
	v_lshrrev_b32_e32 v42, 4, v2
	v_add3_u32 v6, s29, v41, v42
	s_waitcnt lgkmcnt(0)
	v_cmp_gt_i32_e32 vcc, s28, v6
	s_and_saveexec_b64 s[6:7], vcc
	s_cbranch_execz .LBB300_29
; %bb.1:
	s_load_dwordx4 s[8:11], s[4:5], 0x0
	s_load_dwordx2 s[20:21], s[4:5], 0x10
	s_waitcnt lgkmcnt(0)
	s_cmp_eq_u64 s[10:11], 0
	s_cbranch_scc1 .LBB300_3
; %bb.2:
	v_ashrrev_i32_e32 v1, 31, v6
	v_mov_b32_e32 v3, s11
	v_add_co_u32_e32 v0, vcc, s10, v6
	v_addc_co_u32_e32 v1, vcc, v3, v1, vcc
	global_load_ubyte v0, v[0:1], off
	s_waitcnt vmcnt(0)
	v_and_b32_e32 v0, 1, v0
	v_cmp_eq_u32_e32 vcc, 1, v0
	s_xor_b64 s[6:7], vcc, -1
	s_orn2_b64 s[22:23], s[6:7], exec
	s_branch .LBB300_4
.LBB300_3:
	s_mov_b64 s[22:23], -1
.LBB300_4:
	s_load_dwordx2 s[26:27], s[4:5], 0x40
	s_load_dwordx4 s[12:15], s[4:5], 0x30
	v_mov_b32_e32 v3, s9
	v_and_b32_e32 v7, 15, v2
	v_lshlrev_b32_e32 v2, 6, v7
	s_waitcnt lgkmcnt(0)
	v_mul_lo_u32 v0, v6, s27
	v_ashrrev_i32_e32 v1, 31, v0
	v_lshlrev_b64 v[0:1], 1, v[0:1]
	v_add_co_u32_e32 v0, vcc, s8, v0
	v_addc_co_u32_e32 v1, vcc, v3, v1, vcc
	v_add_co_u32_e32 v8, vcc, v0, v2
	v_addc_co_u32_e32 v9, vcc, 0, v1, vcc
	global_load_dwordx4 v[2:5], v[8:9], off
	global_load_dwordx4 v[28:31], v[8:9], off offset:16
	global_load_dwordx4 v[32:35], v[8:9], off offset:32
	;; [unrolled: 1-line block ×3, first 2 shown]
	v_mov_b32_e32 v8, 0
	v_lshlrev_b32_e32 v9, 5, v7
	v_cmp_eq_u32_e64 s[6:7], 0, v7
	s_waitcnt vmcnt(3)
	v_cvt_f32_u32_sdwa v11, v2 dst_sel:DWORD dst_unused:UNUSED_PAD src0_sel:WORD_1
	v_cvt_f32_u32_sdwa v27, v2 dst_sel:DWORD dst_unused:UNUSED_PAD src0_sel:WORD_0
	v_cvt_f32_u32_sdwa v13, v3 dst_sel:DWORD dst_unused:UNUSED_PAD src0_sel:WORD_1
	v_cvt_f32_u32_sdwa v12, v3 dst_sel:DWORD dst_unused:UNUSED_PAD src0_sel:WORD_0
	v_cvt_f32_u32_sdwa v15, v4 dst_sel:DWORD dst_unused:UNUSED_PAD src0_sel:WORD_1
	v_cvt_f32_u32_sdwa v14, v4 dst_sel:DWORD dst_unused:UNUSED_PAD src0_sel:WORD_0
	v_cvt_f32_u32_sdwa v17, v5 dst_sel:DWORD dst_unused:UNUSED_PAD src0_sel:WORD_1
	v_cvt_f32_u32_sdwa v16, v5 dst_sel:DWORD dst_unused:UNUSED_PAD src0_sel:WORD_0
	s_waitcnt vmcnt(2)
	v_cvt_f32_u32_sdwa v19, v28 dst_sel:DWORD dst_unused:UNUSED_PAD src0_sel:WORD_1
	v_cvt_f32_u32_sdwa v18, v28 dst_sel:DWORD dst_unused:UNUSED_PAD src0_sel:WORD_0
	v_cvt_f32_u32_sdwa v21, v29 dst_sel:DWORD dst_unused:UNUSED_PAD src0_sel:WORD_1
	v_cvt_f32_u32_sdwa v20, v29 dst_sel:DWORD dst_unused:UNUSED_PAD src0_sel:WORD_0
	v_cvt_f32_u32_sdwa v23, v30 dst_sel:DWORD dst_unused:UNUSED_PAD src0_sel:WORD_1
	v_cvt_f32_u32_sdwa v22, v30 dst_sel:DWORD dst_unused:UNUSED_PAD src0_sel:WORD_0
	v_cvt_f32_u32_sdwa v25, v31 dst_sel:DWORD dst_unused:UNUSED_PAD src0_sel:WORD_1
	v_cvt_f32_u32_sdwa v24, v31 dst_sel:DWORD dst_unused:UNUSED_PAD src0_sel:WORD_0
	s_waitcnt vmcnt(1)
	v_cvt_f32_u32_sdwa v5, v32 dst_sel:DWORD dst_unused:UNUSED_PAD src0_sel:WORD_1
	v_cvt_f32_u32_sdwa v26, v32 dst_sel:DWORD dst_unused:UNUSED_PAD src0_sel:WORD_0
	v_cvt_f32_u32_sdwa v3, v33 dst_sel:DWORD dst_unused:UNUSED_PAD src0_sel:WORD_1
	v_cvt_f32_u32_sdwa v4, v33 dst_sel:DWORD dst_unused:UNUSED_PAD src0_sel:WORD_0
	;; [unrolled: 2-line block ×3, first 2 shown]
	s_waitcnt vmcnt(0)
	v_cvt_f32_u32_sdwa v34, v39 dst_sel:DWORD dst_unused:UNUSED_PAD src0_sel:WORD_1
	v_cvt_f32_u32_sdwa v28, v35 dst_sel:DWORD dst_unused:UNUSED_PAD src0_sel:WORD_0
	v_cvt_f32_u32_sdwa v29, v35 dst_sel:DWORD dst_unused:UNUSED_PAD src0_sel:WORD_1
	v_cvt_f32_u32_sdwa v35, v39 dst_sel:DWORD dst_unused:UNUSED_PAD src0_sel:WORD_0
	v_cvt_f32_u32_sdwa v30, v36 dst_sel:DWORD dst_unused:UNUSED_PAD src0_sel:WORD_0
	v_cvt_f32_u32_sdwa v31, v36 dst_sel:DWORD dst_unused:UNUSED_PAD src0_sel:WORD_1
	v_cvt_f32_u32_sdwa v36, v38 dst_sel:DWORD dst_unused:UNUSED_PAD src0_sel:WORD_1
	v_cvt_f32_u32_sdwa v32, v37 dst_sel:DWORD dst_unused:UNUSED_PAD src0_sel:WORD_0
	v_cvt_f32_u32_sdwa v33, v37 dst_sel:DWORD dst_unused:UNUSED_PAD src0_sel:WORD_1
	v_cvt_f32_u32_sdwa v37, v38 dst_sel:DWORD dst_unused:UNUSED_PAD src0_sel:WORD_0
	buffer_store_dword v34, off, s[0:3], 0 offset:124
	buffer_store_dword v35, off, s[0:3], 0 offset:120
	;; [unrolled: 1-line block ×31, first 2 shown]
	buffer_store_dword v27, off, s[0:3], 0
	s_and_saveexec_b64 s[8:9], s[6:7]
	s_cbranch_execz .LBB300_6
; %bb.5:
	global_load_ushort v0, v[0:1], off offset:1024
	s_mov_b32 s10, 0xbfb8aa3b
	s_mov_b32 s11, 0x42ce8ed0
	;; [unrolled: 1-line block ×3, first 2 shown]
	v_mov_b32_e32 v28, 0x7f800000
	v_mov_b32_e32 v31, s21
	s_waitcnt vmcnt(0)
	v_cvt_f32_u32_e32 v10, v0
	v_mul_lo_u32 v0, v6, s15
	v_add_u32_e32 v0, s12, v0
	v_mul_f32_e32 v1, 0xbfb8aa3b, v10
	v_rndne_f32_e32 v29, v1
	v_fma_f32 v30, v10, s10, -v1
	v_sub_f32_e32 v1, v1, v29
	v_fmac_f32_e32 v30, 0xb2a5705f, v10
	v_add_f32_e32 v1, v1, v30
	v_cvt_i32_f32_e32 v29, v29
	v_exp_f32_e32 v30, v1
	v_cmp_nlt_f32_e32 vcc, s11, v10
	v_ashrrev_i32_e32 v1, 31, v0
	v_lshlrev_b64 v[0:1], 2, v[0:1]
	v_ldexp_f32 v29, v30, v29
	v_cndmask_b32_e32 v29, 0, v29, vcc
	v_cmp_ngt_f32_e32 vcc, s16, v10
	v_cndmask_b32_e32 v10, v28, v29, vcc
	v_add_f32_e32 v10, 1.0, v10
	v_div_scale_f32 v28, s[10:11], v10, v10, 1.0
	v_rcp_f32_e32 v29, v28
	v_div_scale_f32 v30, vcc, 1.0, v10, 1.0
	v_fma_f32 v32, -v28, v29, 1.0
	v_fmac_f32_e32 v29, v32, v29
	v_mul_f32_e32 v32, v30, v29
	v_fma_f32 v33, -v28, v32, v30
	v_fmac_f32_e32 v32, v33, v29
	v_fma_f32 v28, -v28, v32, v30
	v_div_fmas_f32 v28, v28, v29, v32
	v_add_co_u32_e32 v0, vcc, s20, v0
	v_div_fixup_f32 v10, v28, v10, 1.0
	v_addc_co_u32_e32 v1, vcc, v31, v1, vcc
	global_store_dword v[0:1], v10, off
.LBB300_6:
	s_or_b64 exec, exec, s[8:9]
	buffer_load_dword v31, off, s[0:3], 0 offset:84
	buffer_load_dword v32, off, s[0:3], 0 offset:88
	;; [unrolled: 1-line block ×11, first 2 shown]
	v_cmp_lt_f32_e32 vcc, v27, v11
	v_or_b32_e32 v10, 1, v9
	v_cndmask_b32_e32 v1, v27, v11, vcc
	v_cndmask_b32_e32 v0, v9, v10, vcc
	v_cmp_lt_f32_e32 vcc, v1, v12
	v_or_b32_e32 v11, 2, v9
	v_cndmask_b32_e32 v1, v1, v12, vcc
	v_cndmask_b32_e32 v0, v0, v11, vcc
	;; [unrolled: 4-line block ×20, first 2 shown]
	s_waitcnt vmcnt(10)
	v_cmp_lt_f32_e32 vcc, v1, v31
	v_or_b32_e32 v30, 21, v9
	v_cndmask_b32_e32 v1, v1, v31, vcc
	v_cndmask_b32_e32 v0, v0, v30, vcc
	s_waitcnt vmcnt(9)
	v_cmp_lt_f32_e32 vcc, v1, v32
	v_or_b32_e32 v31, 22, v9
	v_cndmask_b32_e32 v1, v1, v32, vcc
	v_cndmask_b32_e32 v0, v0, v31, vcc
	;; [unrolled: 5-line block ×10, first 2 shown]
	v_or_b32_e32 v40, 31, v9
	s_waitcnt vmcnt(0)
	v_cmp_lt_f32_e32 vcc, v1, v43
	v_cndmask_b32_e32 v0, v0, v40, vcc
	v_cndmask_b32_e32 v1, v1, v43, vcc
	s_nop 0
	v_mov_b32_dpp v2, v0 quad_perm:[1,0,3,2] row_mask:0xf bank_mask:0xf
	v_mov_b32_dpp v3, v1 quad_perm:[1,0,3,2] row_mask:0xf bank_mask:0xf
	v_cmp_eq_f32_e64 s[8:9], v1, v3
	v_cmp_lt_i32_e64 s[10:11], v2, v0
	v_cmp_lt_f32_e32 vcc, v1, v3
	s_and_b64 s[8:9], s[8:9], s[10:11]
	s_or_b64 vcc, vcc, s[8:9]
	v_cndmask_b32_e32 v1, v1, v3, vcc
	v_cndmask_b32_e32 v0, v0, v2, vcc
	s_nop 0
	v_mov_b32_dpp v3, v1 quad_perm:[2,3,0,1] row_mask:0xf bank_mask:0xf
	v_mov_b32_dpp v2, v0 quad_perm:[2,3,0,1] row_mask:0xf bank_mask:0xf
	v_cmp_eq_f32_e64 s[8:9], v1, v3
	v_cmp_lt_i32_e64 s[10:11], v2, v0
	v_cmp_lt_f32_e32 vcc, v1, v3
	s_and_b64 s[8:9], s[8:9], s[10:11]
	s_or_b64 vcc, vcc, s[8:9]
	v_cndmask_b32_e32 v1, v1, v3, vcc
	v_cndmask_b32_e32 v2, v0, v2, vcc
	s_nop 0
	v_mov_b32_dpp v0, v1 row_half_mirror row_mask:0xf bank_mask:0xf
	v_mov_b32_dpp v3, v2 row_half_mirror row_mask:0xf bank_mask:0xf
	v_cmp_eq_f32_e64 s[8:9], v1, v0
	v_cmp_lt_i32_e64 s[10:11], v3, v2
	v_cmp_lt_f32_e32 vcc, v1, v0
	s_and_b64 s[8:9], s[8:9], s[10:11]
	s_or_b64 vcc, vcc, s[8:9]
	s_cmp_gt_i32 s12, 0
	v_cndmask_b32_e32 v0, v1, v0, vcc
	v_cndmask_b32_e32 v1, v2, v3, vcc
	s_cselect_b64 s[24:25], -1, 0
	v_mov_b32_dpp v3, v0 row_mirror row_mask:0xf bank_mask:0xf
	v_mov_b32_dpp v2, v1 row_mirror row_mask:0xf bank_mask:0xf
	s_and_b64 vcc, exec, s[24:25]
	s_cbranch_vccz .LBB300_18
; %bb.7:
	s_load_dwordx4 s[16:19], s[4:5], 0x20
	v_cmp_eq_f32_e64 s[8:9], v0, v3
	v_cmp_lt_i32_e64 s[10:11], v2, v1
	v_cmp_lt_f32_e32 vcc, v0, v3
	s_and_b64 s[8:9], s[8:9], s[10:11]
	s_or_b64 vcc, vcc, s[8:9]
	v_cndmask_b32_e32 v44, v1, v2, vcc
	v_cndmask_b32_e32 v43, v0, v3, vcc
	v_mul_lo_u32 v4, v6, s15
	v_mul_lo_u32 v2, v6, s26
	;; [unrolled: 1-line block ×3, first 2 shown]
	v_mov_b32_e32 v8, 0
	s_and_saveexec_b64 s[8:9], s[6:7]
	s_cbranch_execz .LBB300_9
; %bb.8:
	v_sub_f32_e32 v1, v43, v43
	v_mul_f32_e32 v3, 0x3fb8aa3b, v1
	s_mov_b32 s4, 0x3fb8aa3b
	v_rndne_f32_e32 v5, v3
	v_sub_f32_e32 v8, v3, v5
	v_fma_f32 v3, v1, s4, -v3
	v_fmac_f32_e32 v3, 0x32a5705f, v1
	v_add_f32_e32 v3, v8, v3
	v_exp_f32_e32 v3, v3
	v_cvt_i32_f32_e32 v5, v5
	v_cmp_le_i32_e32 vcc, s13, v44
	v_cmp_gt_i32_e64 s[4:5], s14, v44
	s_mov_b32 s10, 0xc2ce8ed0
	s_and_b64 s[4:5], vcc, s[4:5]
	v_ldexp_f32 v3, v3, v5
	v_cmp_ngt_f32_e32 vcc, s10, v1
	s_mov_b32 s10, 0x42b17218
	v_cndmask_b32_e32 v3, 0, v3, vcc
	v_mov_b32_e32 v5, 0x7f800000
	v_cmp_nlt_f32_e32 vcc, s10, v1
	v_cndmask_b32_e32 v8, v5, v3, vcc
	v_ashrrev_i32_e32 v5, 31, v4
	v_lshlrev_b64 v[46:47], 2, v[4:5]
	v_mov_b32_e32 v1, s21
	v_add_co_u32_e32 v46, vcc, s20, v46
	v_addc_co_u32_e32 v47, vcc, v1, v47, vcc
	v_subrev_u32_e32 v1, s13, v44
	v_mov_b32_e32 v3, 0x200
	s_and_b64 vcc, s[22:23], s[4:5]
	v_cndmask_b32_e32 v1, v3, v1, vcc
	v_ashrrev_i32_e32 v3, 31, v2
	global_store_dword v[46:47], v8, off
	v_lshlrev_b64 v[46:47], 2, v[2:3]
	s_waitcnt lgkmcnt(0)
	v_mov_b32_e32 v3, s17
	v_add_co_u32_e32 v46, vcc, s16, v46
	v_addc_co_u32_e32 v47, vcc, v3, v47, vcc
	global_store_dword v[46:47], v1, off
	v_ashrrev_i32_e32 v1, 31, v0
	v_lshlrev_b64 v[46:47], 2, v[0:1]
	v_mov_b32_e32 v1, s19
	v_add_co_u32_e32 v46, vcc, s18, v46
	v_addc_co_u32_e32 v47, vcc, v1, v47, vcc
	global_store_dword v[46:47], v6, off
.LBB300_9:
	s_or_b64 exec, exec, s[8:9]
	v_ashrrev_i32_e32 v3, 31, v44
	v_lshrrev_b32_e32 v1, 27, v3
	v_add_u32_e32 v1, v44, v1
	v_ashrrev_i32_e32 v1, 5, v1
	v_lshrrev_b32_e32 v5, 28, v1
	v_add_u32_e32 v5, v1, v5
	v_and_b32_e32 v5, -16, v5
	v_sub_u32_e32 v5, v1, v5
	v_cmp_eq_u32_e32 vcc, v7, v5
	s_and_saveexec_b64 s[4:5], vcc
	s_cbranch_execz .LBB300_11
; %bb.10:
	v_lshrrev_b32_e32 v3, 23, v3
	v_add_u32_e32 v3, v44, v3
	v_lshlrev_b32_e32 v1, 5, v1
	v_ashrrev_i32_e32 v3, 9, v3
	v_sub_u32_e32 v1, v44, v1
	v_lshl_add_u32 v1, v3, 5, v1
	v_mov_b32_e32 v3, 0
	v_lshl_add_u32 v1, v1, 2, v3
	v_mov_b32_e32 v3, 0xff800000
	buffer_store_dword v3, v1, s[0:3], 0 offen
.LBB300_11:
	s_or_b64 exec, exec, s[4:5]
	s_cmp_eq_u32 s12, 1
	s_cbranch_scc1 .LBB300_18
; %bb.12:
	s_add_i32 s29, s29, s28
	s_add_i32 s10, s12, -1
	v_add3_u32 v41, s29, v42, v41
	v_add_u32_e32 v0, 1, v0
	v_add_u32_e32 v2, 1, v2
	;; [unrolled: 1-line block ×3, first 2 shown]
	s_mov_b32 s11, 0x3fb8aa3b
	s_mov_b32 s26, 0xc2ce8ed0
	;; [unrolled: 1-line block ×3, first 2 shown]
	v_mov_b32_e32 v42, 0
	v_mov_b32_e32 v44, 0xff800000
	;; [unrolled: 1-line block ×4, first 2 shown]
	s_branch .LBB300_14
.LBB300_13:                             ;   in Loop: Header=BB300_14 Depth=1
	s_or_b64 exec, exec, s[4:5]
	s_add_i32 s10, s10, -1
	v_add_u32_e32 v41, s28, v41
	v_add_u32_e32 v0, 1, v0
	;; [unrolled: 1-line block ×3, first 2 shown]
	s_cmp_eq_u32 s10, 0
	v_add_u32_e32 v4, 1, v4
	s_cbranch_scc1 .LBB300_18
.LBB300_14:                             ; =>This Inner Loop Header: Depth=1
	buffer_load_dword v1, off, s[0:3], 0
	buffer_load_dword v3, off, s[0:3], 0 offset:4
	buffer_load_dword v5, off, s[0:3], 0 offset:8
	;; [unrolled: 1-line block ×15, first 2 shown]
	s_waitcnt vmcnt(14)
	v_cmp_gt_f32_e32 vcc, v3, v1
	v_cndmask_b32_e32 v1, v1, v3, vcc
	v_cndmask_b32_e32 v60, v9, v10, vcc
	s_waitcnt vmcnt(13)
	v_cmp_gt_f32_e32 vcc, v5, v1
	v_cndmask_b32_e32 v1, v1, v5, vcc
	buffer_load_dword v5, off, s[0:3], 0 offset:64
	v_cndmask_b32_e32 v3, v60, v11, vcc
	s_waitcnt vmcnt(13)
	v_cmp_gt_f32_e32 vcc, v47, v1
	v_cndmask_b32_e32 v1, v1, v47, vcc
	v_cndmask_b32_e32 v3, v3, v12, vcc
	s_waitcnt vmcnt(12)
	v_cmp_gt_f32_e32 vcc, v48, v1
	v_cndmask_b32_e32 v1, v1, v48, vcc
	;; [unrolled: 4-line block ×14, first 2 shown]
	buffer_load_dword v5, off, s[0:3], 0 offset:68
	v_cndmask_b32_e32 v3, v3, v25, vcc
	s_waitcnt vmcnt(0)
	v_cmp_gt_f32_e32 vcc, v5, v1
	v_cndmask_b32_e32 v1, v1, v5, vcc
	buffer_load_dword v5, off, s[0:3], 0 offset:72
	v_cndmask_b32_e32 v3, v3, v26, vcc
	s_waitcnt vmcnt(0)
	v_cmp_gt_f32_e32 vcc, v5, v1
	v_cndmask_b32_e32 v1, v1, v5, vcc
	;; [unrolled: 5-line block ×15, first 2 shown]
	v_cndmask_b32_e32 v1, v1, v5, vcc
	s_nop 0
	v_mov_b32_dpp v5, v3 quad_perm:[1,0,3,2] row_mask:0xf bank_mask:0xf
	v_mov_b32_dpp v47, v1 quad_perm:[1,0,3,2] row_mask:0xf bank_mask:0xf
	v_cmp_eq_f32_e64 s[4:5], v1, v47
	v_cmp_lt_i32_e64 s[8:9], v5, v3
	v_cmp_lt_f32_e32 vcc, v1, v47
	s_and_b64 s[4:5], s[4:5], s[8:9]
	s_or_b64 vcc, vcc, s[4:5]
	v_cndmask_b32_e32 v1, v1, v47, vcc
	v_cndmask_b32_e32 v3, v3, v5, vcc
	s_nop 0
	v_mov_b32_dpp v47, v1 quad_perm:[2,3,0,1] row_mask:0xf bank_mask:0xf
	v_mov_b32_dpp v5, v3 quad_perm:[2,3,0,1] row_mask:0xf bank_mask:0xf
	v_cmp_eq_f32_e64 s[4:5], v1, v47
	v_cmp_lt_i32_e64 s[8:9], v5, v3
	v_cmp_lt_f32_e32 vcc, v1, v47
	s_and_b64 s[4:5], s[4:5], s[8:9]
	s_or_b64 vcc, vcc, s[4:5]
	v_cndmask_b32_e32 v1, v1, v47, vcc
	v_cndmask_b32_e32 v3, v3, v5, vcc
	s_nop 0
	v_mov_b32_dpp v47, v1 row_half_mirror row_mask:0xf bank_mask:0xf
	v_mov_b32_dpp v5, v3 row_half_mirror row_mask:0xf bank_mask:0xf
	v_cmp_eq_f32_e64 s[4:5], v1, v47
	v_cmp_lt_i32_e64 s[8:9], v5, v3
	v_cmp_lt_f32_e32 vcc, v1, v47
	s_and_b64 s[4:5], s[4:5], s[8:9]
	s_or_b64 vcc, vcc, s[4:5]
	v_cndmask_b32_e32 v1, v1, v47, vcc
	v_cndmask_b32_e32 v5, v3, v5, vcc
	s_nop 0
	v_mov_b32_dpp v3, v1 row_mirror row_mask:0xf bank_mask:0xf
	v_mov_b32_dpp v47, v5 row_mirror row_mask:0xf bank_mask:0xf
	v_cmp_eq_f32_e64 s[4:5], v1, v3
	v_cmp_lt_i32_e64 s[8:9], v47, v5
	v_cmp_lt_f32_e32 vcc, v1, v3
	s_and_b64 s[4:5], s[4:5], s[8:9]
	s_or_b64 vcc, vcc, s[4:5]
	v_cndmask_b32_e32 v47, v5, v47, vcc
	s_and_saveexec_b64 s[8:9], s[6:7]
	s_cbranch_execz .LBB300_16
; %bb.15:                               ;   in Loop: Header=BB300_14 Depth=1
	v_cndmask_b32_e32 v1, v1, v3, vcc
	v_sub_f32_e32 v1, v1, v43
	v_mul_f32_e32 v3, 0x3fb8aa3b, v1
	v_fma_f32 v5, v1, s11, -v3
	v_rndne_f32_e32 v48, v3
	v_fmac_f32_e32 v5, 0x32a5705f, v1
	v_sub_f32_e32 v3, v3, v48
	v_add_f32_e32 v3, v3, v5
	v_exp_f32_e32 v3, v3
	v_cvt_i32_f32_e32 v5, v48
	v_cmp_le_i32_e32 vcc, s13, v47
	v_cmp_gt_i32_e64 s[4:5], s14, v47
	s_and_b64 s[4:5], vcc, s[4:5]
	v_ldexp_f32 v3, v3, v5
	v_cmp_ngt_f32_e32 vcc, s26, v1
	v_ashrrev_i32_e32 v5, 31, v4
	v_cndmask_b32_e32 v3, 0, v3, vcc
	v_cmp_nlt_f32_e32 vcc, s27, v1
	v_lshlrev_b64 v[48:49], 2, v[4:5]
	v_cndmask_b32_e32 v50, v45, v3, vcc
	v_mov_b32_e32 v1, s21
	v_add_co_u32_e32 v48, vcc, s20, v48
	v_addc_co_u32_e32 v49, vcc, v1, v49, vcc
	v_ashrrev_i32_e32 v3, 31, v2
	global_store_dword v[48:49], v50, off
	v_subrev_u32_e32 v1, s13, v47
	s_and_b64 vcc, s[22:23], s[4:5]
	v_lshlrev_b64 v[48:49], 2, v[2:3]
	v_cndmask_b32_e32 v1, v46, v1, vcc
	s_waitcnt lgkmcnt(0)
	v_mov_b32_e32 v3, s17
	v_add_co_u32_e32 v48, vcc, s16, v48
	v_addc_co_u32_e32 v49, vcc, v3, v49, vcc
	global_store_dword v[48:49], v1, off
	v_ashrrev_i32_e32 v1, 31, v0
	v_lshlrev_b64 v[48:49], 2, v[0:1]
	v_mov_b32_e32 v1, s19
	v_add_co_u32_e32 v48, vcc, s18, v48
	v_addc_co_u32_e32 v49, vcc, v1, v49, vcc
	v_add_f32_e32 v8, v8, v50
	global_store_dword v[48:49], v41, off
.LBB300_16:                             ;   in Loop: Header=BB300_14 Depth=1
	s_or_b64 exec, exec, s[8:9]
	v_ashrrev_i32_e32 v3, 31, v47
	v_lshrrev_b32_e32 v1, 27, v3
	v_add_u32_e32 v1, v47, v1
	v_ashrrev_i32_e32 v1, 5, v1
	v_lshrrev_b32_e32 v5, 28, v1
	v_add_u32_e32 v5, v1, v5
	v_and_b32_e32 v5, -16, v5
	v_sub_u32_e32 v5, v1, v5
	v_cmp_eq_u32_e32 vcc, v7, v5
	s_and_saveexec_b64 s[4:5], vcc
	s_cbranch_execz .LBB300_13
; %bb.17:                               ;   in Loop: Header=BB300_14 Depth=1
	v_lshrrev_b32_e32 v3, 23, v3
	v_add_u32_e32 v3, v47, v3
	v_lshlrev_b32_e32 v1, 5, v1
	v_ashrrev_i32_e32 v3, 9, v3
	v_sub_u32_e32 v1, v47, v1
	v_lshl_add_u32 v1, v3, 5, v1
	v_lshl_add_u32 v1, v1, 2, v42
	buffer_store_dword v44, v1, s[0:3], 0 offen
	s_branch .LBB300_13
.LBB300_18:
	v_cmp_neq_f32_e32 vcc, 0, v8
	s_and_b64 s[4:5], s[6:7], vcc
	s_and_b64 exec, exec, s[4:5]
	s_cbranch_execz .LBB300_29
; %bb.19:
	s_andn2_b64 vcc, exec, s[24:25]
	s_cbranch_vccnz .LBB300_29
; %bb.20:
	v_div_scale_f32 v0, s[4:5], v8, v8, 1.0
	v_rcp_f32_e32 v1, v0
	v_div_scale_f32 v2, vcc, 1.0, v8, 1.0
	s_cmp_gt_u32 s12, 3
	v_fma_f32 v3, -v0, v1, 1.0
	v_fmac_f32_e32 v1, v3, v1
	v_mul_f32_e32 v3, v2, v1
	v_fma_f32 v4, -v0, v3, v2
	v_fmac_f32_e32 v3, v4, v1
	v_fma_f32 v0, -v0, v3, v2
	v_div_fmas_f32 v0, v0, v1, v3
	v_mul_lo_u32 v2, v6, s15
	v_div_fixup_f32 v0, v0, v8, 1.0
	v_ashrrev_i32_e32 v3, 31, v2
	s_cbranch_scc0 .LBB300_24
; %bb.21:
	v_lshlrev_b64 v[4:5], 2, v[2:3]
	v_mov_b32_e32 v6, s21
	v_add_co_u32_e32 v4, vcc, s20, v4
	v_addc_co_u32_e32 v5, vcc, v5, v6, vcc
	s_and_b32 s8, s12, 0x7ffffffc
	v_add_co_u32_e32 v4, vcc, 8, v4
	v_mov_b32_e32 v1, v0
	v_addc_co_u32_e32 v5, vcc, 0, v5, vcc
	s_mov_b32 s4, s8
.LBB300_22:                             ; =>This Inner Loop Header: Depth=1
	global_load_dwordx4 v[6:9], v[4:5], off offset:-8
	s_add_i32 s4, s4, -4
	s_cmp_lg_u32 s4, 0
	s_waitcnt vmcnt(0)
	v_pk_mul_f32 v[6:7], v[0:1], v[6:7]
	v_pk_mul_f32 v[8:9], v[0:1], v[8:9]
	global_store_dwordx4 v[4:5], v[6:9], off offset:-8
	v_add_co_u32_e32 v4, vcc, 16, v4
	v_addc_co_u32_e32 v5, vcc, 0, v5, vcc
	s_cbranch_scc1 .LBB300_22
; %bb.23:
	s_cmp_lg_u32 s8, s12
	s_cselect_b64 s[4:5], -1, 0
	s_branch .LBB300_26
.LBB300_24:
	s_mov_b64 s[4:5], 0
                                        ; implicit-def: $sgpr8
	s_cbranch_execz .LBB300_26
; %bb.25:
	s_mov_b64 s[4:5], -1
	s_mov_b32 s8, 0
.LBB300_26:
	s_andn2_b64 vcc, exec, s[4:5]
	s_cbranch_vccnz .LBB300_29
; %bb.27:
	v_add_co_u32_e32 v2, vcc, s8, v2
	v_addc_co_u32_e32 v3, vcc, 0, v3, vcc
	v_lshlrev_b64 v[2:3], 2, v[2:3]
	v_mov_b32_e32 v1, s21
	v_add_co_u32_e32 v2, vcc, s20, v2
	s_sub_i32 s4, s12, s8
	v_addc_co_u32_e32 v3, vcc, v1, v3, vcc
.LBB300_28:                             ; =>This Inner Loop Header: Depth=1
	global_load_dword v1, v[2:3], off
	s_add_i32 s4, s4, -1
	s_cmp_lg_u32 s4, 0
	s_waitcnt vmcnt(0)
	v_mul_f32_e32 v1, v0, v1
	global_store_dword v[2:3], v1, off
	v_add_co_u32_e32 v2, vcc, 4, v2
	v_addc_co_u32_e32 v3, vcc, 0, v3, vcc
	s_cbranch_scc1 .LBB300_28
.LBB300_29:
	s_endpgm
	.section	.rodata,"a",@progbits
	.p2align	6, 0x0
	.amdhsa_kernel _ZN4vllm3moe17topkGatingSoftmaxItLi32ELi512ELi2ELi64ELb1ELi1ELNS0_23SharedExpertScoringFuncE1EEEvPKT_PKbPfiPiS9_iiiiii
		.amdhsa_group_segment_fixed_size 0
		.amdhsa_private_segment_fixed_size 144
		.amdhsa_kernarg_size 72
		.amdhsa_user_sgpr_count 8
		.amdhsa_user_sgpr_private_segment_buffer 1
		.amdhsa_user_sgpr_dispatch_ptr 0
		.amdhsa_user_sgpr_queue_ptr 0
		.amdhsa_user_sgpr_kernarg_segment_ptr 1
		.amdhsa_user_sgpr_dispatch_id 0
		.amdhsa_user_sgpr_flat_scratch_init 1
		.amdhsa_user_sgpr_kernarg_preload_length 0
		.amdhsa_user_sgpr_kernarg_preload_offset 0
		.amdhsa_user_sgpr_private_segment_size 0
		.amdhsa_uses_dynamic_stack 0
		.amdhsa_system_sgpr_private_segment_wavefront_offset 1
		.amdhsa_system_sgpr_workgroup_id_x 1
		.amdhsa_system_sgpr_workgroup_id_y 0
		.amdhsa_system_sgpr_workgroup_id_z 0
		.amdhsa_system_sgpr_workgroup_info 0
		.amdhsa_system_vgpr_workitem_id 1
		.amdhsa_next_free_vgpr 61
		.amdhsa_next_free_sgpr 30
		.amdhsa_accum_offset 64
		.amdhsa_reserve_vcc 1
		.amdhsa_reserve_flat_scratch 0
		.amdhsa_float_round_mode_32 0
		.amdhsa_float_round_mode_16_64 0
		.amdhsa_float_denorm_mode_32 3
		.amdhsa_float_denorm_mode_16_64 3
		.amdhsa_dx10_clamp 1
		.amdhsa_ieee_mode 1
		.amdhsa_fp16_overflow 0
		.amdhsa_tg_split 0
		.amdhsa_exception_fp_ieee_invalid_op 0
		.amdhsa_exception_fp_denorm_src 0
		.amdhsa_exception_fp_ieee_div_zero 0
		.amdhsa_exception_fp_ieee_overflow 0
		.amdhsa_exception_fp_ieee_underflow 0
		.amdhsa_exception_fp_ieee_inexact 0
		.amdhsa_exception_int_div_zero 0
	.end_amdhsa_kernel
	.section	.text._ZN4vllm3moe17topkGatingSoftmaxItLi32ELi512ELi2ELi64ELb1ELi1ELNS0_23SharedExpertScoringFuncE1EEEvPKT_PKbPfiPiS9_iiiiii,"axG",@progbits,_ZN4vllm3moe17topkGatingSoftmaxItLi32ELi512ELi2ELi64ELb1ELi1ELNS0_23SharedExpertScoringFuncE1EEEvPKT_PKbPfiPiS9_iiiiii,comdat
.Lfunc_end300:
	.size	_ZN4vllm3moe17topkGatingSoftmaxItLi32ELi512ELi2ELi64ELb1ELi1ELNS0_23SharedExpertScoringFuncE1EEEvPKT_PKbPfiPiS9_iiiiii, .Lfunc_end300-_ZN4vllm3moe17topkGatingSoftmaxItLi32ELi512ELi2ELi64ELb1ELi1ELNS0_23SharedExpertScoringFuncE1EEEvPKT_PKbPfiPiS9_iiiiii
                                        ; -- End function
	.section	.AMDGPU.csdata,"",@progbits
; Kernel info:
; codeLenInByte = 4036
; NumSgprs: 34
; NumVgprs: 61
; NumAgprs: 0
; TotalNumVgprs: 61
; ScratchSize: 144
; MemoryBound: 0
; FloatMode: 240
; IeeeMode: 1
; LDSByteSize: 0 bytes/workgroup (compile time only)
; SGPRBlocks: 4
; VGPRBlocks: 7
; NumSGPRsForWavesPerEU: 34
; NumVGPRsForWavesPerEU: 61
; AccumOffset: 64
; Occupancy: 8
; WaveLimiterHint : 0
; COMPUTE_PGM_RSRC2:SCRATCH_EN: 1
; COMPUTE_PGM_RSRC2:USER_SGPR: 8
; COMPUTE_PGM_RSRC2:TRAP_HANDLER: 0
; COMPUTE_PGM_RSRC2:TGID_X_EN: 1
; COMPUTE_PGM_RSRC2:TGID_Y_EN: 0
; COMPUTE_PGM_RSRC2:TGID_Z_EN: 0
; COMPUTE_PGM_RSRC2:TIDIG_COMP_CNT: 1
; COMPUTE_PGM_RSRC3_GFX90A:ACCUM_OFFSET: 15
; COMPUTE_PGM_RSRC3_GFX90A:TG_SPLIT: 0
	.section	.text._ZN4vllm3moe17topkGatingSoftmaxItLi32ELi512ELi2ELi64ELb0ELi1ELNS0_23SharedExpertScoringFuncE1EEEvPKT_PKbPfiPiS9_iiiiii,"axG",@progbits,_ZN4vllm3moe17topkGatingSoftmaxItLi32ELi512ELi2ELi64ELb0ELi1ELNS0_23SharedExpertScoringFuncE1EEEvPKT_PKbPfiPiS9_iiiiii,comdat
	.protected	_ZN4vllm3moe17topkGatingSoftmaxItLi32ELi512ELi2ELi64ELb0ELi1ELNS0_23SharedExpertScoringFuncE1EEEvPKT_PKbPfiPiS9_iiiiii ; -- Begin function _ZN4vllm3moe17topkGatingSoftmaxItLi32ELi512ELi2ELi64ELb0ELi1ELNS0_23SharedExpertScoringFuncE1EEEvPKT_PKbPfiPiS9_iiiiii
	.globl	_ZN4vllm3moe17topkGatingSoftmaxItLi32ELi512ELi2ELi64ELb0ELi1ELNS0_23SharedExpertScoringFuncE1EEEvPKT_PKbPfiPiS9_iiiiii
	.p2align	8
	.type	_ZN4vllm3moe17topkGatingSoftmaxItLi32ELi512ELi2ELi64ELb0ELi1ELNS0_23SharedExpertScoringFuncE1EEEvPKT_PKbPfiPiS9_iiiiii,@function
_ZN4vllm3moe17topkGatingSoftmaxItLi32ELi512ELi2ELi64ELb0ELi1ELNS0_23SharedExpertScoringFuncE1EEEvPKT_PKbPfiPiS9_iiiiii: ; @_ZN4vllm3moe17topkGatingSoftmaxItLi32ELi512ELi2ELi64ELb0ELi1ELNS0_23SharedExpertScoringFuncE1EEEvPKT_PKbPfiPiS9_iiiiii
; %bb.0:
	s_load_dword s26, s[4:5], 0x18
	s_add_u32 s0, s0, s9
	v_bfe_u32 v1, v0, 10, 10
	v_and_b32_e32 v2, 0x3ff, v0
	s_addc_u32 s1, s1, 0
	s_lshl_b32 s27, s8, 3
	v_lshlrev_b32_e32 v42, 2, v1
	v_lshrrev_b32_e32 v43, 4, v2
	v_add3_u32 v6, s27, v42, v43
	s_waitcnt lgkmcnt(0)
	v_cmp_gt_i32_e32 vcc, s26, v6
	s_and_saveexec_b64 s[6:7], vcc
	s_cbranch_execz .LBB301_32
; %bb.1:
	s_load_dwordx4 s[8:11], s[4:5], 0x0
	s_load_dwordx2 s[20:21], s[4:5], 0x10
	s_waitcnt lgkmcnt(0)
	s_cmp_eq_u64 s[10:11], 0
	s_cbranch_scc1 .LBB301_3
; %bb.2:
	v_ashrrev_i32_e32 v1, 31, v6
	v_mov_b32_e32 v3, s11
	v_add_co_u32_e32 v0, vcc, s10, v6
	v_addc_co_u32_e32 v1, vcc, v3, v1, vcc
	global_load_ubyte v0, v[0:1], off
	s_waitcnt vmcnt(0)
	v_and_b32_e32 v0, 1, v0
	v_cmp_eq_u32_e32 vcc, 1, v0
	s_xor_b64 s[6:7], vcc, -1
	s_orn2_b64 s[22:23], s[6:7], exec
	s_branch .LBB301_4
.LBB301_3:
	s_mov_b64 s[22:23], -1
.LBB301_4:
	s_load_dwordx2 s[24:25], s[4:5], 0x40
	s_load_dwordx4 s[12:15], s[4:5], 0x30
	v_mov_b32_e32 v3, s9
	v_and_b32_e32 v9, 15, v2
	v_lshlrev_b32_e32 v2, 6, v9
	s_waitcnt lgkmcnt(0)
	v_mul_lo_u32 v0, v6, s25
	v_ashrrev_i32_e32 v1, 31, v0
	v_lshlrev_b64 v[0:1], 1, v[0:1]
	v_add_co_u32_e32 v0, vcc, s8, v0
	v_addc_co_u32_e32 v1, vcc, v3, v1, vcc
	v_add_co_u32_e32 v10, vcc, v0, v2
	v_addc_co_u32_e32 v11, vcc, 0, v1, vcc
	global_load_dwordx4 v[2:5], v[10:11], off
	global_load_dwordx4 v[28:31], v[10:11], off offset:16
	global_load_dwordx4 v[32:35], v[10:11], off offset:32
	;; [unrolled: 1-line block ×3, first 2 shown]
	v_mov_b32_e32 v7, 0
	v_lshlrev_b32_e32 v10, 5, v9
	v_cmp_eq_u32_e64 s[6:7], 0, v9
	s_waitcnt vmcnt(3)
	v_cvt_f32_u32_sdwa v12, v2 dst_sel:DWORD dst_unused:UNUSED_PAD src0_sel:WORD_1
	v_cvt_f32_u32_sdwa v27, v2 dst_sel:DWORD dst_unused:UNUSED_PAD src0_sel:WORD_0
	v_cvt_f32_u32_sdwa v14, v3 dst_sel:DWORD dst_unused:UNUSED_PAD src0_sel:WORD_1
	v_cvt_f32_u32_sdwa v13, v3 dst_sel:DWORD dst_unused:UNUSED_PAD src0_sel:WORD_0
	;; [unrolled: 2-line block ×4, first 2 shown]
	s_waitcnt vmcnt(2)
	v_cvt_f32_u32_sdwa v20, v28 dst_sel:DWORD dst_unused:UNUSED_PAD src0_sel:WORD_1
	v_cvt_f32_u32_sdwa v19, v28 dst_sel:DWORD dst_unused:UNUSED_PAD src0_sel:WORD_0
	v_cvt_f32_u32_sdwa v22, v29 dst_sel:DWORD dst_unused:UNUSED_PAD src0_sel:WORD_1
	v_cvt_f32_u32_sdwa v21, v29 dst_sel:DWORD dst_unused:UNUSED_PAD src0_sel:WORD_0
	;; [unrolled: 2-line block ×4, first 2 shown]
	s_waitcnt vmcnt(1)
	v_cvt_f32_u32_sdwa v5, v32 dst_sel:DWORD dst_unused:UNUSED_PAD src0_sel:WORD_1
	v_cvt_f32_u32_sdwa v8, v32 dst_sel:DWORD dst_unused:UNUSED_PAD src0_sel:WORD_0
	v_cvt_f32_u32_sdwa v3, v33 dst_sel:DWORD dst_unused:UNUSED_PAD src0_sel:WORD_1
	v_cvt_f32_u32_sdwa v4, v33 dst_sel:DWORD dst_unused:UNUSED_PAD src0_sel:WORD_0
	;; [unrolled: 2-line block ×3, first 2 shown]
	s_waitcnt vmcnt(0)
	v_cvt_f32_u32_sdwa v34, v39 dst_sel:DWORD dst_unused:UNUSED_PAD src0_sel:WORD_1
	v_cvt_f32_u32_sdwa v28, v35 dst_sel:DWORD dst_unused:UNUSED_PAD src0_sel:WORD_0
	v_cvt_f32_u32_sdwa v29, v35 dst_sel:DWORD dst_unused:UNUSED_PAD src0_sel:WORD_1
	v_cvt_f32_u32_sdwa v35, v39 dst_sel:DWORD dst_unused:UNUSED_PAD src0_sel:WORD_0
	v_cvt_f32_u32_sdwa v30, v36 dst_sel:DWORD dst_unused:UNUSED_PAD src0_sel:WORD_0
	v_cvt_f32_u32_sdwa v31, v36 dst_sel:DWORD dst_unused:UNUSED_PAD src0_sel:WORD_1
	v_cvt_f32_u32_sdwa v36, v38 dst_sel:DWORD dst_unused:UNUSED_PAD src0_sel:WORD_1
	v_cvt_f32_u32_sdwa v32, v37 dst_sel:DWORD dst_unused:UNUSED_PAD src0_sel:WORD_0
	v_cvt_f32_u32_sdwa v33, v37 dst_sel:DWORD dst_unused:UNUSED_PAD src0_sel:WORD_1
	v_cvt_f32_u32_sdwa v37, v38 dst_sel:DWORD dst_unused:UNUSED_PAD src0_sel:WORD_0
	buffer_store_dword v34, off, s[0:3], 0 offset:124
	buffer_store_dword v35, off, s[0:3], 0 offset:120
	buffer_store_dword v36, off, s[0:3], 0 offset:116
	buffer_store_dword v37, off, s[0:3], 0 offset:112
	buffer_store_dword v33, off, s[0:3], 0 offset:108
	buffer_store_dword v32, off, s[0:3], 0 offset:104
	buffer_store_dword v31, off, s[0:3], 0 offset:100
	buffer_store_dword v30, off, s[0:3], 0 offset:96
	buffer_store_dword v29, off, s[0:3], 0 offset:92
	buffer_store_dword v28, off, s[0:3], 0 offset:88
	buffer_store_dword v11, off, s[0:3], 0 offset:84
	buffer_store_dword v2, off, s[0:3], 0 offset:80
	buffer_store_dword v3, off, s[0:3], 0 offset:76
	buffer_store_dword v4, off, s[0:3], 0 offset:72
	buffer_store_dword v5, off, s[0:3], 0 offset:68
	buffer_store_dword v8, off, s[0:3], 0 offset:64
	buffer_store_dword v26, off, s[0:3], 0 offset:60
	buffer_store_dword v25, off, s[0:3], 0 offset:56
	buffer_store_dword v24, off, s[0:3], 0 offset:52
	buffer_store_dword v23, off, s[0:3], 0 offset:48
	buffer_store_dword v22, off, s[0:3], 0 offset:44
	buffer_store_dword v21, off, s[0:3], 0 offset:40
	buffer_store_dword v20, off, s[0:3], 0 offset:36
	buffer_store_dword v19, off, s[0:3], 0 offset:32
	buffer_store_dword v18, off, s[0:3], 0 offset:28
	buffer_store_dword v17, off, s[0:3], 0 offset:24
	buffer_store_dword v16, off, s[0:3], 0 offset:20
	buffer_store_dword v15, off, s[0:3], 0 offset:16
	buffer_store_dword v14, off, s[0:3], 0 offset:12
	buffer_store_dword v13, off, s[0:3], 0 offset:8
	buffer_store_dword v12, off, s[0:3], 0 offset:4
	buffer_store_dword v27, off, s[0:3], 0
	s_and_saveexec_b64 s[8:9], s[6:7]
	s_cbranch_execz .LBB301_6
; %bb.5:
	global_load_ushort v0, v[0:1], off offset:1024
	s_mov_b32 s10, 0xbfb8aa3b
	s_mov_b32 s11, 0x42ce8ed0
	;; [unrolled: 1-line block ×3, first 2 shown]
	v_mov_b32_e32 v28, 0x7f800000
	v_mov_b32_e32 v31, s21
	s_waitcnt vmcnt(0)
	v_cvt_f32_u32_e32 v11, v0
	v_mul_lo_u32 v0, v6, s15
	v_add_u32_e32 v0, s12, v0
	v_mul_f32_e32 v1, 0xbfb8aa3b, v11
	v_rndne_f32_e32 v29, v1
	v_fma_f32 v30, v11, s10, -v1
	v_sub_f32_e32 v1, v1, v29
	v_fmac_f32_e32 v30, 0xb2a5705f, v11
	v_add_f32_e32 v1, v1, v30
	v_cvt_i32_f32_e32 v29, v29
	v_exp_f32_e32 v30, v1
	v_cmp_nlt_f32_e32 vcc, s11, v11
	v_ashrrev_i32_e32 v1, 31, v0
	v_lshlrev_b64 v[0:1], 2, v[0:1]
	v_ldexp_f32 v29, v30, v29
	v_cndmask_b32_e32 v29, 0, v29, vcc
	v_cmp_ngt_f32_e32 vcc, s16, v11
	v_cndmask_b32_e32 v11, v28, v29, vcc
	v_add_f32_e32 v11, 1.0, v11
	v_div_scale_f32 v28, s[10:11], v11, v11, 1.0
	v_rcp_f32_e32 v29, v28
	v_div_scale_f32 v30, vcc, 1.0, v11, 1.0
	v_fma_f32 v32, -v28, v29, 1.0
	v_fmac_f32_e32 v29, v32, v29
	v_mul_f32_e32 v32, v30, v29
	v_fma_f32 v33, -v28, v32, v30
	v_fmac_f32_e32 v32, v33, v29
	v_fma_f32 v28, -v28, v32, v30
	v_div_fmas_f32 v28, v28, v29, v32
	v_add_co_u32_e32 v0, vcc, s20, v0
	v_div_fixup_f32 v11, v28, v11, 1.0
	v_addc_co_u32_e32 v1, vcc, v31, v1, vcc
	global_store_dword v[0:1], v11, off
.LBB301_6:
	s_or_b64 exec, exec, s[8:9]
	v_cmp_lt_f32_e32 vcc, v27, v12
	v_or_b32_e32 v11, 1, v10
	v_cndmask_b32_e32 v1, v27, v12, vcc
	v_cndmask_b32_e32 v0, v10, v11, vcc
	v_cmp_lt_f32_e32 vcc, v1, v13
	v_or_b32_e32 v12, 2, v10
	v_cndmask_b32_e32 v1, v1, v13, vcc
	buffer_load_dword v32, off, s[0:3], 0 offset:84
	buffer_load_dword v33, off, s[0:3], 0 offset:88
	v_cndmask_b32_e32 v0, v0, v12, vcc
	v_cmp_lt_f32_e32 vcc, v1, v14
	v_or_b32_e32 v13, 3, v10
	v_cndmask_b32_e32 v1, v1, v14, vcc
	v_cndmask_b32_e32 v0, v0, v13, vcc
	v_cmp_lt_f32_e32 vcc, v1, v15
	v_or_b32_e32 v14, 4, v10
	v_cndmask_b32_e32 v27, v1, v15, vcc
	buffer_load_dword v1, off, s[0:3], 0 offset:92
	v_cndmask_b32_e32 v0, v0, v14, vcc
	v_or_b32_e32 v15, 5, v10
	v_cmp_lt_f32_e32 vcc, v27, v16
	v_cndmask_b32_e32 v28, v0, v15, vcc
	buffer_load_dword v0, off, s[0:3], 0 offset:96
	buffer_load_dword v36, off, s[0:3], 0 offset:100
	;; [unrolled: 1-line block ×8, first 2 shown]
	v_cndmask_b32_e32 v27, v27, v16, vcc
	v_cmp_lt_f32_e32 vcc, v27, v17
	v_or_b32_e32 v16, 6, v10
	v_cndmask_b32_e32 v27, v27, v17, vcc
	v_cndmask_b32_e32 v28, v28, v16, vcc
	v_cmp_lt_f32_e32 vcc, v27, v18
	v_or_b32_e32 v17, 7, v10
	v_cndmask_b32_e32 v27, v27, v18, vcc
	;; [unrolled: 4-line block ×15, first 2 shown]
	v_cndmask_b32_e32 v4, v5, v30, vcc
	s_waitcnt vmcnt(10)
	v_cmp_lt_f32_e32 vcc, v2, v32
	v_or_b32_e32 v31, 21, v10
	v_cndmask_b32_e32 v2, v2, v32, vcc
	v_cndmask_b32_e32 v3, v4, v31, vcc
	s_waitcnt vmcnt(9)
	v_cmp_lt_f32_e32 vcc, v2, v33
	v_or_b32_e32 v32, 22, v10
	v_cndmask_b32_e32 v2, v2, v33, vcc
	;; [unrolled: 5-line block ×10, first 2 shown]
	v_cndmask_b32_e32 v3, v3, v40, vcc
	v_or_b32_e32 v41, 31, v10
	s_waitcnt vmcnt(0)
	v_cmp_lt_f32_e32 vcc, v2, v44
	v_cndmask_b32_e32 v3, v3, v41, vcc
	v_cndmask_b32_e32 v2, v2, v44, vcc
	s_nop 0
	v_mov_b32_dpp v4, v3 quad_perm:[1,0,3,2] row_mask:0xf bank_mask:0xf
	v_mov_b32_dpp v5, v2 quad_perm:[1,0,3,2] row_mask:0xf bank_mask:0xf
	v_cmp_eq_f32_e64 s[8:9], v2, v5
	v_cmp_lt_i32_e64 s[10:11], v4, v3
	v_cmp_lt_f32_e32 vcc, v2, v5
	s_and_b64 s[8:9], s[8:9], s[10:11]
	s_or_b64 vcc, vcc, s[8:9]
	v_cndmask_b32_e32 v2, v2, v5, vcc
	v_cndmask_b32_e32 v3, v3, v4, vcc
	s_nop 0
	v_mov_b32_dpp v5, v2 quad_perm:[2,3,0,1] row_mask:0xf bank_mask:0xf
	v_mov_b32_dpp v4, v3 quad_perm:[2,3,0,1] row_mask:0xf bank_mask:0xf
	v_cmp_eq_f32_e64 s[8:9], v2, v5
	v_cmp_lt_i32_e64 s[10:11], v4, v3
	v_cmp_lt_f32_e32 vcc, v2, v5
	s_and_b64 s[8:9], s[8:9], s[10:11]
	s_or_b64 vcc, vcc, s[8:9]
	v_cndmask_b32_e32 v2, v2, v5, vcc
	v_cndmask_b32_e32 v3, v3, v4, vcc
	s_nop 0
	v_mov_b32_dpp v5, v2 row_half_mirror row_mask:0xf bank_mask:0xf
	v_mov_b32_dpp v4, v3 row_half_mirror row_mask:0xf bank_mask:0xf
	v_cmp_eq_f32_e64 s[8:9], v2, v5
	v_cmp_lt_i32_e64 s[10:11], v4, v3
	v_cmp_lt_f32_e32 vcc, v2, v5
	s_and_b64 s[8:9], s[8:9], s[10:11]
	s_or_b64 vcc, vcc, s[8:9]
	v_cndmask_b32_e32 v5, v2, v5, vcc
	v_cndmask_b32_e32 v2, v3, v4, vcc
	s_nop 0
	v_mov_b32_dpp v4, v5 row_mirror row_mask:0xf bank_mask:0xf
	v_mov_b32_dpp v3, v2 row_mirror row_mask:0xf bank_mask:0xf
	v_cmp_eq_f32_e64 s[8:9], v5, v4
	v_cmp_lt_i32_e64 s[10:11], v3, v2
	v_cmp_lt_f32_e32 vcc, v5, v4
	s_and_b64 s[8:9], s[8:9], s[10:11]
	s_or_b64 s[8:9], vcc, s[8:9]
	s_cmp_gt_i32 s12, 0
	s_cselect_b64 s[10:11], -1, 0
	v_cndmask_b32_e64 v8, v5, v4, s[8:9]
	s_and_b64 vcc, exec, s[10:11]
	s_cbranch_vccz .LBB301_19
; %bb.7:
	s_load_dwordx4 s[16:19], s[4:5], 0x20
	v_cndmask_b32_e64 v44, v2, v3, s[8:9]
	v_mul_lo_u32 v4, v6, s15
	v_mul_lo_u32 v2, v6, s24
	v_mul_lo_u32 v0, v6, s12
	v_mov_b32_e32 v7, 0
	s_and_saveexec_b64 s[8:9], s[6:7]
	s_cbranch_execz .LBB301_9
; %bb.8:
	v_sub_f32_e32 v1, v8, v8
	v_mul_f32_e32 v3, 0x3fb8aa3b, v1
	s_mov_b32 s4, 0x3fb8aa3b
	v_rndne_f32_e32 v5, v3
	v_sub_f32_e32 v7, v3, v5
	v_fma_f32 v3, v1, s4, -v3
	v_fmac_f32_e32 v3, 0x32a5705f, v1
	v_add_f32_e32 v3, v7, v3
	v_exp_f32_e32 v3, v3
	v_cvt_i32_f32_e32 v5, v5
	v_cmp_le_i32_e32 vcc, s13, v44
	v_cmp_gt_i32_e64 s[4:5], s14, v44
	s_mov_b32 s24, 0xc2ce8ed0
	s_and_b64 s[4:5], vcc, s[4:5]
	v_ldexp_f32 v3, v3, v5
	v_cmp_ngt_f32_e32 vcc, s24, v1
	s_mov_b32 s24, 0x42b17218
	v_cndmask_b32_e32 v3, 0, v3, vcc
	v_mov_b32_e32 v5, 0x7f800000
	v_cmp_nlt_f32_e32 vcc, s24, v1
	v_cndmask_b32_e32 v7, v5, v3, vcc
	v_ashrrev_i32_e32 v5, 31, v4
	v_lshlrev_b64 v[46:47], 2, v[4:5]
	v_mov_b32_e32 v1, s21
	v_add_co_u32_e32 v46, vcc, s20, v46
	v_addc_co_u32_e32 v47, vcc, v1, v47, vcc
	v_subrev_u32_e32 v1, s13, v44
	v_mov_b32_e32 v3, 0x200
	s_and_b64 vcc, s[22:23], s[4:5]
	v_cndmask_b32_e32 v1, v3, v1, vcc
	v_ashrrev_i32_e32 v3, 31, v2
	global_store_dword v[46:47], v7, off
	v_lshlrev_b64 v[46:47], 2, v[2:3]
	s_waitcnt lgkmcnt(0)
	v_mov_b32_e32 v3, s17
	v_add_co_u32_e32 v46, vcc, s16, v46
	v_addc_co_u32_e32 v47, vcc, v3, v47, vcc
	global_store_dword v[46:47], v1, off
	v_ashrrev_i32_e32 v1, 31, v0
	v_lshlrev_b64 v[46:47], 2, v[0:1]
	v_mov_b32_e32 v1, s19
	v_add_co_u32_e32 v46, vcc, s18, v46
	v_addc_co_u32_e32 v47, vcc, v1, v47, vcc
	global_store_dword v[46:47], v6, off
.LBB301_9:
	s_or_b64 exec, exec, s[8:9]
	v_ashrrev_i32_e32 v3, 31, v44
	v_lshrrev_b32_e32 v1, 27, v3
	v_add_u32_e32 v1, v44, v1
	v_ashrrev_i32_e32 v1, 5, v1
	v_lshrrev_b32_e32 v5, 28, v1
	v_add_u32_e32 v5, v1, v5
	v_and_b32_e32 v5, -16, v5
	v_sub_u32_e32 v5, v1, v5
	v_cmp_eq_u32_e32 vcc, v9, v5
	s_and_saveexec_b64 s[4:5], vcc
	s_cbranch_execz .LBB301_11
; %bb.10:
	v_lshrrev_b32_e32 v3, 23, v3
	v_add_u32_e32 v3, v44, v3
	v_lshlrev_b32_e32 v1, 5, v1
	v_ashrrev_i32_e32 v3, 9, v3
	v_sub_u32_e32 v1, v44, v1
	v_lshl_add_u32 v1, v3, 5, v1
	v_mov_b32_e32 v3, 0
	v_lshl_add_u32 v1, v1, 2, v3
	v_mov_b32_e32 v3, 0xff800000
	buffer_store_dword v3, v1, s[0:3], 0 offen
.LBB301_11:
	s_or_b64 exec, exec, s[4:5]
	s_cmp_eq_u32 s12, 1
	s_cbranch_scc1 .LBB301_18
; %bb.12:
	s_add_i32 s27, s27, s26
	s_add_i32 s24, s12, -1
	v_add3_u32 v42, s27, v43, v42
	v_add_u32_e32 v0, 1, v0
	v_add_u32_e32 v2, 1, v2
	;; [unrolled: 1-line block ×3, first 2 shown]
	s_mov_b32 s25, 0x3fb8aa3b
	s_mov_b32 s27, 0xc2ce8ed0
	;; [unrolled: 1-line block ×3, first 2 shown]
	v_mov_b32_e32 v43, 0
	v_mov_b32_e32 v44, 0xff800000
	;; [unrolled: 1-line block ×4, first 2 shown]
	s_branch .LBB301_14
.LBB301_13:                             ;   in Loop: Header=BB301_14 Depth=1
	s_or_b64 exec, exec, s[4:5]
	s_add_i32 s24, s24, -1
	v_add_u32_e32 v42, s26, v42
	v_add_u32_e32 v0, 1, v0
	;; [unrolled: 1-line block ×3, first 2 shown]
	s_cmp_eq_u32 s24, 0
	v_add_u32_e32 v4, 1, v4
	s_cbranch_scc1 .LBB301_18
.LBB301_14:                             ; =>This Inner Loop Header: Depth=1
	buffer_load_dword v1, off, s[0:3], 0
	buffer_load_dword v3, off, s[0:3], 0 offset:4
	buffer_load_dword v5, off, s[0:3], 0 offset:8
	;; [unrolled: 1-line block ×15, first 2 shown]
	s_waitcnt vmcnt(14)
	v_cmp_gt_f32_e32 vcc, v3, v1
	v_cndmask_b32_e32 v1, v1, v3, vcc
	v_cndmask_b32_e32 v60, v10, v11, vcc
	s_waitcnt vmcnt(13)
	v_cmp_gt_f32_e32 vcc, v5, v1
	v_cndmask_b32_e32 v1, v1, v5, vcc
	buffer_load_dword v5, off, s[0:3], 0 offset:64
	v_cndmask_b32_e32 v3, v60, v12, vcc
	s_waitcnt vmcnt(13)
	v_cmp_gt_f32_e32 vcc, v47, v1
	v_cndmask_b32_e32 v1, v1, v47, vcc
	v_cndmask_b32_e32 v3, v3, v13, vcc
	s_waitcnt vmcnt(12)
	v_cmp_gt_f32_e32 vcc, v48, v1
	v_cndmask_b32_e32 v1, v1, v48, vcc
	;; [unrolled: 4-line block ×14, first 2 shown]
	buffer_load_dword v5, off, s[0:3], 0 offset:68
	v_cndmask_b32_e32 v3, v3, v26, vcc
	s_waitcnt vmcnt(0)
	v_cmp_gt_f32_e32 vcc, v5, v1
	v_cndmask_b32_e32 v1, v1, v5, vcc
	buffer_load_dword v5, off, s[0:3], 0 offset:72
	v_cndmask_b32_e32 v3, v3, v27, vcc
	s_waitcnt vmcnt(0)
	v_cmp_gt_f32_e32 vcc, v5, v1
	v_cndmask_b32_e32 v1, v1, v5, vcc
	;; [unrolled: 5-line block ×15, first 2 shown]
	v_cndmask_b32_e32 v1, v1, v5, vcc
	s_nop 0
	v_mov_b32_dpp v5, v3 quad_perm:[1,0,3,2] row_mask:0xf bank_mask:0xf
	v_mov_b32_dpp v47, v1 quad_perm:[1,0,3,2] row_mask:0xf bank_mask:0xf
	v_cmp_eq_f32_e64 s[4:5], v1, v47
	v_cmp_lt_i32_e64 s[8:9], v5, v3
	v_cmp_lt_f32_e32 vcc, v1, v47
	s_and_b64 s[4:5], s[4:5], s[8:9]
	s_or_b64 vcc, vcc, s[4:5]
	v_cndmask_b32_e32 v1, v1, v47, vcc
	v_cndmask_b32_e32 v3, v3, v5, vcc
	s_nop 0
	v_mov_b32_dpp v47, v1 quad_perm:[2,3,0,1] row_mask:0xf bank_mask:0xf
	v_mov_b32_dpp v5, v3 quad_perm:[2,3,0,1] row_mask:0xf bank_mask:0xf
	v_cmp_eq_f32_e64 s[4:5], v1, v47
	v_cmp_lt_i32_e64 s[8:9], v5, v3
	v_cmp_lt_f32_e32 vcc, v1, v47
	s_and_b64 s[4:5], s[4:5], s[8:9]
	s_or_b64 vcc, vcc, s[4:5]
	v_cndmask_b32_e32 v1, v1, v47, vcc
	v_cndmask_b32_e32 v3, v3, v5, vcc
	s_nop 0
	v_mov_b32_dpp v47, v1 row_half_mirror row_mask:0xf bank_mask:0xf
	v_mov_b32_dpp v5, v3 row_half_mirror row_mask:0xf bank_mask:0xf
	v_cmp_eq_f32_e64 s[4:5], v1, v47
	v_cmp_lt_i32_e64 s[8:9], v5, v3
	v_cmp_lt_f32_e32 vcc, v1, v47
	s_and_b64 s[4:5], s[4:5], s[8:9]
	s_or_b64 vcc, vcc, s[4:5]
	v_cndmask_b32_e32 v1, v1, v47, vcc
	v_cndmask_b32_e32 v5, v3, v5, vcc
	s_nop 0
	v_mov_b32_dpp v3, v1 row_mirror row_mask:0xf bank_mask:0xf
	v_mov_b32_dpp v47, v5 row_mirror row_mask:0xf bank_mask:0xf
	v_cmp_eq_f32_e64 s[4:5], v1, v3
	v_cmp_lt_i32_e64 s[8:9], v47, v5
	v_cmp_lt_f32_e32 vcc, v1, v3
	s_and_b64 s[4:5], s[4:5], s[8:9]
	s_or_b64 vcc, vcc, s[4:5]
	v_cndmask_b32_e32 v47, v5, v47, vcc
	s_and_saveexec_b64 s[8:9], s[6:7]
	s_cbranch_execz .LBB301_16
; %bb.15:                               ;   in Loop: Header=BB301_14 Depth=1
	v_cndmask_b32_e32 v1, v1, v3, vcc
	v_sub_f32_e32 v1, v1, v8
	v_mul_f32_e32 v3, 0x3fb8aa3b, v1
	v_fma_f32 v5, v1, s25, -v3
	v_rndne_f32_e32 v48, v3
	v_fmac_f32_e32 v5, 0x32a5705f, v1
	v_sub_f32_e32 v3, v3, v48
	v_add_f32_e32 v3, v3, v5
	v_exp_f32_e32 v3, v3
	v_cvt_i32_f32_e32 v5, v48
	v_cmp_le_i32_e32 vcc, s13, v47
	v_cmp_gt_i32_e64 s[4:5], s14, v47
	s_and_b64 s[4:5], vcc, s[4:5]
	v_ldexp_f32 v3, v3, v5
	v_cmp_ngt_f32_e32 vcc, s27, v1
	v_ashrrev_i32_e32 v5, 31, v4
	v_cndmask_b32_e32 v3, 0, v3, vcc
	v_cmp_nlt_f32_e32 vcc, s28, v1
	v_lshlrev_b64 v[48:49], 2, v[4:5]
	v_cndmask_b32_e32 v50, v45, v3, vcc
	v_mov_b32_e32 v1, s21
	v_add_co_u32_e32 v48, vcc, s20, v48
	v_addc_co_u32_e32 v49, vcc, v1, v49, vcc
	v_ashrrev_i32_e32 v3, 31, v2
	global_store_dword v[48:49], v50, off
	v_subrev_u32_e32 v1, s13, v47
	s_and_b64 vcc, s[22:23], s[4:5]
	v_lshlrev_b64 v[48:49], 2, v[2:3]
	v_cndmask_b32_e32 v1, v46, v1, vcc
	s_waitcnt lgkmcnt(0)
	v_mov_b32_e32 v3, s17
	v_add_co_u32_e32 v48, vcc, s16, v48
	v_addc_co_u32_e32 v49, vcc, v3, v49, vcc
	global_store_dword v[48:49], v1, off
	v_ashrrev_i32_e32 v1, 31, v0
	v_lshlrev_b64 v[48:49], 2, v[0:1]
	v_mov_b32_e32 v1, s19
	v_add_co_u32_e32 v48, vcc, s18, v48
	v_addc_co_u32_e32 v49, vcc, v1, v49, vcc
	v_add_f32_e32 v7, v7, v50
	global_store_dword v[48:49], v42, off
.LBB301_16:                             ;   in Loop: Header=BB301_14 Depth=1
	s_or_b64 exec, exec, s[8:9]
	v_ashrrev_i32_e32 v3, 31, v47
	v_lshrrev_b32_e32 v1, 27, v3
	v_add_u32_e32 v1, v47, v1
	v_ashrrev_i32_e32 v1, 5, v1
	v_lshrrev_b32_e32 v5, 28, v1
	v_add_u32_e32 v5, v1, v5
	v_and_b32_e32 v5, -16, v5
	v_sub_u32_e32 v5, v1, v5
	v_cmp_eq_u32_e32 vcc, v9, v5
	s_and_saveexec_b64 s[4:5], vcc
	s_cbranch_execz .LBB301_13
; %bb.17:                               ;   in Loop: Header=BB301_14 Depth=1
	v_lshrrev_b32_e32 v3, 23, v3
	v_add_u32_e32 v3, v47, v3
	v_lshlrev_b32_e32 v1, 5, v1
	v_ashrrev_i32_e32 v3, 9, v3
	v_sub_u32_e32 v1, v47, v1
	v_lshl_add_u32 v1, v3, 5, v1
	v_lshl_add_u32 v1, v1, 2, v43
	buffer_store_dword v44, v1, s[0:3], 0 offen
	s_branch .LBB301_13
.LBB301_18:
	buffer_load_dword v1, off, s[0:3], 0 offset:92
	buffer_load_dword v0, off, s[0:3], 0 offset:96
.LBB301_19:
	buffer_load_dword v3, off, s[0:3], 0
	buffer_load_dword v4, off, s[0:3], 0 offset:4
	buffer_load_dword v5, off, s[0:3], 0 offset:8
	;; [unrolled: 1-line block ×15, first 2 shown]
	s_mov_b32 s5, 0x3fb8aa3b
	s_mov_b32 s4, 0xc2ce8ed0
	;; [unrolled: 1-line block ×3, first 2 shown]
	v_mov_b32_e32 v2, 0x7f800000
	s_waitcnt vmcnt(17)
	v_sub_f32_e32 v1, v1, v8
	s_waitcnt vmcnt(16)
	v_sub_f32_e32 v0, v0, v8
	;; [unrolled: 2-line block ×4, first 2 shown]
	v_mul_f32_e32 v22, 0x3fb8aa3b, v3
	s_waitcnt vmcnt(13)
	v_sub_f32_e32 v5, v5, v8
	v_mul_f32_e32 v23, 0x3fb8aa3b, v4
	v_fma_f32 v28, v3, s5, -v22
	v_rndne_f32_e32 v29, v22
	s_waitcnt vmcnt(12)
	v_sub_f32_e32 v9, v9, v8
	v_mul_f32_e32 v24, 0x3fb8aa3b, v5
	v_fma_f32 v30, v4, s5, -v23
	v_rndne_f32_e32 v31, v23
	v_fmac_f32_e32 v28, 0x32a5705f, v3
	v_sub_f32_e32 v22, v22, v29
	s_waitcnt vmcnt(11)
	v_sub_f32_e32 v10, v10, v8
	v_mul_f32_e32 v25, 0x3fb8aa3b, v9
	v_fma_f32 v32, v5, s5, -v24
	v_rndne_f32_e32 v33, v24
	v_fmac_f32_e32 v30, 0x32a5705f, v4
	v_sub_f32_e32 v23, v23, v31
	v_add_f32_e32 v22, v22, v28
	v_mul_f32_e32 v26, 0x3fb8aa3b, v10
	v_fma_f32 v34, v9, s5, -v25
	v_rndne_f32_e32 v35, v25
	v_cvt_i32_f32_e32 v29, v29
	v_fmac_f32_e32 v32, 0x32a5705f, v5
	v_sub_f32_e32 v24, v24, v33
	v_add_f32_e32 v23, v23, v30
	v_exp_f32_e32 v22, v22
	v_fma_f32 v36, v10, s5, -v26
	v_rndne_f32_e32 v37, v26
	v_cvt_i32_f32_e32 v31, v31
	v_fmac_f32_e32 v34, 0x32a5705f, v9
	v_sub_f32_e32 v25, v25, v35
	v_add_f32_e32 v24, v24, v32
	v_exp_f32_e32 v23, v23
	v_cvt_i32_f32_e32 v33, v33
	v_fmac_f32_e32 v36, 0x32a5705f, v10
	v_sub_f32_e32 v26, v26, v37
	v_add_f32_e32 v25, v25, v34
	v_exp_f32_e32 v24, v24
	v_cvt_i32_f32_e32 v35, v35
	v_add_f32_e32 v26, v26, v36
	v_exp_f32_e32 v25, v25
	v_cvt_i32_f32_e32 v37, v37
	v_exp_f32_e32 v26, v26
	v_ldexp_f32 v22, v22, v29
	v_cmp_ngt_f32_e32 vcc, s4, v3
	v_ldexp_f32 v23, v23, v31
	v_cndmask_b32_e32 v22, 0, v22, vcc
	v_cmp_ngt_f32_e32 vcc, s4, v4
	v_ldexp_f32 v24, v24, v33
	v_cndmask_b32_e32 v23, 0, v23, vcc
	;; [unrolled: 3-line block ×4, first 2 shown]
	v_cmp_ngt_f32_e32 vcc, s4, v10
	v_cndmask_b32_e32 v26, 0, v26, vcc
	v_cmp_nlt_f32_e32 vcc, s8, v3
	s_waitcnt vmcnt(10)
	v_sub_f32_e32 v11, v11, v8
	v_cndmask_b32_e32 v3, v2, v22, vcc
	v_cmp_nlt_f32_e32 vcc, s8, v4
	v_mul_f32_e32 v27, 0x3fb8aa3b, v11
	v_cndmask_b32_e32 v4, v2, v23, vcc
	v_cmp_nlt_f32_e32 vcc, s8, v5
	v_fma_f32 v38, v11, s5, -v27
	v_cndmask_b32_e32 v5, v2, v24, vcc
	v_add_f32_e32 v3, v3, v4
	v_rndne_f32_e32 v4, v27
	v_fmac_f32_e32 v38, 0x32a5705f, v11
	v_add_f32_e32 v3, v3, v5
	v_sub_f32_e32 v5, v27, v4
	v_add_f32_e32 v5, v5, v38
	v_exp_f32_e32 v5, v5
	v_cvt_i32_f32_e32 v4, v4
	v_cmp_nlt_f32_e32 vcc, s8, v9
	v_cndmask_b32_e32 v9, v2, v25, vcc
	v_cmp_nlt_f32_e32 vcc, s8, v10
	v_add_f32_e32 v3, v3, v9
	v_cndmask_b32_e32 v9, v2, v26, vcc
	v_ldexp_f32 v4, v5, v4
	s_waitcnt vmcnt(9)
	v_sub_f32_e32 v5, v12, v8
	v_add_f32_e32 v3, v3, v9
	v_mul_f32_e32 v9, 0x3fb8aa3b, v5
	v_fma_f32 v10, v5, s5, -v9
	v_rndne_f32_e32 v12, v9
	v_fmac_f32_e32 v10, 0x32a5705f, v5
	v_sub_f32_e32 v9, v9, v12
	v_add_f32_e32 v9, v9, v10
	v_exp_f32_e32 v9, v9
	v_cvt_i32_f32_e32 v10, v12
	v_cmp_ngt_f32_e32 vcc, s4, v11
	v_cndmask_b32_e32 v4, 0, v4, vcc
	v_cmp_nlt_f32_e32 vcc, s8, v11
	v_cndmask_b32_e32 v4, v2, v4, vcc
	v_add_f32_e32 v3, v3, v4
	v_ldexp_f32 v4, v9, v10
	s_waitcnt vmcnt(8)
	v_sub_f32_e32 v9, v13, v8
	v_mul_f32_e32 v10, 0x3fb8aa3b, v9
	v_fma_f32 v11, v9, s5, -v10
	v_rndne_f32_e32 v12, v10
	v_fmac_f32_e32 v11, 0x32a5705f, v9
	v_sub_f32_e32 v10, v10, v12
	v_add_f32_e32 v10, v10, v11
	v_exp_f32_e32 v10, v10
	v_cvt_i32_f32_e32 v11, v12
	v_cmp_ngt_f32_e32 vcc, s4, v5
	v_cndmask_b32_e32 v4, 0, v4, vcc
	v_cmp_nlt_f32_e32 vcc, s8, v5
	v_cndmask_b32_e32 v4, v2, v4, vcc
	s_waitcnt vmcnt(7)
	v_sub_f32_e32 v5, v14, v8
	v_add_f32_e32 v3, v3, v4
	v_ldexp_f32 v4, v10, v11
	v_mul_f32_e32 v10, 0x3fb8aa3b, v5
	v_fma_f32 v11, v5, s5, -v10
	v_rndne_f32_e32 v12, v10
	v_fmac_f32_e32 v11, 0x32a5705f, v5
	v_sub_f32_e32 v10, v10, v12
	v_add_f32_e32 v10, v10, v11
	v_exp_f32_e32 v10, v10
	v_cvt_i32_f32_e32 v11, v12
	v_cmp_ngt_f32_e32 vcc, s4, v9
	v_cndmask_b32_e32 v4, 0, v4, vcc
	v_cmp_nlt_f32_e32 vcc, s8, v9
	v_cndmask_b32_e32 v4, v2, v4, vcc
	s_waitcnt vmcnt(6)
	v_sub_f32_e32 v9, v15, v8
	v_add_f32_e32 v3, v3, v4
	v_ldexp_f32 v4, v10, v11
	v_mul_f32_e32 v10, 0x3fb8aa3b, v9
	v_fma_f32 v11, v9, s5, -v10
	v_rndne_f32_e32 v12, v10
	v_fmac_f32_e32 v11, 0x32a5705f, v9
	v_sub_f32_e32 v10, v10, v12
	v_add_f32_e32 v10, v10, v11
	v_exp_f32_e32 v10, v10
	v_cvt_i32_f32_e32 v11, v12
	v_cmp_ngt_f32_e32 vcc, s4, v5
	v_cndmask_b32_e32 v4, 0, v4, vcc
	v_cmp_nlt_f32_e32 vcc, s8, v5
	v_cndmask_b32_e32 v4, v2, v4, vcc
	s_waitcnt vmcnt(5)
	v_sub_f32_e32 v5, v16, v8
	v_add_f32_e32 v3, v3, v4
	v_ldexp_f32 v4, v10, v11
	v_mul_f32_e32 v10, 0x3fb8aa3b, v5
	v_fma_f32 v11, v5, s5, -v10
	v_rndne_f32_e32 v12, v10
	v_fmac_f32_e32 v11, 0x32a5705f, v5
	v_sub_f32_e32 v10, v10, v12
	v_add_f32_e32 v10, v10, v11
	v_exp_f32_e32 v10, v10
	v_cvt_i32_f32_e32 v11, v12
	v_cmp_ngt_f32_e32 vcc, s4, v9
	v_cndmask_b32_e32 v4, 0, v4, vcc
	v_cmp_nlt_f32_e32 vcc, s8, v9
	v_cndmask_b32_e32 v4, v2, v4, vcc
	s_waitcnt vmcnt(4)
	v_sub_f32_e32 v9, v17, v8
	v_add_f32_e32 v3, v3, v4
	v_ldexp_f32 v4, v10, v11
	v_mul_f32_e32 v10, 0x3fb8aa3b, v9
	v_fma_f32 v11, v9, s5, -v10
	v_rndne_f32_e32 v13, v10
	buffer_load_dword v12, off, s[0:3], 0 offset:64
	v_fmac_f32_e32 v11, 0x32a5705f, v9
	v_sub_f32_e32 v10, v10, v13
	v_add_f32_e32 v10, v10, v11
	v_exp_f32_e32 v10, v10
	v_cvt_i32_f32_e32 v11, v13
	v_cmp_ngt_f32_e32 vcc, s4, v5
	v_cndmask_b32_e32 v4, 0, v4, vcc
	v_cmp_nlt_f32_e32 vcc, s8, v5
	v_cndmask_b32_e32 v4, v2, v4, vcc
	s_waitcnt vmcnt(4)
	v_sub_f32_e32 v5, v18, v8
	v_add_f32_e32 v3, v3, v4
	v_ldexp_f32 v4, v10, v11
	buffer_load_dword v11, off, s[0:3], 0 offset:68
	v_mul_f32_e32 v10, 0x3fb8aa3b, v5
	v_fma_f32 v13, v5, s5, -v10
	v_rndne_f32_e32 v14, v10
	v_fmac_f32_e32 v13, 0x32a5705f, v5
	v_sub_f32_e32 v10, v10, v14
	v_add_f32_e32 v10, v10, v13
	v_exp_f32_e32 v10, v10
	v_cvt_i32_f32_e32 v13, v14
	v_cmp_ngt_f32_e32 vcc, s4, v9
	v_cndmask_b32_e32 v4, 0, v4, vcc
	v_cmp_nlt_f32_e32 vcc, s8, v9
	v_cndmask_b32_e32 v4, v2, v4, vcc
	v_add_f32_e32 v3, v3, v4
	v_ldexp_f32 v4, v10, v13
	buffer_load_dword v10, off, s[0:3], 0 offset:72
	s_waitcnt vmcnt(5)
	v_sub_f32_e32 v9, v19, v8
	v_mul_f32_e32 v13, 0x3fb8aa3b, v9
	v_cmp_ngt_f32_e32 vcc, s4, v5
	v_fma_f32 v14, v9, s5, -v13
	v_rndne_f32_e32 v15, v13
	v_cndmask_b32_e32 v4, 0, v4, vcc
	v_fmac_f32_e32 v14, 0x32a5705f, v9
	v_sub_f32_e32 v13, v13, v15
	v_cmp_nlt_f32_e32 vcc, s8, v5
	buffer_load_dword v5, off, s[0:3], 0 offset:76
	v_add_f32_e32 v13, v13, v14
	v_exp_f32_e32 v13, v13
	v_cvt_i32_f32_e32 v14, v15
	v_cndmask_b32_e32 v4, v2, v4, vcc
	v_add_f32_e32 v3, v3, v4
	v_cmp_ngt_f32_e32 vcc, s4, v9
	v_ldexp_f32 v4, v13, v14
	s_waitcnt vmcnt(5)
	v_sub_f32_e32 v13, v20, v8
	v_cndmask_b32_e32 v4, 0, v4, vcc
	v_mul_f32_e32 v14, 0x3fb8aa3b, v13
	v_cmp_nlt_f32_e32 vcc, s8, v9
	buffer_load_dword v9, off, s[0:3], 0 offset:80
	v_fma_f32 v15, v13, s5, -v14
	v_rndne_f32_e32 v16, v14
	v_fmac_f32_e32 v15, 0x32a5705f, v13
	v_sub_f32_e32 v14, v14, v16
	v_add_f32_e32 v14, v14, v15
	v_exp_f32_e32 v14, v14
	v_cvt_i32_f32_e32 v15, v16
	v_cndmask_b32_e32 v4, v2, v4, vcc
	v_add_f32_e32 v3, v3, v4
	v_cmp_ngt_f32_e32 vcc, s4, v13
	v_ldexp_f32 v4, v14, v15
	v_cndmask_b32_e32 v4, 0, v4, vcc
	v_cmp_nlt_f32_e32 vcc, s8, v13
	buffer_load_dword v13, off, s[0:3], 0 offset:84
	s_waitcnt vmcnt(6)
	v_sub_f32_e32 v14, v21, v8
	v_mul_f32_e32 v15, 0x3fb8aa3b, v14
	v_fma_f32 v16, v14, s5, -v15
	v_rndne_f32_e32 v17, v15
	v_fmac_f32_e32 v16, 0x32a5705f, v14
	v_sub_f32_e32 v15, v15, v17
	v_add_f32_e32 v15, v15, v16
	v_exp_f32_e32 v15, v15
	v_cvt_i32_f32_e32 v16, v17
	v_cndmask_b32_e32 v4, v2, v4, vcc
	v_add_f32_e32 v3, v3, v4
	v_cmp_ngt_f32_e32 vcc, s4, v14
	v_ldexp_f32 v4, v15, v16
	buffer_load_dword v15, off, s[0:3], 0 offset:88
	buffer_load_dword v16, off, s[0:3], 0 offset:100
	v_cndmask_b32_e32 v4, 0, v4, vcc
	s_waitcnt vmcnt(7)
	v_sub_f32_e32 v12, v12, v8
	v_mul_f32_e32 v17, 0x3fb8aa3b, v12
	v_fma_f32 v18, v12, s5, -v17
	v_rndne_f32_e32 v19, v17
	v_fmac_f32_e32 v18, 0x32a5705f, v12
	v_sub_f32_e32 v17, v17, v19
	v_add_f32_e32 v17, v17, v18
	v_exp_f32_e32 v17, v17
	v_cvt_i32_f32_e32 v18, v19
	v_cmp_nlt_f32_e32 vcc, s8, v14
	v_cndmask_b32_e32 v4, v2, v4, vcc
	v_add_f32_e32 v3, v3, v4
	v_ldexp_f32 v4, v17, v18
	s_waitcnt vmcnt(6)
	v_sub_f32_e32 v11, v11, v8
	v_mul_f32_e32 v14, 0x3fb8aa3b, v11
	v_fma_f32 v17, v11, s5, -v14
	v_rndne_f32_e32 v18, v14
	v_fmac_f32_e32 v17, 0x32a5705f, v11
	v_sub_f32_e32 v14, v14, v18
	v_add_f32_e32 v14, v14, v17
	v_exp_f32_e32 v14, v14
	v_cvt_i32_f32_e32 v17, v18
	v_cmp_ngt_f32_e32 vcc, s4, v12
	v_cndmask_b32_e32 v4, 0, v4, vcc
	v_cmp_nlt_f32_e32 vcc, s8, v12
	v_cndmask_b32_e32 v4, v2, v4, vcc
	v_add_f32_e32 v3, v3, v4
	v_ldexp_f32 v4, v14, v17
	s_waitcnt vmcnt(5)
	v_sub_f32_e32 v10, v10, v8
	v_mul_f32_e32 v12, 0x3fb8aa3b, v10
	v_fma_f32 v14, v10, s5, -v12
	v_rndne_f32_e32 v17, v12
	v_fmac_f32_e32 v14, 0x32a5705f, v10
	v_sub_f32_e32 v12, v12, v17
	v_add_f32_e32 v12, v12, v14
	v_exp_f32_e32 v12, v12
	v_cvt_i32_f32_e32 v14, v17
	v_cmp_ngt_f32_e32 vcc, s4, v11
	v_cndmask_b32_e32 v4, 0, v4, vcc
	v_cmp_nlt_f32_e32 vcc, s8, v11
	s_waitcnt vmcnt(4)
	v_sub_f32_e32 v5, v5, v8
	v_cndmask_b32_e32 v4, v2, v4, vcc
	v_mul_f32_e32 v11, 0x3fb8aa3b, v5
	v_add_f32_e32 v3, v3, v4
	v_ldexp_f32 v4, v12, v14
	v_fma_f32 v12, v5, s5, -v11
	v_rndne_f32_e32 v14, v11
	v_fmac_f32_e32 v12, 0x32a5705f, v5
	v_sub_f32_e32 v11, v11, v14
	v_add_f32_e32 v11, v11, v12
	v_exp_f32_e32 v11, v11
	v_cvt_i32_f32_e32 v12, v14
	v_cmp_ngt_f32_e32 vcc, s4, v10
	v_cndmask_b32_e32 v4, 0, v4, vcc
	v_cmp_nlt_f32_e32 vcc, s8, v10
	s_waitcnt vmcnt(3)
	v_sub_f32_e32 v9, v9, v8
	v_cndmask_b32_e32 v4, v2, v4, vcc
	v_mul_f32_e32 v10, 0x3fb8aa3b, v9
	v_add_f32_e32 v3, v3, v4
	v_ldexp_f32 v4, v11, v12
	v_fma_f32 v11, v9, s5, -v10
	v_rndne_f32_e32 v12, v10
	v_fmac_f32_e32 v11, 0x32a5705f, v9
	v_sub_f32_e32 v10, v10, v12
	v_add_f32_e32 v10, v10, v11
	v_exp_f32_e32 v10, v10
	v_cvt_i32_f32_e32 v11, v12
	v_cmp_ngt_f32_e32 vcc, s4, v5
	v_cndmask_b32_e32 v4, 0, v4, vcc
	v_cmp_nlt_f32_e32 vcc, s8, v5
	v_cndmask_b32_e32 v4, v2, v4, vcc
	v_add_f32_e32 v3, v3, v4
	v_ldexp_f32 v4, v10, v11
	s_waitcnt vmcnt(2)
	v_sub_f32_e32 v5, v13, v8
	buffer_load_dword v10, off, s[0:3], 0 offset:104
	v_mul_f32_e32 v11, 0x3fb8aa3b, v5
	v_fma_f32 v12, v5, s5, -v11
	v_rndne_f32_e32 v13, v11
	v_fmac_f32_e32 v12, 0x32a5705f, v5
	v_sub_f32_e32 v11, v11, v13
	v_add_f32_e32 v11, v11, v12
	v_exp_f32_e32 v11, v11
	v_cvt_i32_f32_e32 v12, v13
	v_cmp_ngt_f32_e32 vcc, s4, v9
	v_cndmask_b32_e32 v4, 0, v4, vcc
	v_cmp_nlt_f32_e32 vcc, s8, v9
	buffer_load_dword v9, off, s[0:3], 0 offset:108
	v_cndmask_b32_e32 v4, v2, v4, vcc
	v_add_f32_e32 v3, v3, v4
	v_ldexp_f32 v4, v11, v12
	s_waitcnt vmcnt(3)
	v_sub_f32_e32 v11, v15, v8
	v_mul_f32_e32 v12, 0x3fb8aa3b, v11
	v_fma_f32 v13, v11, s5, -v12
	v_rndne_f32_e32 v14, v12
	v_fmac_f32_e32 v13, 0x32a5705f, v11
	v_sub_f32_e32 v12, v12, v14
	v_cmp_ngt_f32_e32 vcc, s4, v5
	v_add_f32_e32 v12, v12, v13
	v_cndmask_b32_e32 v4, 0, v4, vcc
	v_exp_f32_e32 v12, v12
	v_cvt_i32_f32_e32 v13, v14
	v_cmp_nlt_f32_e32 vcc, s8, v5
	buffer_load_dword v5, off, s[0:3], 0 offset:112
	v_cndmask_b32_e32 v4, v2, v4, vcc
	v_add_f32_e32 v3, v3, v4
	v_ldexp_f32 v4, v12, v13
	v_mul_f32_e32 v12, 0x3fb8aa3b, v1
	v_fma_f32 v13, v1, s5, -v12
	v_rndne_f32_e32 v14, v12
	v_fmac_f32_e32 v13, 0x32a5705f, v1
	v_sub_f32_e32 v12, v12, v14
	v_cmp_ngt_f32_e32 vcc, s4, v11
	v_add_f32_e32 v12, v12, v13
	v_cndmask_b32_e32 v4, 0, v4, vcc
	v_exp_f32_e32 v12, v12
	v_cvt_i32_f32_e32 v13, v14
	v_cmp_nlt_f32_e32 vcc, s8, v11
	buffer_load_dword v11, off, s[0:3], 0 offset:116
	v_cndmask_b32_e32 v4, v2, v4, vcc
	v_add_f32_e32 v3, v3, v4
	v_ldexp_f32 v4, v12, v13
	v_cmp_ngt_f32_e32 vcc, s4, v1
	v_cndmask_b32_e32 v4, 0, v4, vcc
	v_mul_f32_e32 v12, 0x3fb8aa3b, v0
	v_cmp_nlt_f32_e32 vcc, s8, v1
	v_fma_f32 v13, v0, s5, -v12
	v_rndne_f32_e32 v14, v12
	v_cndmask_b32_e32 v1, v2, v4, vcc
	v_fmac_f32_e32 v13, 0x32a5705f, v0
	v_sub_f32_e32 v12, v12, v14
	v_add_f32_e32 v1, v3, v1
	buffer_load_dword v3, off, s[0:3], 0 offset:120
	v_add_f32_e32 v12, v12, v13
	v_exp_f32_e32 v12, v12
	v_cvt_i32_f32_e32 v13, v14
	v_cmp_ngt_f32_e32 vcc, s4, v0
	v_ldexp_f32 v4, v12, v13
	v_cndmask_b32_e32 v4, 0, v4, vcc
	v_cmp_nlt_f32_e32 vcc, s8, v0
	v_cndmask_b32_e32 v0, v2, v4, vcc
	buffer_load_dword v4, off, s[0:3], 0 offset:124
	s_waitcnt vmcnt(6)
	v_sub_f32_e32 v12, v16, v8
	v_mul_f32_e32 v13, 0x3fb8aa3b, v12
	v_fma_f32 v14, v12, s5, -v13
	v_rndne_f32_e32 v15, v13
	v_fmac_f32_e32 v14, 0x32a5705f, v12
	v_sub_f32_e32 v13, v13, v15
	v_add_f32_e32 v13, v13, v14
	v_exp_f32_e32 v13, v13
	v_cvt_i32_f32_e32 v14, v15
	v_add_f32_e32 v0, v1, v0
	v_cmp_ngt_f32_e32 vcc, s4, v12
	s_waitcnt vmcnt(5)
	v_sub_f32_e32 v10, v10, v8
	v_ldexp_f32 v1, v13, v14
	v_mul_f32_e32 v13, 0x3fb8aa3b, v10
	v_fma_f32 v14, v10, s5, -v13
	v_rndne_f32_e32 v15, v13
	v_fmac_f32_e32 v14, 0x32a5705f, v10
	v_sub_f32_e32 v13, v13, v15
	v_add_f32_e32 v13, v13, v14
	v_exp_f32_e32 v13, v13
	v_cvt_i32_f32_e32 v14, v15
	v_cndmask_b32_e32 v1, 0, v1, vcc
	v_cmp_nlt_f32_e32 vcc, s8, v12
	s_waitcnt vmcnt(4)
	v_sub_f32_e32 v9, v9, v8
	v_cndmask_b32_e32 v1, v2, v1, vcc
	v_mul_f32_e32 v12, 0x3fb8aa3b, v9
	v_add_f32_e32 v0, v0, v1
	v_ldexp_f32 v1, v13, v14
	v_fma_f32 v13, v9, s5, -v12
	v_rndne_f32_e32 v14, v12
	v_fmac_f32_e32 v13, 0x32a5705f, v9
	v_sub_f32_e32 v12, v12, v14
	v_add_f32_e32 v12, v12, v13
	v_exp_f32_e32 v12, v12
	v_cvt_i32_f32_e32 v13, v14
	v_cmp_ngt_f32_e32 vcc, s4, v10
	v_cndmask_b32_e32 v1, 0, v1, vcc
	v_cmp_nlt_f32_e32 vcc, s8, v10
	v_cndmask_b32_e32 v1, v2, v1, vcc
	s_waitcnt vmcnt(3)
	v_sub_f32_e32 v5, v5, v8
	v_mul_f32_e32 v10, 0x3fb8aa3b, v5
	v_add_f32_e32 v0, v0, v1
	v_ldexp_f32 v1, v12, v13
	v_fma_f32 v12, v5, s5, -v10
	v_rndne_f32_e32 v13, v10
	v_fmac_f32_e32 v12, 0x32a5705f, v5
	v_sub_f32_e32 v10, v10, v13
	v_add_f32_e32 v10, v10, v12
	v_exp_f32_e32 v10, v10
	v_cvt_i32_f32_e32 v12, v13
	v_cmp_ngt_f32_e32 vcc, s4, v9
	v_cndmask_b32_e32 v1, 0, v1, vcc
	v_cmp_nlt_f32_e32 vcc, s8, v9
	v_cndmask_b32_e32 v1, v2, v1, vcc
	s_waitcnt vmcnt(2)
	v_sub_f32_e32 v9, v11, v8
	v_add_f32_e32 v0, v0, v1
	v_ldexp_f32 v1, v10, v12
	v_mul_f32_e32 v10, 0x3fb8aa3b, v9
	v_fma_f32 v11, v9, s5, -v10
	v_rndne_f32_e32 v12, v10
	v_fmac_f32_e32 v11, 0x32a5705f, v9
	v_sub_f32_e32 v10, v10, v12
	v_add_f32_e32 v10, v10, v11
	v_exp_f32_e32 v10, v10
	v_cvt_i32_f32_e32 v11, v12
	v_cmp_ngt_f32_e32 vcc, s4, v5
	v_cndmask_b32_e32 v1, 0, v1, vcc
	v_cmp_nlt_f32_e32 vcc, s8, v5
	s_waitcnt vmcnt(1)
	v_sub_f32_e32 v3, v3, v8
	v_cndmask_b32_e32 v1, v2, v1, vcc
	v_mul_f32_e32 v5, 0x3fb8aa3b, v3
	v_add_f32_e32 v0, v0, v1
	v_ldexp_f32 v1, v10, v11
	v_fma_f32 v10, v3, s5, -v5
	v_rndne_f32_e32 v11, v5
	v_fmac_f32_e32 v10, 0x32a5705f, v3
	v_sub_f32_e32 v5, v5, v11
	v_add_f32_e32 v5, v5, v10
	v_exp_f32_e32 v5, v5
	v_cvt_i32_f32_e32 v10, v11
	v_cmp_ngt_f32_e32 vcc, s4, v9
	v_cndmask_b32_e32 v1, 0, v1, vcc
	v_cmp_nlt_f32_e32 vcc, s8, v9
	v_cndmask_b32_e32 v1, v2, v1, vcc
	s_waitcnt vmcnt(0)
	v_sub_f32_e32 v4, v4, v8
	v_add_f32_e32 v0, v0, v1
	v_ldexp_f32 v1, v5, v10
	v_mul_f32_e32 v5, 0x3fb8aa3b, v4
	v_fma_f32 v8, v4, s5, -v5
	v_rndne_f32_e32 v9, v5
	v_fmac_f32_e32 v8, 0x32a5705f, v4
	v_sub_f32_e32 v5, v5, v9
	v_add_f32_e32 v5, v5, v8
	v_exp_f32_e32 v5, v5
	v_cvt_i32_f32_e32 v8, v9
	v_cmp_ngt_f32_e32 vcc, s4, v3
	v_cndmask_b32_e32 v1, 0, v1, vcc
	v_cmp_nlt_f32_e32 vcc, s8, v3
	v_cndmask_b32_e32 v1, v2, v1, vcc
	v_add_f32_e32 v0, v0, v1
	v_ldexp_f32 v1, v5, v8
	v_cmp_ngt_f32_e32 vcc, s4, v4
	v_cndmask_b32_e32 v1, 0, v1, vcc
	v_cmp_nlt_f32_e32 vcc, s8, v4
	v_cndmask_b32_e32 v1, v2, v1, vcc
	v_add_f32_e32 v0, v0, v1
	s_nop 1
	v_mov_b32_dpp v1, v0 quad_perm:[1,0,3,2] row_mask:0xf bank_mask:0xf
	v_add_f32_e32 v0, v0, v1
	s_nop 1
	v_mov_b32_dpp v1, v0 quad_perm:[2,3,0,1] row_mask:0xf bank_mask:0xf
	v_add_f32_e32 v0, v0, v1
	s_nop 1
	v_mov_b32_dpp v1, v0 row_half_mirror row_mask:0xf bank_mask:0xf
	v_add_f32_e32 v0, v0, v1
	s_nop 1
	v_mov_b32_dpp v1, v0 row_mirror row_mask:0xf bank_mask:0xf
	s_and_b64 exec, exec, s[6:7]
	s_cbranch_execz .LBB301_32
; %bb.20:
	v_add_f32_e32 v0, v0, v1
	v_add_f32_e32 v0, v7, v0
	v_cmp_neq_f32_e32 vcc, 0, v0
	s_and_b64 exec, exec, vcc
	s_cbranch_execz .LBB301_32
; %bb.21:
	s_andn2_b64 vcc, exec, s[10:11]
	s_cbranch_vccnz .LBB301_32
; %bb.22:
	v_div_scale_f32 v1, s[4:5], v0, v0, 1.0
	v_rcp_f32_e32 v2, v1
	v_div_scale_f32 v3, vcc, 1.0, v0, 1.0
	s_cmp_gt_u32 s12, 3
	v_fma_f32 v4, -v1, v2, 1.0
	v_fmac_f32_e32 v2, v4, v2
	v_mul_f32_e32 v4, v3, v2
	v_fma_f32 v5, -v1, v4, v3
	v_fmac_f32_e32 v4, v5, v2
	v_fma_f32 v1, -v1, v4, v3
	v_div_fmas_f32 v1, v1, v2, v4
	v_mul_lo_u32 v2, v6, s15
	v_div_fixup_f32 v0, v1, v0, 1.0
	v_ashrrev_i32_e32 v3, 31, v2
	s_cbranch_scc0 .LBB301_26
; %bb.23:
	v_lshlrev_b64 v[4:5], 2, v[2:3]
	v_mov_b32_e32 v6, s21
	v_add_co_u32_e32 v4, vcc, s20, v4
	v_addc_co_u32_e32 v5, vcc, v5, v6, vcc
	s_and_b32 s8, s12, 0x7ffffffc
	v_add_co_u32_e32 v4, vcc, 8, v4
	v_mov_b32_e32 v1, v0
	v_addc_co_u32_e32 v5, vcc, 0, v5, vcc
	s_mov_b32 s4, s8
.LBB301_24:                             ; =>This Inner Loop Header: Depth=1
	global_load_dwordx4 v[6:9], v[4:5], off offset:-8
	s_add_i32 s4, s4, -4
	s_cmp_lg_u32 s4, 0
	s_waitcnt vmcnt(0)
	v_pk_mul_f32 v[6:7], v[0:1], v[6:7]
	v_pk_mul_f32 v[8:9], v[0:1], v[8:9]
	global_store_dwordx4 v[4:5], v[6:9], off offset:-8
	v_add_co_u32_e32 v4, vcc, 16, v4
	v_addc_co_u32_e32 v5, vcc, 0, v5, vcc
	s_cbranch_scc1 .LBB301_24
; %bb.25:
	s_cmp_lg_u32 s8, s12
	s_mov_b64 s[6:7], 0
	s_cselect_b64 s[4:5], -1, 0
	s_branch .LBB301_27
.LBB301_26:
	s_mov_b64 s[6:7], -1
	s_mov_b64 s[4:5], 0
                                        ; implicit-def: $sgpr8
.LBB301_27:
	s_and_b64 vcc, exec, s[6:7]
	s_cbranch_vccz .LBB301_29
; %bb.28:
	s_mov_b64 s[4:5], -1
	s_mov_b32 s8, 0
.LBB301_29:
	s_andn2_b64 vcc, exec, s[4:5]
	s_cbranch_vccnz .LBB301_32
; %bb.30:
	v_add_co_u32_e32 v2, vcc, s8, v2
	v_addc_co_u32_e32 v3, vcc, 0, v3, vcc
	v_lshlrev_b64 v[2:3], 2, v[2:3]
	v_mov_b32_e32 v1, s21
	v_add_co_u32_e32 v2, vcc, s20, v2
	s_sub_i32 s4, s12, s8
	v_addc_co_u32_e32 v3, vcc, v1, v3, vcc
.LBB301_31:                             ; =>This Inner Loop Header: Depth=1
	global_load_dword v1, v[2:3], off
	s_add_i32 s4, s4, -1
	s_cmp_lg_u32 s4, 0
	s_waitcnt vmcnt(0)
	v_mul_f32_e32 v1, v0, v1
	global_store_dword v[2:3], v1, off
	v_add_co_u32_e32 v2, vcc, 4, v2
	v_addc_co_u32_e32 v3, vcc, 0, v3, vcc
	s_cbranch_scc1 .LBB301_31
.LBB301_32:
	s_endpgm
	.section	.rodata,"a",@progbits
	.p2align	6, 0x0
	.amdhsa_kernel _ZN4vllm3moe17topkGatingSoftmaxItLi32ELi512ELi2ELi64ELb0ELi1ELNS0_23SharedExpertScoringFuncE1EEEvPKT_PKbPfiPiS9_iiiiii
		.amdhsa_group_segment_fixed_size 0
		.amdhsa_private_segment_fixed_size 144
		.amdhsa_kernarg_size 72
		.amdhsa_user_sgpr_count 8
		.amdhsa_user_sgpr_private_segment_buffer 1
		.amdhsa_user_sgpr_dispatch_ptr 0
		.amdhsa_user_sgpr_queue_ptr 0
		.amdhsa_user_sgpr_kernarg_segment_ptr 1
		.amdhsa_user_sgpr_dispatch_id 0
		.amdhsa_user_sgpr_flat_scratch_init 1
		.amdhsa_user_sgpr_kernarg_preload_length 0
		.amdhsa_user_sgpr_kernarg_preload_offset 0
		.amdhsa_user_sgpr_private_segment_size 0
		.amdhsa_uses_dynamic_stack 0
		.amdhsa_system_sgpr_private_segment_wavefront_offset 1
		.amdhsa_system_sgpr_workgroup_id_x 1
		.amdhsa_system_sgpr_workgroup_id_y 0
		.amdhsa_system_sgpr_workgroup_id_z 0
		.amdhsa_system_sgpr_workgroup_info 0
		.amdhsa_system_vgpr_workitem_id 1
		.amdhsa_next_free_vgpr 61
		.amdhsa_next_free_sgpr 29
		.amdhsa_accum_offset 64
		.amdhsa_reserve_vcc 1
		.amdhsa_reserve_flat_scratch 0
		.amdhsa_float_round_mode_32 0
		.amdhsa_float_round_mode_16_64 0
		.amdhsa_float_denorm_mode_32 3
		.amdhsa_float_denorm_mode_16_64 3
		.amdhsa_dx10_clamp 1
		.amdhsa_ieee_mode 1
		.amdhsa_fp16_overflow 0
		.amdhsa_tg_split 0
		.amdhsa_exception_fp_ieee_invalid_op 0
		.amdhsa_exception_fp_denorm_src 0
		.amdhsa_exception_fp_ieee_div_zero 0
		.amdhsa_exception_fp_ieee_overflow 0
		.amdhsa_exception_fp_ieee_underflow 0
		.amdhsa_exception_fp_ieee_inexact 0
		.amdhsa_exception_int_div_zero 0
	.end_amdhsa_kernel
	.section	.text._ZN4vllm3moe17topkGatingSoftmaxItLi32ELi512ELi2ELi64ELb0ELi1ELNS0_23SharedExpertScoringFuncE1EEEvPKT_PKbPfiPiS9_iiiiii,"axG",@progbits,_ZN4vllm3moe17topkGatingSoftmaxItLi32ELi512ELi2ELi64ELb0ELi1ELNS0_23SharedExpertScoringFuncE1EEEvPKT_PKbPfiPiS9_iiiiii,comdat
.Lfunc_end301:
	.size	_ZN4vllm3moe17topkGatingSoftmaxItLi32ELi512ELi2ELi64ELb0ELi1ELNS0_23SharedExpertScoringFuncE1EEEvPKT_PKbPfiPiS9_iiiiii, .Lfunc_end301-_ZN4vllm3moe17topkGatingSoftmaxItLi32ELi512ELi2ELi64ELb0ELi1ELNS0_23SharedExpertScoringFuncE1EEEvPKT_PKbPfiPiS9_iiiiii
                                        ; -- End function
	.section	.AMDGPU.csdata,"",@progbits
; Kernel info:
; codeLenInByte = 6976
; NumSgprs: 33
; NumVgprs: 61
; NumAgprs: 0
; TotalNumVgprs: 61
; ScratchSize: 144
; MemoryBound: 0
; FloatMode: 240
; IeeeMode: 1
; LDSByteSize: 0 bytes/workgroup (compile time only)
; SGPRBlocks: 4
; VGPRBlocks: 7
; NumSGPRsForWavesPerEU: 33
; NumVGPRsForWavesPerEU: 61
; AccumOffset: 64
; Occupancy: 8
; WaveLimiterHint : 0
; COMPUTE_PGM_RSRC2:SCRATCH_EN: 1
; COMPUTE_PGM_RSRC2:USER_SGPR: 8
; COMPUTE_PGM_RSRC2:TRAP_HANDLER: 0
; COMPUTE_PGM_RSRC2:TGID_X_EN: 1
; COMPUTE_PGM_RSRC2:TGID_Y_EN: 0
; COMPUTE_PGM_RSRC2:TGID_Z_EN: 0
; COMPUTE_PGM_RSRC2:TIDIG_COMP_CNT: 1
; COMPUTE_PGM_RSRC3_GFX90A:ACCUM_OFFSET: 15
; COMPUTE_PGM_RSRC3_GFX90A:TG_SPLIT: 0
	.section	.text._ZN4vllm3moe17topkGatingSoftmaxItLi32ELi512ELi2ELi64ELb1ELi2ELNS0_23SharedExpertScoringFuncE1EEEvPKT_PKbPfiPiS9_iiiiii,"axG",@progbits,_ZN4vllm3moe17topkGatingSoftmaxItLi32ELi512ELi2ELi64ELb1ELi2ELNS0_23SharedExpertScoringFuncE1EEEvPKT_PKbPfiPiS9_iiiiii,comdat
	.protected	_ZN4vllm3moe17topkGatingSoftmaxItLi32ELi512ELi2ELi64ELb1ELi2ELNS0_23SharedExpertScoringFuncE1EEEvPKT_PKbPfiPiS9_iiiiii ; -- Begin function _ZN4vllm3moe17topkGatingSoftmaxItLi32ELi512ELi2ELi64ELb1ELi2ELNS0_23SharedExpertScoringFuncE1EEEvPKT_PKbPfiPiS9_iiiiii
	.globl	_ZN4vllm3moe17topkGatingSoftmaxItLi32ELi512ELi2ELi64ELb1ELi2ELNS0_23SharedExpertScoringFuncE1EEEvPKT_PKbPfiPiS9_iiiiii
	.p2align	8
	.type	_ZN4vllm3moe17topkGatingSoftmaxItLi32ELi512ELi2ELi64ELb1ELi2ELNS0_23SharedExpertScoringFuncE1EEEvPKT_PKbPfiPiS9_iiiiii,@function
_ZN4vllm3moe17topkGatingSoftmaxItLi32ELi512ELi2ELi64ELb1ELi2ELNS0_23SharedExpertScoringFuncE1EEEvPKT_PKbPfiPiS9_iiiiii: ; @_ZN4vllm3moe17topkGatingSoftmaxItLi32ELi512ELi2ELi64ELb1ELi2ELNS0_23SharedExpertScoringFuncE1EEEvPKT_PKbPfiPiS9_iiiiii
; %bb.0:
	s_load_dword s28, s[4:5], 0x18
	s_add_u32 s0, s0, s9
	v_bfe_u32 v1, v0, 10, 10
	v_and_b32_e32 v0, 0x3ff, v0
	s_addc_u32 s1, s1, 0
	s_lshl_b32 s29, s8, 3
	v_lshlrev_b32_e32 v41, 2, v1
	v_lshrrev_b32_e32 v42, 4, v0
	v_add3_u32 v6, s29, v41, v42
	s_waitcnt lgkmcnt(0)
	v_cmp_gt_i32_e32 vcc, s28, v6
	s_and_saveexec_b64 s[6:7], vcc
	s_cbranch_execz .LBB302_29
; %bb.1:
	s_load_dwordx4 s[8:11], s[4:5], 0x0
	s_load_dwordx2 s[20:21], s[4:5], 0x10
	s_waitcnt lgkmcnt(0)
	s_cmp_eq_u64 s[10:11], 0
	s_cbranch_scc1 .LBB302_3
; %bb.2:
	v_ashrrev_i32_e32 v1, 31, v6
	v_mov_b32_e32 v3, s11
	v_add_co_u32_e32 v2, vcc, s10, v6
	v_addc_co_u32_e32 v3, vcc, v3, v1, vcc
	global_load_ubyte v1, v[2:3], off
	s_waitcnt vmcnt(0)
	v_and_b32_e32 v1, 1, v1
	v_cmp_eq_u32_e32 vcc, 1, v1
	s_xor_b64 s[6:7], vcc, -1
	s_orn2_b64 s[22:23], s[6:7], exec
	s_branch .LBB302_4
.LBB302_3:
	s_mov_b64 s[22:23], -1
.LBB302_4:
	s_load_dwordx2 s[26:27], s[4:5], 0x40
	s_load_dwordx4 s[12:15], s[4:5], 0x30
	v_mov_b32_e32 v1, s9
	v_and_b32_e32 v7, 15, v0
	v_lshlrev_b32_e32 v0, 6, v7
	s_waitcnt lgkmcnt(0)
	v_mul_lo_u32 v2, v6, s27
	v_ashrrev_i32_e32 v3, 31, v2
	v_lshlrev_b64 v[2:3], 1, v[2:3]
	v_add_co_u32_e32 v10, vcc, s8, v2
	v_addc_co_u32_e32 v26, vcc, v1, v3, vcc
	v_add_co_u32_e32 v4, vcc, v10, v0
	v_addc_co_u32_e32 v5, vcc, 0, v26, vcc
	global_load_dwordx4 v[0:3], v[4:5], off
	global_load_dwordx4 v[28:31], v[4:5], off offset:16
	global_load_dwordx4 v[32:35], v[4:5], off offset:32
	;; [unrolled: 1-line block ×3, first 2 shown]
	v_mov_b32_e32 v8, 0
	v_lshlrev_b32_e32 v9, 5, v7
	v_cmp_gt_u32_e32 vcc, 2, v7
	s_waitcnt vmcnt(3)
	v_cvt_f32_u32_sdwa v11, v0 dst_sel:DWORD dst_unused:UNUSED_PAD src0_sel:WORD_1
	v_cvt_f32_u32_sdwa v25, v0 dst_sel:DWORD dst_unused:UNUSED_PAD src0_sel:WORD_0
	v_cvt_f32_u32_sdwa v13, v1 dst_sel:DWORD dst_unused:UNUSED_PAD src0_sel:WORD_1
	v_cvt_f32_u32_sdwa v12, v1 dst_sel:DWORD dst_unused:UNUSED_PAD src0_sel:WORD_0
	;; [unrolled: 2-line block ×4, first 2 shown]
	s_waitcnt vmcnt(2)
	v_cvt_f32_u32_sdwa v19, v28 dst_sel:DWORD dst_unused:UNUSED_PAD src0_sel:WORD_1
	v_cvt_f32_u32_sdwa v18, v28 dst_sel:DWORD dst_unused:UNUSED_PAD src0_sel:WORD_0
	v_cvt_f32_u32_sdwa v21, v29 dst_sel:DWORD dst_unused:UNUSED_PAD src0_sel:WORD_1
	v_cvt_f32_u32_sdwa v20, v29 dst_sel:DWORD dst_unused:UNUSED_PAD src0_sel:WORD_0
	;; [unrolled: 2-line block ×4, first 2 shown]
	s_waitcnt vmcnt(1)
	v_cvt_f32_u32_sdwa v3, v32 dst_sel:DWORD dst_unused:UNUSED_PAD src0_sel:WORD_1
	v_cvt_f32_u32_sdwa v4, v32 dst_sel:DWORD dst_unused:UNUSED_PAD src0_sel:WORD_0
	v_cvt_f32_u32_sdwa v1, v33 dst_sel:DWORD dst_unused:UNUSED_PAD src0_sel:WORD_1
	v_cvt_f32_u32_sdwa v2, v33 dst_sel:DWORD dst_unused:UNUSED_PAD src0_sel:WORD_0
	;; [unrolled: 2-line block ×3, first 2 shown]
	s_waitcnt vmcnt(0)
	v_cvt_f32_u32_sdwa v34, v39 dst_sel:DWORD dst_unused:UNUSED_PAD src0_sel:WORD_1
	v_cvt_f32_u32_sdwa v28, v35 dst_sel:DWORD dst_unused:UNUSED_PAD src0_sel:WORD_0
	v_cvt_f32_u32_sdwa v29, v35 dst_sel:DWORD dst_unused:UNUSED_PAD src0_sel:WORD_1
	v_cvt_f32_u32_sdwa v35, v39 dst_sel:DWORD dst_unused:UNUSED_PAD src0_sel:WORD_0
	v_cvt_f32_u32_sdwa v30, v36 dst_sel:DWORD dst_unused:UNUSED_PAD src0_sel:WORD_0
	v_cvt_f32_u32_sdwa v31, v36 dst_sel:DWORD dst_unused:UNUSED_PAD src0_sel:WORD_1
	v_cvt_f32_u32_sdwa v36, v38 dst_sel:DWORD dst_unused:UNUSED_PAD src0_sel:WORD_1
	v_cvt_f32_u32_sdwa v32, v37 dst_sel:DWORD dst_unused:UNUSED_PAD src0_sel:WORD_0
	v_cvt_f32_u32_sdwa v33, v37 dst_sel:DWORD dst_unused:UNUSED_PAD src0_sel:WORD_1
	v_cvt_f32_u32_sdwa v37, v38 dst_sel:DWORD dst_unused:UNUSED_PAD src0_sel:WORD_0
	buffer_store_dword v34, off, s[0:3], 0 offset:124
	buffer_store_dword v35, off, s[0:3], 0 offset:120
	;; [unrolled: 1-line block ×31, first 2 shown]
	buffer_store_dword v25, off, s[0:3], 0
	s_and_saveexec_b64 s[6:7], vcc
	s_cbranch_execz .LBB302_6
; %bb.5:
	v_lshlrev_b32_e32 v27, 1, v7
	v_add_co_u32_e32 v28, vcc, v10, v27
	v_addc_co_u32_e32 v29, vcc, 0, v26, vcc
	global_load_ushort v10, v[28:29], off offset:1024
	s_mov_b32 s8, 0xbfb8aa3b
	s_mov_b32 s9, 0x42ce8ed0
	;; [unrolled: 1-line block ×3, first 2 shown]
	v_mov_b32_e32 v28, 0x7f800000
	v_mul_lo_u32 v26, v6, s15
	v_add3_u32 v26, v26, s12, v7
	v_mov_b32_e32 v31, s21
	s_waitcnt vmcnt(0)
	v_cvt_f32_u32_e32 v10, v10
	v_mul_f32_e32 v27, 0xbfb8aa3b, v10
	v_fma_f32 v29, v10, s8, -v27
	v_rndne_f32_e32 v30, v27
	v_fmac_f32_e32 v29, 0xb2a5705f, v10
	v_sub_f32_e32 v27, v27, v30
	v_add_f32_e32 v27, v27, v29
	v_cvt_i32_f32_e32 v30, v30
	v_exp_f32_e32 v29, v27
	v_cmp_nlt_f32_e32 vcc, s9, v10
	v_ashrrev_i32_e32 v27, 31, v26
	v_lshlrev_b64 v[26:27], 2, v[26:27]
	v_ldexp_f32 v29, v29, v30
	v_cndmask_b32_e32 v29, 0, v29, vcc
	v_cmp_ngt_f32_e32 vcc, s10, v10
	v_cndmask_b32_e32 v10, v28, v29, vcc
	v_add_f32_e32 v10, 1.0, v10
	v_div_scale_f32 v28, s[8:9], v10, v10, 1.0
	v_rcp_f32_e32 v29, v28
	v_div_scale_f32 v30, vcc, 1.0, v10, 1.0
	v_fma_f32 v32, -v28, v29, 1.0
	v_fmac_f32_e32 v29, v32, v29
	v_mul_f32_e32 v32, v30, v29
	v_fma_f32 v33, -v28, v32, v30
	v_fmac_f32_e32 v32, v33, v29
	v_fma_f32 v28, -v28, v32, v30
	v_div_fmas_f32 v28, v28, v29, v32
	v_add_co_u32_e32 v26, vcc, s20, v26
	v_div_fixup_f32 v10, v28, v10, 1.0
	v_addc_co_u32_e32 v27, vcc, v31, v27, vcc
	global_store_dword v[26:27], v10, off
.LBB302_6:
	s_or_b64 exec, exec, s[6:7]
	buffer_load_dword v31, off, s[0:3], 0 offset:84
	buffer_load_dword v32, off, s[0:3], 0 offset:88
	;; [unrolled: 1-line block ×11, first 2 shown]
	v_cmp_lt_f32_e32 vcc, v25, v11
	v_or_b32_e32 v10, 1, v9
	v_cndmask_b32_e32 v25, v25, v11, vcc
	v_cndmask_b32_e32 v26, v9, v10, vcc
	v_cmp_lt_f32_e32 vcc, v25, v12
	v_or_b32_e32 v11, 2, v9
	v_cndmask_b32_e32 v25, v25, v12, vcc
	v_cndmask_b32_e32 v26, v26, v11, vcc
	;; [unrolled: 4-line block ×20, first 2 shown]
	s_waitcnt vmcnt(10)
	v_cmp_lt_f32_e32 vcc, v0, v31
	v_or_b32_e32 v30, 21, v9
	v_cndmask_b32_e32 v0, v0, v31, vcc
	v_cndmask_b32_e32 v1, v2, v30, vcc
	s_waitcnt vmcnt(9)
	v_cmp_lt_f32_e32 vcc, v0, v32
	v_or_b32_e32 v31, 22, v9
	v_cndmask_b32_e32 v0, v0, v32, vcc
	v_cndmask_b32_e32 v1, v1, v31, vcc
	;; [unrolled: 5-line block ×10, first 2 shown]
	v_or_b32_e32 v40, 31, v9
	s_waitcnt vmcnt(0)
	v_cmp_lt_f32_e32 vcc, v0, v43
	v_cndmask_b32_e32 v1, v1, v40, vcc
	v_cndmask_b32_e32 v0, v0, v43, vcc
	s_nop 0
	v_mov_b32_dpp v2, v1 quad_perm:[1,0,3,2] row_mask:0xf bank_mask:0xf
	v_mov_b32_dpp v3, v0 quad_perm:[1,0,3,2] row_mask:0xf bank_mask:0xf
	v_cmp_eq_f32_e64 s[6:7], v0, v3
	v_cmp_lt_i32_e64 s[8:9], v2, v1
	v_cmp_lt_f32_e32 vcc, v0, v3
	s_and_b64 s[6:7], s[6:7], s[8:9]
	s_or_b64 vcc, vcc, s[6:7]
	v_cndmask_b32_e32 v0, v0, v3, vcc
	v_cndmask_b32_e32 v1, v1, v2, vcc
	s_nop 0
	v_mov_b32_dpp v3, v0 quad_perm:[2,3,0,1] row_mask:0xf bank_mask:0xf
	v_mov_b32_dpp v2, v1 quad_perm:[2,3,0,1] row_mask:0xf bank_mask:0xf
	v_cmp_eq_f32_e64 s[6:7], v0, v3
	v_cmp_lt_i32_e64 s[8:9], v2, v1
	v_cmp_lt_f32_e32 vcc, v0, v3
	s_and_b64 s[6:7], s[6:7], s[8:9]
	s_or_b64 vcc, vcc, s[6:7]
	v_cndmask_b32_e32 v0, v0, v3, vcc
	v_cndmask_b32_e32 v1, v1, v2, vcc
	s_nop 0
	v_mov_b32_dpp v3, v0 row_half_mirror row_mask:0xf bank_mask:0xf
	v_mov_b32_dpp v2, v1 row_half_mirror row_mask:0xf bank_mask:0xf
	v_cmp_eq_f32_e64 s[6:7], v0, v3
	v_cmp_lt_i32_e64 s[8:9], v2, v1
	v_cmp_lt_f32_e32 vcc, v0, v3
	s_and_b64 s[6:7], s[6:7], s[8:9]
	s_or_b64 vcc, vcc, s[6:7]
	v_cndmask_b32_e32 v0, v0, v3, vcc
	v_cndmask_b32_e32 v1, v1, v2, vcc
	s_cmp_gt_i32 s12, 0
	v_mov_b32_dpp v3, v0 row_mirror row_mask:0xf bank_mask:0xf
	v_mov_b32_dpp v2, v1 row_mirror row_mask:0xf bank_mask:0xf
	s_cselect_b64 s[24:25], -1, 0
	s_cmp_lt_i32 s12, 1
	v_cmp_eq_u32_e32 vcc, 0, v7
	s_cbranch_scc1 .LBB302_18
; %bb.7:
	s_load_dwordx4 s[16:19], s[4:5], 0x20
	v_cmp_eq_f32_e64 s[8:9], v0, v3
	v_cmp_lt_i32_e64 s[10:11], v2, v1
	v_cmp_lt_f32_e64 s[6:7], v0, v3
	s_and_b64 s[8:9], s[8:9], s[10:11]
	s_or_b64 s[6:7], s[6:7], s[8:9]
	v_cndmask_b32_e64 v44, v1, v2, s[6:7]
	v_cndmask_b32_e64 v43, v0, v3, s[6:7]
	v_mul_lo_u32 v4, v6, s15
	v_mul_lo_u32 v2, v6, s26
	;; [unrolled: 1-line block ×3, first 2 shown]
	v_mov_b32_e32 v8, 0
	s_and_saveexec_b64 s[8:9], vcc
	s_cbranch_execz .LBB302_9
; %bb.8:
	v_sub_f32_e32 v1, v43, v43
	v_mul_f32_e32 v3, 0x3fb8aa3b, v1
	s_mov_b32 s4, 0x3fb8aa3b
	v_rndne_f32_e32 v5, v3
	v_sub_f32_e32 v8, v3, v5
	v_fma_f32 v3, v1, s4, -v3
	v_fmac_f32_e32 v3, 0x32a5705f, v1
	v_add_f32_e32 v3, v8, v3
	v_exp_f32_e32 v3, v3
	v_cvt_i32_f32_e32 v5, v5
	v_cmp_le_i32_e64 s[4:5], s13, v44
	v_cmp_gt_i32_e64 s[6:7], s14, v44
	s_and_b64 s[6:7], s[4:5], s[6:7]
	s_mov_b32 s4, 0xc2ce8ed0
	v_ldexp_f32 v3, v3, v5
	v_cmp_ngt_f32_e64 s[4:5], s4, v1
	v_cndmask_b32_e64 v3, 0, v3, s[4:5]
	s_mov_b32 s4, 0x42b17218
	v_mov_b32_e32 v5, 0x7f800000
	v_cmp_nlt_f32_e64 s[4:5], s4, v1
	v_cndmask_b32_e64 v8, v5, v3, s[4:5]
	v_ashrrev_i32_e32 v5, 31, v4
	v_lshlrev_b64 v[46:47], 2, v[4:5]
	v_mov_b32_e32 v1, s21
	v_add_co_u32_e64 v46, s[4:5], s20, v46
	v_addc_co_u32_e64 v47, s[4:5], v1, v47, s[4:5]
	v_subrev_u32_e32 v1, s13, v44
	v_mov_b32_e32 v3, 0x200
	s_and_b64 s[4:5], s[22:23], s[6:7]
	v_cndmask_b32_e64 v1, v3, v1, s[4:5]
	v_ashrrev_i32_e32 v3, 31, v2
	global_store_dword v[46:47], v8, off
	v_lshlrev_b64 v[46:47], 2, v[2:3]
	s_waitcnt lgkmcnt(0)
	v_mov_b32_e32 v3, s17
	v_add_co_u32_e64 v46, s[4:5], s16, v46
	v_addc_co_u32_e64 v47, s[4:5], v3, v47, s[4:5]
	global_store_dword v[46:47], v1, off
	v_ashrrev_i32_e32 v1, 31, v0
	v_lshlrev_b64 v[46:47], 2, v[0:1]
	v_mov_b32_e32 v1, s19
	v_add_co_u32_e64 v46, s[4:5], s18, v46
	v_addc_co_u32_e64 v47, s[4:5], v1, v47, s[4:5]
	global_store_dword v[46:47], v6, off
.LBB302_9:
	s_or_b64 exec, exec, s[8:9]
	v_ashrrev_i32_e32 v3, 31, v44
	v_lshrrev_b32_e32 v1, 27, v3
	v_add_u32_e32 v1, v44, v1
	v_ashrrev_i32_e32 v1, 5, v1
	v_lshrrev_b32_e32 v5, 28, v1
	v_add_u32_e32 v5, v1, v5
	v_and_b32_e32 v5, -16, v5
	v_sub_u32_e32 v5, v1, v5
	v_cmp_eq_u32_e64 s[4:5], v7, v5
	s_and_saveexec_b64 s[6:7], s[4:5]
	s_cbranch_execz .LBB302_11
; %bb.10:
	v_lshrrev_b32_e32 v3, 23, v3
	v_add_u32_e32 v3, v44, v3
	v_lshlrev_b32_e32 v1, 5, v1
	v_ashrrev_i32_e32 v3, 9, v3
	v_sub_u32_e32 v1, v44, v1
	v_lshl_add_u32 v1, v3, 5, v1
	v_mov_b32_e32 v3, 0
	v_lshl_add_u32 v1, v1, 2, v3
	v_mov_b32_e32 v3, 0xff800000
	buffer_store_dword v3, v1, s[0:3], 0 offen
.LBB302_11:
	s_or_b64 exec, exec, s[6:7]
	s_cmp_eq_u32 s12, 1
	s_cbranch_scc1 .LBB302_18
; %bb.12:
	s_add_i32 s29, s29, s28
	s_add_i32 s10, s12, -1
	v_add3_u32 v41, s29, v42, v41
	v_add_u32_e32 v0, 1, v0
	v_add_u32_e32 v2, 1, v2
	v_add_u32_e32 v4, 1, v4
	s_mov_b32 s11, 0x3fb8aa3b
	s_mov_b32 s26, 0xc2ce8ed0
	;; [unrolled: 1-line block ×3, first 2 shown]
	v_mov_b32_e32 v42, 0
	v_mov_b32_e32 v44, 0xff800000
	;; [unrolled: 1-line block ×4, first 2 shown]
	s_branch .LBB302_14
.LBB302_13:                             ;   in Loop: Header=BB302_14 Depth=1
	s_or_b64 exec, exec, s[6:7]
	s_add_i32 s10, s10, -1
	v_add_u32_e32 v41, s28, v41
	v_add_u32_e32 v0, 1, v0
	;; [unrolled: 1-line block ×3, first 2 shown]
	s_cmp_eq_u32 s10, 0
	v_add_u32_e32 v4, 1, v4
	s_cbranch_scc1 .LBB302_18
.LBB302_14:                             ; =>This Inner Loop Header: Depth=1
	buffer_load_dword v1, off, s[0:3], 0
	buffer_load_dword v3, off, s[0:3], 0 offset:4
	buffer_load_dword v5, off, s[0:3], 0 offset:8
	;; [unrolled: 1-line block ×15, first 2 shown]
	s_waitcnt vmcnt(14)
	v_cmp_gt_f32_e64 s[4:5], v3, v1
	v_cndmask_b32_e64 v1, v1, v3, s[4:5]
	v_cndmask_b32_e64 v60, v9, v10, s[4:5]
	s_waitcnt vmcnt(13)
	v_cmp_gt_f32_e64 s[4:5], v5, v1
	v_cndmask_b32_e64 v1, v1, v5, s[4:5]
	buffer_load_dword v5, off, s[0:3], 0 offset:64
	v_cndmask_b32_e64 v3, v60, v11, s[4:5]
	s_waitcnt vmcnt(13)
	v_cmp_gt_f32_e64 s[4:5], v47, v1
	v_cndmask_b32_e64 v1, v1, v47, s[4:5]
	v_cndmask_b32_e64 v3, v3, v12, s[4:5]
	s_waitcnt vmcnt(12)
	v_cmp_gt_f32_e64 s[4:5], v48, v1
	v_cndmask_b32_e64 v1, v1, v48, s[4:5]
	v_cndmask_b32_e64 v3, v3, v13, s[4:5]
	s_waitcnt vmcnt(11)
	v_cmp_gt_f32_e64 s[4:5], v49, v1
	v_cndmask_b32_e64 v1, v1, v49, s[4:5]
	v_cndmask_b32_e64 v3, v3, v14, s[4:5]
	s_waitcnt vmcnt(10)
	v_cmp_gt_f32_e64 s[4:5], v50, v1
	v_cndmask_b32_e64 v1, v1, v50, s[4:5]
	v_cndmask_b32_e64 v3, v3, v15, s[4:5]
	s_waitcnt vmcnt(9)
	v_cmp_gt_f32_e64 s[4:5], v51, v1
	v_cndmask_b32_e64 v1, v1, v51, s[4:5]
	v_cndmask_b32_e64 v3, v3, v16, s[4:5]
	s_waitcnt vmcnt(8)
	v_cmp_gt_f32_e64 s[4:5], v52, v1
	v_cndmask_b32_e64 v1, v1, v52, s[4:5]
	v_cndmask_b32_e64 v3, v3, v17, s[4:5]
	s_waitcnt vmcnt(7)
	v_cmp_gt_f32_e64 s[4:5], v53, v1
	v_cndmask_b32_e64 v1, v1, v53, s[4:5]
	v_cndmask_b32_e64 v3, v3, v18, s[4:5]
	s_waitcnt vmcnt(6)
	v_cmp_gt_f32_e64 s[4:5], v54, v1
	v_cndmask_b32_e64 v1, v1, v54, s[4:5]
	v_cndmask_b32_e64 v3, v3, v19, s[4:5]
	s_waitcnt vmcnt(5)
	v_cmp_gt_f32_e64 s[4:5], v55, v1
	v_cndmask_b32_e64 v1, v1, v55, s[4:5]
	v_cndmask_b32_e64 v3, v3, v20, s[4:5]
	s_waitcnt vmcnt(4)
	v_cmp_gt_f32_e64 s[4:5], v56, v1
	v_cndmask_b32_e64 v1, v1, v56, s[4:5]
	v_cndmask_b32_e64 v3, v3, v21, s[4:5]
	s_waitcnt vmcnt(3)
	v_cmp_gt_f32_e64 s[4:5], v57, v1
	v_cndmask_b32_e64 v1, v1, v57, s[4:5]
	v_cndmask_b32_e64 v3, v3, v22, s[4:5]
	s_waitcnt vmcnt(2)
	v_cmp_gt_f32_e64 s[4:5], v58, v1
	v_cndmask_b32_e64 v1, v1, v58, s[4:5]
	v_cndmask_b32_e64 v3, v3, v23, s[4:5]
	s_waitcnt vmcnt(1)
	v_cmp_gt_f32_e64 s[4:5], v59, v1
	v_cndmask_b32_e64 v1, v1, v59, s[4:5]
	v_cndmask_b32_e64 v3, v3, v24, s[4:5]
	s_waitcnt vmcnt(0)
	v_cmp_gt_f32_e64 s[4:5], v5, v1
	v_cndmask_b32_e64 v1, v1, v5, s[4:5]
	buffer_load_dword v5, off, s[0:3], 0 offset:68
	v_cndmask_b32_e64 v3, v3, v25, s[4:5]
	s_waitcnt vmcnt(0)
	v_cmp_gt_f32_e64 s[4:5], v5, v1
	v_cndmask_b32_e64 v1, v1, v5, s[4:5]
	buffer_load_dword v5, off, s[0:3], 0 offset:72
	v_cndmask_b32_e64 v3, v3, v26, s[4:5]
	s_waitcnt vmcnt(0)
	v_cmp_gt_f32_e64 s[4:5], v5, v1
	v_cndmask_b32_e64 v1, v1, v5, s[4:5]
	;; [unrolled: 5-line block ×15, first 2 shown]
	v_cndmask_b32_e64 v1, v1, v5, s[4:5]
	s_nop 0
	v_mov_b32_dpp v5, v3 quad_perm:[1,0,3,2] row_mask:0xf bank_mask:0xf
	v_mov_b32_dpp v47, v1 quad_perm:[1,0,3,2] row_mask:0xf bank_mask:0xf
	v_cmp_eq_f32_e64 s[6:7], v1, v47
	v_cmp_lt_i32_e64 s[8:9], v5, v3
	v_cmp_lt_f32_e64 s[4:5], v1, v47
	s_and_b64 s[6:7], s[6:7], s[8:9]
	s_or_b64 s[4:5], s[4:5], s[6:7]
	v_cndmask_b32_e64 v1, v1, v47, s[4:5]
	v_cndmask_b32_e64 v3, v3, v5, s[4:5]
	s_nop 0
	v_mov_b32_dpp v47, v1 quad_perm:[2,3,0,1] row_mask:0xf bank_mask:0xf
	v_mov_b32_dpp v5, v3 quad_perm:[2,3,0,1] row_mask:0xf bank_mask:0xf
	v_cmp_eq_f32_e64 s[6:7], v1, v47
	v_cmp_lt_i32_e64 s[8:9], v5, v3
	v_cmp_lt_f32_e64 s[4:5], v1, v47
	s_and_b64 s[6:7], s[6:7], s[8:9]
	s_or_b64 s[4:5], s[4:5], s[6:7]
	v_cndmask_b32_e64 v1, v1, v47, s[4:5]
	v_cndmask_b32_e64 v3, v3, v5, s[4:5]
	s_nop 0
	v_mov_b32_dpp v47, v1 row_half_mirror row_mask:0xf bank_mask:0xf
	v_mov_b32_dpp v5, v3 row_half_mirror row_mask:0xf bank_mask:0xf
	v_cmp_eq_f32_e64 s[6:7], v1, v47
	v_cmp_lt_i32_e64 s[8:9], v5, v3
	v_cmp_lt_f32_e64 s[4:5], v1, v47
	s_and_b64 s[6:7], s[6:7], s[8:9]
	s_or_b64 s[4:5], s[4:5], s[6:7]
	v_cndmask_b32_e64 v1, v1, v47, s[4:5]
	v_cndmask_b32_e64 v5, v3, v5, s[4:5]
	s_nop 0
	v_mov_b32_dpp v3, v1 row_mirror row_mask:0xf bank_mask:0xf
	v_mov_b32_dpp v47, v5 row_mirror row_mask:0xf bank_mask:0xf
	v_cmp_eq_f32_e64 s[6:7], v1, v3
	v_cmp_lt_i32_e64 s[8:9], v47, v5
	v_cmp_lt_f32_e64 s[4:5], v1, v3
	s_and_b64 s[6:7], s[6:7], s[8:9]
	s_or_b64 s[4:5], s[4:5], s[6:7]
	v_cndmask_b32_e64 v47, v5, v47, s[4:5]
	s_and_saveexec_b64 s[8:9], vcc
	s_cbranch_execz .LBB302_16
; %bb.15:                               ;   in Loop: Header=BB302_14 Depth=1
	v_cndmask_b32_e64 v1, v1, v3, s[4:5]
	v_sub_f32_e32 v1, v1, v43
	v_mul_f32_e32 v3, 0x3fb8aa3b, v1
	v_fma_f32 v5, v1, s11, -v3
	v_rndne_f32_e32 v48, v3
	v_fmac_f32_e32 v5, 0x32a5705f, v1
	v_sub_f32_e32 v3, v3, v48
	v_add_f32_e32 v3, v3, v5
	v_exp_f32_e32 v3, v3
	v_cvt_i32_f32_e32 v5, v48
	v_cmp_le_i32_e64 s[4:5], s13, v47
	v_cmp_gt_i32_e64 s[6:7], s14, v47
	s_and_b64 s[6:7], s[4:5], s[6:7]
	v_ldexp_f32 v3, v3, v5
	v_cmp_ngt_f32_e64 s[4:5], s26, v1
	v_ashrrev_i32_e32 v5, 31, v4
	v_cndmask_b32_e64 v3, 0, v3, s[4:5]
	v_cmp_nlt_f32_e64 s[4:5], s27, v1
	v_lshlrev_b64 v[48:49], 2, v[4:5]
	v_cndmask_b32_e64 v50, v45, v3, s[4:5]
	v_mov_b32_e32 v1, s21
	v_add_co_u32_e64 v48, s[4:5], s20, v48
	v_addc_co_u32_e64 v49, s[4:5], v1, v49, s[4:5]
	v_ashrrev_i32_e32 v3, 31, v2
	global_store_dword v[48:49], v50, off
	v_subrev_u32_e32 v1, s13, v47
	s_and_b64 s[4:5], s[22:23], s[6:7]
	v_lshlrev_b64 v[48:49], 2, v[2:3]
	v_cndmask_b32_e64 v1, v46, v1, s[4:5]
	s_waitcnt lgkmcnt(0)
	v_mov_b32_e32 v3, s17
	v_add_co_u32_e64 v48, s[4:5], s16, v48
	v_addc_co_u32_e64 v49, s[4:5], v3, v49, s[4:5]
	global_store_dword v[48:49], v1, off
	v_ashrrev_i32_e32 v1, 31, v0
	v_lshlrev_b64 v[48:49], 2, v[0:1]
	v_mov_b32_e32 v1, s19
	v_add_co_u32_e64 v48, s[4:5], s18, v48
	v_addc_co_u32_e64 v49, s[4:5], v1, v49, s[4:5]
	v_add_f32_e32 v8, v8, v50
	global_store_dword v[48:49], v41, off
.LBB302_16:                             ;   in Loop: Header=BB302_14 Depth=1
	s_or_b64 exec, exec, s[8:9]
	v_ashrrev_i32_e32 v3, 31, v47
	v_lshrrev_b32_e32 v1, 27, v3
	v_add_u32_e32 v1, v47, v1
	v_ashrrev_i32_e32 v1, 5, v1
	v_lshrrev_b32_e32 v5, 28, v1
	v_add_u32_e32 v5, v1, v5
	v_and_b32_e32 v5, -16, v5
	v_sub_u32_e32 v5, v1, v5
	v_cmp_eq_u32_e64 s[4:5], v7, v5
	s_and_saveexec_b64 s[6:7], s[4:5]
	s_cbranch_execz .LBB302_13
; %bb.17:                               ;   in Loop: Header=BB302_14 Depth=1
	v_lshrrev_b32_e32 v3, 23, v3
	v_add_u32_e32 v3, v47, v3
	v_lshlrev_b32_e32 v1, 5, v1
	v_ashrrev_i32_e32 v3, 9, v3
	v_sub_u32_e32 v1, v47, v1
	v_lshl_add_u32 v1, v3, 5, v1
	v_lshl_add_u32 v1, v1, 2, v42
	buffer_store_dword v44, v1, s[0:3], 0 offen
	s_branch .LBB302_13
.LBB302_18:
	v_cmp_eq_u32_e32 vcc, 0, v7
	v_cmp_neq_f32_e64 s[4:5], 0, v8
	s_and_b64 s[4:5], vcc, s[4:5]
	s_and_b64 exec, exec, s[4:5]
	s_cbranch_execz .LBB302_29
; %bb.19:
	s_andn2_b64 vcc, exec, s[24:25]
	s_cbranch_vccnz .LBB302_29
; %bb.20:
	v_div_scale_f32 v0, s[4:5], v8, v8, 1.0
	v_rcp_f32_e32 v1, v0
	v_div_scale_f32 v2, vcc, 1.0, v8, 1.0
	s_cmp_gt_u32 s12, 3
	v_fma_f32 v3, -v0, v1, 1.0
	v_fmac_f32_e32 v1, v3, v1
	v_mul_f32_e32 v3, v2, v1
	v_fma_f32 v4, -v0, v3, v2
	v_fmac_f32_e32 v3, v4, v1
	v_fma_f32 v0, -v0, v3, v2
	v_div_fmas_f32 v0, v0, v1, v3
	v_mul_lo_u32 v2, v6, s15
	v_div_fixup_f32 v0, v0, v8, 1.0
	v_ashrrev_i32_e32 v3, 31, v2
	s_cbranch_scc0 .LBB302_24
; %bb.21:
	v_lshlrev_b64 v[4:5], 2, v[2:3]
	v_mov_b32_e32 v6, s21
	v_add_co_u32_e32 v4, vcc, s20, v4
	v_addc_co_u32_e32 v5, vcc, v5, v6, vcc
	s_and_b32 s8, s12, 0x7ffffffc
	v_add_co_u32_e32 v4, vcc, 8, v4
	v_mov_b32_e32 v1, v0
	v_addc_co_u32_e32 v5, vcc, 0, v5, vcc
	s_mov_b32 s4, s8
.LBB302_22:                             ; =>This Inner Loop Header: Depth=1
	global_load_dwordx4 v[6:9], v[4:5], off offset:-8
	s_add_i32 s4, s4, -4
	s_cmp_lg_u32 s4, 0
	s_waitcnt vmcnt(0)
	v_pk_mul_f32 v[6:7], v[0:1], v[6:7]
	v_pk_mul_f32 v[8:9], v[0:1], v[8:9]
	global_store_dwordx4 v[4:5], v[6:9], off offset:-8
	v_add_co_u32_e32 v4, vcc, 16, v4
	v_addc_co_u32_e32 v5, vcc, 0, v5, vcc
	s_cbranch_scc1 .LBB302_22
; %bb.23:
	s_cmp_lg_u32 s8, s12
	s_cselect_b64 s[4:5], -1, 0
	s_branch .LBB302_26
.LBB302_24:
	s_mov_b64 s[4:5], 0
                                        ; implicit-def: $sgpr8
	s_cbranch_execz .LBB302_26
; %bb.25:
	s_mov_b64 s[4:5], -1
	s_mov_b32 s8, 0
.LBB302_26:
	s_andn2_b64 vcc, exec, s[4:5]
	s_cbranch_vccnz .LBB302_29
; %bb.27:
	v_add_co_u32_e32 v2, vcc, s8, v2
	v_addc_co_u32_e32 v3, vcc, 0, v3, vcc
	v_lshlrev_b64 v[2:3], 2, v[2:3]
	v_mov_b32_e32 v1, s21
	v_add_co_u32_e32 v2, vcc, s20, v2
	s_sub_i32 s4, s12, s8
	v_addc_co_u32_e32 v3, vcc, v1, v3, vcc
.LBB302_28:                             ; =>This Inner Loop Header: Depth=1
	global_load_dword v1, v[2:3], off
	s_add_i32 s4, s4, -1
	s_cmp_lg_u32 s4, 0
	s_waitcnt vmcnt(0)
	v_mul_f32_e32 v1, v0, v1
	global_store_dword v[2:3], v1, off
	v_add_co_u32_e32 v2, vcc, 4, v2
	v_addc_co_u32_e32 v3, vcc, 0, v3, vcc
	s_cbranch_scc1 .LBB302_28
.LBB302_29:
	s_endpgm
	.section	.rodata,"a",@progbits
	.p2align	6, 0x0
	.amdhsa_kernel _ZN4vllm3moe17topkGatingSoftmaxItLi32ELi512ELi2ELi64ELb1ELi2ELNS0_23SharedExpertScoringFuncE1EEEvPKT_PKbPfiPiS9_iiiiii
		.amdhsa_group_segment_fixed_size 0
		.amdhsa_private_segment_fixed_size 144
		.amdhsa_kernarg_size 72
		.amdhsa_user_sgpr_count 8
		.amdhsa_user_sgpr_private_segment_buffer 1
		.amdhsa_user_sgpr_dispatch_ptr 0
		.amdhsa_user_sgpr_queue_ptr 0
		.amdhsa_user_sgpr_kernarg_segment_ptr 1
		.amdhsa_user_sgpr_dispatch_id 0
		.amdhsa_user_sgpr_flat_scratch_init 1
		.amdhsa_user_sgpr_kernarg_preload_length 0
		.amdhsa_user_sgpr_kernarg_preload_offset 0
		.amdhsa_user_sgpr_private_segment_size 0
		.amdhsa_uses_dynamic_stack 0
		.amdhsa_system_sgpr_private_segment_wavefront_offset 1
		.amdhsa_system_sgpr_workgroup_id_x 1
		.amdhsa_system_sgpr_workgroup_id_y 0
		.amdhsa_system_sgpr_workgroup_id_z 0
		.amdhsa_system_sgpr_workgroup_info 0
		.amdhsa_system_vgpr_workitem_id 1
		.amdhsa_next_free_vgpr 61
		.amdhsa_next_free_sgpr 30
		.amdhsa_accum_offset 64
		.amdhsa_reserve_vcc 1
		.amdhsa_reserve_flat_scratch 0
		.amdhsa_float_round_mode_32 0
		.amdhsa_float_round_mode_16_64 0
		.amdhsa_float_denorm_mode_32 3
		.amdhsa_float_denorm_mode_16_64 3
		.amdhsa_dx10_clamp 1
		.amdhsa_ieee_mode 1
		.amdhsa_fp16_overflow 0
		.amdhsa_tg_split 0
		.amdhsa_exception_fp_ieee_invalid_op 0
		.amdhsa_exception_fp_denorm_src 0
		.amdhsa_exception_fp_ieee_div_zero 0
		.amdhsa_exception_fp_ieee_overflow 0
		.amdhsa_exception_fp_ieee_underflow 0
		.amdhsa_exception_fp_ieee_inexact 0
		.amdhsa_exception_int_div_zero 0
	.end_amdhsa_kernel
	.section	.text._ZN4vllm3moe17topkGatingSoftmaxItLi32ELi512ELi2ELi64ELb1ELi2ELNS0_23SharedExpertScoringFuncE1EEEvPKT_PKbPfiPiS9_iiiiii,"axG",@progbits,_ZN4vllm3moe17topkGatingSoftmaxItLi32ELi512ELi2ELi64ELb1ELi2ELNS0_23SharedExpertScoringFuncE1EEEvPKT_PKbPfiPiS9_iiiiii,comdat
.Lfunc_end302:
	.size	_ZN4vllm3moe17topkGatingSoftmaxItLi32ELi512ELi2ELi64ELb1ELi2ELNS0_23SharedExpertScoringFuncE1EEEvPKT_PKbPfiPiS9_iiiiii, .Lfunc_end302-_ZN4vllm3moe17topkGatingSoftmaxItLi32ELi512ELi2ELi64ELb1ELi2ELNS0_23SharedExpertScoringFuncE1EEEvPKT_PKbPfiPiS9_iiiiii
                                        ; -- End function
	.section	.AMDGPU.csdata,"",@progbits
; Kernel info:
; codeLenInByte = 4596
; NumSgprs: 34
; NumVgprs: 61
; NumAgprs: 0
; TotalNumVgprs: 61
; ScratchSize: 144
; MemoryBound: 0
; FloatMode: 240
; IeeeMode: 1
; LDSByteSize: 0 bytes/workgroup (compile time only)
; SGPRBlocks: 4
; VGPRBlocks: 7
; NumSGPRsForWavesPerEU: 34
; NumVGPRsForWavesPerEU: 61
; AccumOffset: 64
; Occupancy: 8
; WaveLimiterHint : 0
; COMPUTE_PGM_RSRC2:SCRATCH_EN: 1
; COMPUTE_PGM_RSRC2:USER_SGPR: 8
; COMPUTE_PGM_RSRC2:TRAP_HANDLER: 0
; COMPUTE_PGM_RSRC2:TGID_X_EN: 1
; COMPUTE_PGM_RSRC2:TGID_Y_EN: 0
; COMPUTE_PGM_RSRC2:TGID_Z_EN: 0
; COMPUTE_PGM_RSRC2:TIDIG_COMP_CNT: 1
; COMPUTE_PGM_RSRC3_GFX90A:ACCUM_OFFSET: 15
; COMPUTE_PGM_RSRC3_GFX90A:TG_SPLIT: 0
	.section	.text._ZN4vllm3moe17topkGatingSoftmaxItLi32ELi512ELi2ELi64ELb0ELi2ELNS0_23SharedExpertScoringFuncE1EEEvPKT_PKbPfiPiS9_iiiiii,"axG",@progbits,_ZN4vllm3moe17topkGatingSoftmaxItLi32ELi512ELi2ELi64ELb0ELi2ELNS0_23SharedExpertScoringFuncE1EEEvPKT_PKbPfiPiS9_iiiiii,comdat
	.protected	_ZN4vllm3moe17topkGatingSoftmaxItLi32ELi512ELi2ELi64ELb0ELi2ELNS0_23SharedExpertScoringFuncE1EEEvPKT_PKbPfiPiS9_iiiiii ; -- Begin function _ZN4vllm3moe17topkGatingSoftmaxItLi32ELi512ELi2ELi64ELb0ELi2ELNS0_23SharedExpertScoringFuncE1EEEvPKT_PKbPfiPiS9_iiiiii
	.globl	_ZN4vllm3moe17topkGatingSoftmaxItLi32ELi512ELi2ELi64ELb0ELi2ELNS0_23SharedExpertScoringFuncE1EEEvPKT_PKbPfiPiS9_iiiiii
	.p2align	8
	.type	_ZN4vllm3moe17topkGatingSoftmaxItLi32ELi512ELi2ELi64ELb0ELi2ELNS0_23SharedExpertScoringFuncE1EEEvPKT_PKbPfiPiS9_iiiiii,@function
_ZN4vllm3moe17topkGatingSoftmaxItLi32ELi512ELi2ELi64ELb0ELi2ELNS0_23SharedExpertScoringFuncE1EEEvPKT_PKbPfiPiS9_iiiiii: ; @_ZN4vllm3moe17topkGatingSoftmaxItLi32ELi512ELi2ELi64ELb0ELi2ELNS0_23SharedExpertScoringFuncE1EEEvPKT_PKbPfiPiS9_iiiiii
; %bb.0:
	s_load_dword s26, s[4:5], 0x18
	s_add_u32 s0, s0, s9
	v_bfe_u32 v1, v0, 10, 10
	v_and_b32_e32 v0, 0x3ff, v0
	s_addc_u32 s1, s1, 0
	s_lshl_b32 s27, s8, 3
	v_lshlrev_b32_e32 v42, 2, v1
	v_lshrrev_b32_e32 v43, 4, v0
	v_add3_u32 v6, s27, v42, v43
	s_waitcnt lgkmcnt(0)
	v_cmp_gt_i32_e32 vcc, s26, v6
	s_and_saveexec_b64 s[6:7], vcc
	s_cbranch_execz .LBB303_32
; %bb.1:
	s_load_dwordx4 s[8:11], s[4:5], 0x0
	s_load_dwordx2 s[20:21], s[4:5], 0x10
	s_waitcnt lgkmcnt(0)
	s_cmp_eq_u64 s[10:11], 0
	s_cbranch_scc1 .LBB303_3
; %bb.2:
	v_ashrrev_i32_e32 v1, 31, v6
	v_mov_b32_e32 v3, s11
	v_add_co_u32_e32 v2, vcc, s10, v6
	v_addc_co_u32_e32 v3, vcc, v3, v1, vcc
	global_load_ubyte v1, v[2:3], off
	s_waitcnt vmcnt(0)
	v_and_b32_e32 v1, 1, v1
	v_cmp_eq_u32_e32 vcc, 1, v1
	s_xor_b64 s[6:7], vcc, -1
	s_orn2_b64 s[22:23], s[6:7], exec
	s_branch .LBB303_4
.LBB303_3:
	s_mov_b64 s[22:23], -1
.LBB303_4:
	s_load_dwordx2 s[24:25], s[4:5], 0x40
	s_load_dwordx4 s[12:15], s[4:5], 0x30
	v_mov_b32_e32 v1, s9
	v_and_b32_e32 v7, 15, v0
	v_lshlrev_b32_e32 v0, 6, v7
	s_waitcnt lgkmcnt(0)
	v_mul_lo_u32 v2, v6, s25
	v_ashrrev_i32_e32 v3, 31, v2
	v_lshlrev_b64 v[2:3], 1, v[2:3]
	v_add_co_u32_e32 v11, vcc, s8, v2
	v_addc_co_u32_e32 v16, vcc, v1, v3, vcc
	v_add_co_u32_e32 v4, vcc, v11, v0
	v_addc_co_u32_e32 v5, vcc, 0, v16, vcc
	global_load_dwordx4 v[0:3], v[4:5], off
	global_load_dwordx4 v[24:27], v[4:5], off offset:16
	global_load_dwordx4 v[28:31], v[4:5], off offset:32
	global_load_dwordx4 v[32:35], v[4:5], off offset:48
	v_mov_b32_e32 v8, 0
	v_lshlrev_b32_e32 v10, 5, v7
	v_cmp_gt_u32_e32 vcc, 2, v7
	s_waitcnt vmcnt(3)
	v_cvt_f32_u32_sdwa v12, v0 dst_sel:DWORD dst_unused:UNUSED_PAD src0_sel:WORD_1
	v_cvt_f32_u32_sdwa v15, v0 dst_sel:DWORD dst_unused:UNUSED_PAD src0_sel:WORD_0
	v_cvt_f32_u32_sdwa v14, v1 dst_sel:DWORD dst_unused:UNUSED_PAD src0_sel:WORD_1
	v_cvt_f32_u32_sdwa v13, v1 dst_sel:DWORD dst_unused:UNUSED_PAD src0_sel:WORD_0
	;; [unrolled: 2-line block ×4, first 2 shown]
	s_waitcnt vmcnt(2)
	v_cvt_f32_u32_sdwa v20, v24 dst_sel:DWORD dst_unused:UNUSED_PAD src0_sel:WORD_1
	v_cvt_f32_u32_sdwa v19, v24 dst_sel:DWORD dst_unused:UNUSED_PAD src0_sel:WORD_0
	v_cvt_f32_u32_sdwa v22, v25 dst_sel:DWORD dst_unused:UNUSED_PAD src0_sel:WORD_1
	v_cvt_f32_u32_sdwa v21, v25 dst_sel:DWORD dst_unused:UNUSED_PAD src0_sel:WORD_0
	;; [unrolled: 2-line block ×4, first 2 shown]
	s_waitcnt vmcnt(1)
	v_cvt_f32_u32_sdwa v5, v28 dst_sel:DWORD dst_unused:UNUSED_PAD src0_sel:WORD_1
	v_cvt_f32_u32_sdwa v9, v28 dst_sel:DWORD dst_unused:UNUSED_PAD src0_sel:WORD_0
	v_cvt_f32_u32_sdwa v3, v29 dst_sel:DWORD dst_unused:UNUSED_PAD src0_sel:WORD_1
	v_cvt_f32_u32_sdwa v4, v29 dst_sel:DWORD dst_unused:UNUSED_PAD src0_sel:WORD_0
	v_cvt_f32_u32_sdwa v2, v30 dst_sel:DWORD dst_unused:UNUSED_PAD src0_sel:WORD_0
	s_waitcnt vmcnt(0)
	v_cvt_f32_u32_sdwa v36, v35 dst_sel:DWORD dst_unused:UNUSED_PAD src0_sel:WORD_1
	v_cvt_f32_u32_sdwa v35, v35 dst_sel:DWORD dst_unused:UNUSED_PAD src0_sel:WORD_0
	v_cvt_f32_u32_sdwa v37, v34 dst_sel:DWORD dst_unused:UNUSED_PAD src0_sel:WORD_1
	v_cvt_f32_u32_sdwa v34, v34 dst_sel:DWORD dst_unused:UNUSED_PAD src0_sel:WORD_0
	;; [unrolled: 2-line block ×5, first 2 shown]
	v_cvt_f32_u32_sdwa v33, v33 dst_sel:DWORD dst_unused:UNUSED_PAD src0_sel:WORD_1
	buffer_store_dword v36, off, s[0:3], 0 offset:124
	buffer_store_dword v35, off, s[0:3], 0 offset:120
	;; [unrolled: 1-line block ×31, first 2 shown]
	buffer_store_dword v15, off, s[0:3], 0
	s_and_saveexec_b64 s[6:7], vcc
	s_cbranch_execz .LBB303_6
; %bb.5:
	v_lshlrev_b32_e32 v27, 1, v7
	v_add_co_u32_e32 v28, vcc, v11, v27
	v_addc_co_u32_e32 v29, vcc, 0, v16, vcc
	global_load_ushort v11, v[28:29], off offset:1024
	s_mov_b32 s8, 0xbfb8aa3b
	v_mul_lo_u32 v16, v6, s15
	s_mov_b32 s9, 0x42ce8ed0
	s_mov_b32 s10, 0xc2b17218
	v_mov_b32_e32 v27, 0x7f800000
	v_mov_b32_e32 v32, s21
	s_waitcnt vmcnt(0)
	v_cvt_f32_u32_e32 v11, v11
	v_mul_f32_e32 v28, 0xbfb8aa3b, v11
	v_fma_f32 v29, v11, s8, -v28
	v_rndne_f32_e32 v30, v28
	v_fmac_f32_e32 v29, 0xb2a5705f, v11
	v_sub_f32_e32 v28, v28, v30
	v_add_f32_e32 v28, v28, v29
	v_cvt_i32_f32_e32 v30, v30
	v_exp_f32_e32 v31, v28
	v_add3_u32 v28, v16, s12, v7
	v_cmp_nlt_f32_e32 vcc, s9, v11
	v_ashrrev_i32_e32 v29, 31, v28
	v_ldexp_f32 v16, v31, v30
	v_cndmask_b32_e32 v16, 0, v16, vcc
	v_cmp_ngt_f32_e32 vcc, s10, v11
	v_cndmask_b32_e32 v11, v27, v16, vcc
	v_add_f32_e32 v11, 1.0, v11
	v_div_scale_f32 v16, s[8:9], v11, v11, 1.0
	v_rcp_f32_e32 v27, v16
	v_div_scale_f32 v30, vcc, 1.0, v11, 1.0
	v_lshlrev_b64 v[28:29], 2, v[28:29]
	v_fma_f32 v31, -v16, v27, 1.0
	v_fmac_f32_e32 v27, v31, v27
	v_mul_f32_e32 v31, v30, v27
	v_fma_f32 v33, -v16, v31, v30
	v_fmac_f32_e32 v31, v33, v27
	v_fma_f32 v16, -v16, v31, v30
	v_div_fmas_f32 v16, v16, v27, v31
	v_add_co_u32_e32 v28, vcc, s20, v28
	v_div_fixup_f32 v11, v16, v11, 1.0
	v_addc_co_u32_e32 v29, vcc, v32, v29, vcc
	global_store_dword v[28:29], v11, off
.LBB303_6:
	s_or_b64 exec, exec, s[6:7]
	v_cmp_lt_f32_e32 vcc, v15, v12
	v_or_b32_e32 v11, 1, v10
	v_cndmask_b32_e32 v15, v15, v12, vcc
	v_cndmask_b32_e32 v16, v10, v11, vcc
	v_cmp_lt_f32_e32 vcc, v15, v13
	v_or_b32_e32 v12, 2, v10
	v_cndmask_b32_e32 v15, v15, v13, vcc
	buffer_load_dword v32, off, s[0:3], 0 offset:84
	buffer_load_dword v33, off, s[0:3], 0 offset:88
	v_cndmask_b32_e32 v16, v16, v12, vcc
	v_cmp_lt_f32_e32 vcc, v15, v14
	v_or_b32_e32 v13, 3, v10
	v_cndmask_b32_e32 v15, v15, v14, vcc
	v_cndmask_b32_e32 v16, v16, v13, vcc
	v_cmp_lt_f32_e32 vcc, v15, v1
	v_or_b32_e32 v14, 4, v10
	v_cndmask_b32_e32 v27, v15, v1, vcc
	buffer_load_dword v1, off, s[0:3], 0 offset:92
	v_cndmask_b32_e32 v16, v16, v14, vcc
	v_cmp_lt_f32_e32 vcc, v27, v0
	v_cndmask_b32_e32 v27, v27, v0, vcc
	buffer_load_dword v0, off, s[0:3], 0 offset:96
	buffer_load_dword v36, off, s[0:3], 0 offset:100
	buffer_load_dword v37, off, s[0:3], 0 offset:104
	buffer_load_dword v38, off, s[0:3], 0 offset:108
	buffer_load_dword v39, off, s[0:3], 0 offset:112
	buffer_load_dword v40, off, s[0:3], 0 offset:116
	buffer_load_dword v41, off, s[0:3], 0 offset:120
	buffer_load_dword v44, off, s[0:3], 0 offset:124
	v_or_b32_e32 v15, 5, v10
	v_cndmask_b32_e32 v28, v16, v15, vcc
	v_cmp_lt_f32_e32 vcc, v27, v17
	v_or_b32_e32 v16, 6, v10
	v_cndmask_b32_e32 v27, v27, v17, vcc
	v_cndmask_b32_e32 v28, v28, v16, vcc
	v_cmp_lt_f32_e32 vcc, v27, v18
	v_or_b32_e32 v17, 7, v10
	v_cndmask_b32_e32 v27, v27, v18, vcc
	;; [unrolled: 4-line block ×15, first 2 shown]
	v_cndmask_b32_e32 v4, v5, v30, vcc
	s_waitcnt vmcnt(10)
	v_cmp_lt_f32_e32 vcc, v2, v32
	v_or_b32_e32 v31, 21, v10
	v_cndmask_b32_e32 v2, v2, v32, vcc
	v_cndmask_b32_e32 v3, v4, v31, vcc
	s_waitcnt vmcnt(9)
	v_cmp_lt_f32_e32 vcc, v2, v33
	v_or_b32_e32 v32, 22, v10
	v_cndmask_b32_e32 v2, v2, v33, vcc
	;; [unrolled: 5-line block ×10, first 2 shown]
	v_cndmask_b32_e32 v3, v3, v40, vcc
	v_or_b32_e32 v41, 31, v10
	s_waitcnt vmcnt(0)
	v_cmp_lt_f32_e32 vcc, v2, v44
	v_cndmask_b32_e32 v3, v3, v41, vcc
	v_cndmask_b32_e32 v2, v2, v44, vcc
	s_nop 0
	v_mov_b32_dpp v4, v3 quad_perm:[1,0,3,2] row_mask:0xf bank_mask:0xf
	v_mov_b32_dpp v5, v2 quad_perm:[1,0,3,2] row_mask:0xf bank_mask:0xf
	v_cmp_eq_f32_e64 s[6:7], v2, v5
	v_cmp_lt_i32_e64 s[8:9], v4, v3
	v_cmp_lt_f32_e32 vcc, v2, v5
	s_and_b64 s[6:7], s[6:7], s[8:9]
	s_or_b64 vcc, vcc, s[6:7]
	v_cndmask_b32_e32 v2, v2, v5, vcc
	v_cndmask_b32_e32 v3, v3, v4, vcc
	s_nop 0
	v_mov_b32_dpp v5, v2 quad_perm:[2,3,0,1] row_mask:0xf bank_mask:0xf
	v_mov_b32_dpp v4, v3 quad_perm:[2,3,0,1] row_mask:0xf bank_mask:0xf
	v_cmp_eq_f32_e64 s[6:7], v2, v5
	v_cmp_lt_i32_e64 s[8:9], v4, v3
	v_cmp_lt_f32_e32 vcc, v2, v5
	s_and_b64 s[6:7], s[6:7], s[8:9]
	s_or_b64 vcc, vcc, s[6:7]
	v_cndmask_b32_e32 v2, v2, v5, vcc
	v_cndmask_b32_e32 v3, v3, v4, vcc
	s_nop 0
	v_mov_b32_dpp v5, v2 row_half_mirror row_mask:0xf bank_mask:0xf
	v_mov_b32_dpp v4, v3 row_half_mirror row_mask:0xf bank_mask:0xf
	v_cmp_eq_f32_e64 s[6:7], v2, v5
	v_cmp_lt_i32_e64 s[8:9], v4, v3
	v_cmp_lt_f32_e32 vcc, v2, v5
	s_and_b64 s[6:7], s[6:7], s[8:9]
	s_or_b64 vcc, vcc, s[6:7]
	v_cndmask_b32_e32 v5, v2, v5, vcc
	v_cndmask_b32_e32 v2, v3, v4, vcc
	s_nop 0
	v_mov_b32_dpp v4, v5 row_mirror row_mask:0xf bank_mask:0xf
	v_mov_b32_dpp v3, v2 row_mirror row_mask:0xf bank_mask:0xf
	v_cmp_eq_f32_e64 s[6:7], v5, v4
	v_cmp_lt_i32_e64 s[8:9], v3, v2
	v_cmp_lt_f32_e32 vcc, v5, v4
	s_and_b64 s[6:7], s[6:7], s[8:9]
	s_or_b64 s[6:7], vcc, s[6:7]
	s_cmp_gt_i32 s12, 0
	v_cndmask_b32_e64 v9, v5, v4, s[6:7]
	s_cselect_b64 s[10:11], -1, 0
	s_cmp_lt_i32 s12, 1
	v_cmp_eq_u32_e32 vcc, 0, v7
	s_cbranch_scc1 .LBB303_19
; %bb.7:
	s_load_dwordx4 s[16:19], s[4:5], 0x20
	v_cndmask_b32_e64 v44, v2, v3, s[6:7]
	v_mul_lo_u32 v4, v6, s15
	v_mul_lo_u32 v2, v6, s24
	;; [unrolled: 1-line block ×3, first 2 shown]
	v_mov_b32_e32 v8, 0
	s_and_saveexec_b64 s[8:9], vcc
	s_cbranch_execz .LBB303_9
; %bb.8:
	v_sub_f32_e32 v1, v9, v9
	v_mul_f32_e32 v3, 0x3fb8aa3b, v1
	s_mov_b32 s4, 0x3fb8aa3b
	v_rndne_f32_e32 v5, v3
	v_sub_f32_e32 v8, v3, v5
	v_fma_f32 v3, v1, s4, -v3
	v_fmac_f32_e32 v3, 0x32a5705f, v1
	v_add_f32_e32 v3, v8, v3
	v_exp_f32_e32 v3, v3
	v_cvt_i32_f32_e32 v5, v5
	v_cmp_le_i32_e64 s[4:5], s13, v44
	v_cmp_gt_i32_e64 s[6:7], s14, v44
	s_and_b64 s[6:7], s[4:5], s[6:7]
	s_mov_b32 s4, 0xc2ce8ed0
	v_ldexp_f32 v3, v3, v5
	v_cmp_ngt_f32_e64 s[4:5], s4, v1
	v_cndmask_b32_e64 v3, 0, v3, s[4:5]
	s_mov_b32 s4, 0x42b17218
	v_mov_b32_e32 v5, 0x7f800000
	v_cmp_nlt_f32_e64 s[4:5], s4, v1
	v_cndmask_b32_e64 v8, v5, v3, s[4:5]
	v_ashrrev_i32_e32 v5, 31, v4
	v_lshlrev_b64 v[46:47], 2, v[4:5]
	v_mov_b32_e32 v1, s21
	v_add_co_u32_e64 v46, s[4:5], s20, v46
	v_addc_co_u32_e64 v47, s[4:5], v1, v47, s[4:5]
	v_subrev_u32_e32 v1, s13, v44
	v_mov_b32_e32 v3, 0x200
	s_and_b64 s[4:5], s[22:23], s[6:7]
	v_cndmask_b32_e64 v1, v3, v1, s[4:5]
	v_ashrrev_i32_e32 v3, 31, v2
	global_store_dword v[46:47], v8, off
	v_lshlrev_b64 v[46:47], 2, v[2:3]
	s_waitcnt lgkmcnt(0)
	v_mov_b32_e32 v3, s17
	v_add_co_u32_e64 v46, s[4:5], s16, v46
	v_addc_co_u32_e64 v47, s[4:5], v3, v47, s[4:5]
	global_store_dword v[46:47], v1, off
	v_ashrrev_i32_e32 v1, 31, v0
	v_lshlrev_b64 v[46:47], 2, v[0:1]
	v_mov_b32_e32 v1, s19
	v_add_co_u32_e64 v46, s[4:5], s18, v46
	v_addc_co_u32_e64 v47, s[4:5], v1, v47, s[4:5]
	global_store_dword v[46:47], v6, off
.LBB303_9:
	s_or_b64 exec, exec, s[8:9]
	v_ashrrev_i32_e32 v3, 31, v44
	v_lshrrev_b32_e32 v1, 27, v3
	v_add_u32_e32 v1, v44, v1
	v_ashrrev_i32_e32 v1, 5, v1
	v_lshrrev_b32_e32 v5, 28, v1
	v_add_u32_e32 v5, v1, v5
	v_and_b32_e32 v5, -16, v5
	v_sub_u32_e32 v5, v1, v5
	v_cmp_eq_u32_e64 s[4:5], v7, v5
	s_and_saveexec_b64 s[6:7], s[4:5]
	s_cbranch_execz .LBB303_11
; %bb.10:
	v_lshrrev_b32_e32 v3, 23, v3
	v_add_u32_e32 v3, v44, v3
	v_lshlrev_b32_e32 v1, 5, v1
	v_ashrrev_i32_e32 v3, 9, v3
	v_sub_u32_e32 v1, v44, v1
	v_lshl_add_u32 v1, v3, 5, v1
	v_mov_b32_e32 v3, 0
	v_lshl_add_u32 v1, v1, 2, v3
	v_mov_b32_e32 v3, 0xff800000
	buffer_store_dword v3, v1, s[0:3], 0 offen
.LBB303_11:
	s_or_b64 exec, exec, s[6:7]
	s_cmp_eq_u32 s12, 1
	s_cbranch_scc1 .LBB303_18
; %bb.12:
	s_add_i32 s27, s27, s26
	s_add_i32 s24, s12, -1
	v_add3_u32 v42, s27, v43, v42
	v_add_u32_e32 v0, 1, v0
	v_add_u32_e32 v2, 1, v2
	;; [unrolled: 1-line block ×3, first 2 shown]
	s_mov_b32 s25, 0x3fb8aa3b
	s_mov_b32 s27, 0xc2ce8ed0
	;; [unrolled: 1-line block ×3, first 2 shown]
	v_mov_b32_e32 v43, 0
	v_mov_b32_e32 v44, 0xff800000
	;; [unrolled: 1-line block ×4, first 2 shown]
	s_branch .LBB303_14
.LBB303_13:                             ;   in Loop: Header=BB303_14 Depth=1
	s_or_b64 exec, exec, s[6:7]
	s_add_i32 s24, s24, -1
	v_add_u32_e32 v42, s26, v42
	v_add_u32_e32 v0, 1, v0
	;; [unrolled: 1-line block ×3, first 2 shown]
	s_cmp_eq_u32 s24, 0
	v_add_u32_e32 v4, 1, v4
	s_cbranch_scc1 .LBB303_18
.LBB303_14:                             ; =>This Inner Loop Header: Depth=1
	buffer_load_dword v1, off, s[0:3], 0
	buffer_load_dword v3, off, s[0:3], 0 offset:4
	buffer_load_dword v5, off, s[0:3], 0 offset:8
	;; [unrolled: 1-line block ×15, first 2 shown]
	s_waitcnt vmcnt(14)
	v_cmp_gt_f32_e64 s[4:5], v3, v1
	v_cndmask_b32_e64 v1, v1, v3, s[4:5]
	v_cndmask_b32_e64 v60, v10, v11, s[4:5]
	s_waitcnt vmcnt(13)
	v_cmp_gt_f32_e64 s[4:5], v5, v1
	v_cndmask_b32_e64 v1, v1, v5, s[4:5]
	buffer_load_dword v5, off, s[0:3], 0 offset:64
	v_cndmask_b32_e64 v3, v60, v12, s[4:5]
	s_waitcnt vmcnt(13)
	v_cmp_gt_f32_e64 s[4:5], v47, v1
	v_cndmask_b32_e64 v1, v1, v47, s[4:5]
	v_cndmask_b32_e64 v3, v3, v13, s[4:5]
	s_waitcnt vmcnt(12)
	v_cmp_gt_f32_e64 s[4:5], v48, v1
	v_cndmask_b32_e64 v1, v1, v48, s[4:5]
	;; [unrolled: 4-line block ×14, first 2 shown]
	buffer_load_dword v5, off, s[0:3], 0 offset:68
	v_cndmask_b32_e64 v3, v3, v26, s[4:5]
	s_waitcnt vmcnt(0)
	v_cmp_gt_f32_e64 s[4:5], v5, v1
	v_cndmask_b32_e64 v1, v1, v5, s[4:5]
	buffer_load_dword v5, off, s[0:3], 0 offset:72
	v_cndmask_b32_e64 v3, v3, v27, s[4:5]
	s_waitcnt vmcnt(0)
	v_cmp_gt_f32_e64 s[4:5], v5, v1
	v_cndmask_b32_e64 v1, v1, v5, s[4:5]
	;; [unrolled: 5-line block ×15, first 2 shown]
	v_cndmask_b32_e64 v1, v1, v5, s[4:5]
	s_nop 0
	v_mov_b32_dpp v5, v3 quad_perm:[1,0,3,2] row_mask:0xf bank_mask:0xf
	v_mov_b32_dpp v47, v1 quad_perm:[1,0,3,2] row_mask:0xf bank_mask:0xf
	v_cmp_eq_f32_e64 s[6:7], v1, v47
	v_cmp_lt_i32_e64 s[8:9], v5, v3
	v_cmp_lt_f32_e64 s[4:5], v1, v47
	s_and_b64 s[6:7], s[6:7], s[8:9]
	s_or_b64 s[4:5], s[4:5], s[6:7]
	v_cndmask_b32_e64 v1, v1, v47, s[4:5]
	v_cndmask_b32_e64 v3, v3, v5, s[4:5]
	s_nop 0
	v_mov_b32_dpp v47, v1 quad_perm:[2,3,0,1] row_mask:0xf bank_mask:0xf
	v_mov_b32_dpp v5, v3 quad_perm:[2,3,0,1] row_mask:0xf bank_mask:0xf
	v_cmp_eq_f32_e64 s[6:7], v1, v47
	v_cmp_lt_i32_e64 s[8:9], v5, v3
	v_cmp_lt_f32_e64 s[4:5], v1, v47
	s_and_b64 s[6:7], s[6:7], s[8:9]
	s_or_b64 s[4:5], s[4:5], s[6:7]
	v_cndmask_b32_e64 v1, v1, v47, s[4:5]
	v_cndmask_b32_e64 v3, v3, v5, s[4:5]
	s_nop 0
	v_mov_b32_dpp v47, v1 row_half_mirror row_mask:0xf bank_mask:0xf
	v_mov_b32_dpp v5, v3 row_half_mirror row_mask:0xf bank_mask:0xf
	v_cmp_eq_f32_e64 s[6:7], v1, v47
	v_cmp_lt_i32_e64 s[8:9], v5, v3
	v_cmp_lt_f32_e64 s[4:5], v1, v47
	s_and_b64 s[6:7], s[6:7], s[8:9]
	s_or_b64 s[4:5], s[4:5], s[6:7]
	v_cndmask_b32_e64 v1, v1, v47, s[4:5]
	v_cndmask_b32_e64 v5, v3, v5, s[4:5]
	s_nop 0
	v_mov_b32_dpp v3, v1 row_mirror row_mask:0xf bank_mask:0xf
	v_mov_b32_dpp v47, v5 row_mirror row_mask:0xf bank_mask:0xf
	v_cmp_eq_f32_e64 s[6:7], v1, v3
	v_cmp_lt_i32_e64 s[8:9], v47, v5
	v_cmp_lt_f32_e64 s[4:5], v1, v3
	s_and_b64 s[6:7], s[6:7], s[8:9]
	s_or_b64 s[4:5], s[4:5], s[6:7]
	v_cndmask_b32_e64 v47, v5, v47, s[4:5]
	s_and_saveexec_b64 s[8:9], vcc
	s_cbranch_execz .LBB303_16
; %bb.15:                               ;   in Loop: Header=BB303_14 Depth=1
	v_cndmask_b32_e64 v1, v1, v3, s[4:5]
	v_sub_f32_e32 v1, v1, v9
	v_mul_f32_e32 v3, 0x3fb8aa3b, v1
	v_fma_f32 v5, v1, s25, -v3
	v_rndne_f32_e32 v48, v3
	v_fmac_f32_e32 v5, 0x32a5705f, v1
	v_sub_f32_e32 v3, v3, v48
	v_add_f32_e32 v3, v3, v5
	v_exp_f32_e32 v3, v3
	v_cvt_i32_f32_e32 v5, v48
	v_cmp_le_i32_e64 s[4:5], s13, v47
	v_cmp_gt_i32_e64 s[6:7], s14, v47
	s_and_b64 s[6:7], s[4:5], s[6:7]
	v_ldexp_f32 v3, v3, v5
	v_cmp_ngt_f32_e64 s[4:5], s27, v1
	v_ashrrev_i32_e32 v5, 31, v4
	v_cndmask_b32_e64 v3, 0, v3, s[4:5]
	v_cmp_nlt_f32_e64 s[4:5], s28, v1
	v_lshlrev_b64 v[48:49], 2, v[4:5]
	v_cndmask_b32_e64 v50, v45, v3, s[4:5]
	v_mov_b32_e32 v1, s21
	v_add_co_u32_e64 v48, s[4:5], s20, v48
	v_addc_co_u32_e64 v49, s[4:5], v1, v49, s[4:5]
	v_ashrrev_i32_e32 v3, 31, v2
	global_store_dword v[48:49], v50, off
	v_subrev_u32_e32 v1, s13, v47
	s_and_b64 s[4:5], s[22:23], s[6:7]
	v_lshlrev_b64 v[48:49], 2, v[2:3]
	v_cndmask_b32_e64 v1, v46, v1, s[4:5]
	s_waitcnt lgkmcnt(0)
	v_mov_b32_e32 v3, s17
	v_add_co_u32_e64 v48, s[4:5], s16, v48
	v_addc_co_u32_e64 v49, s[4:5], v3, v49, s[4:5]
	global_store_dword v[48:49], v1, off
	v_ashrrev_i32_e32 v1, 31, v0
	v_lshlrev_b64 v[48:49], 2, v[0:1]
	v_mov_b32_e32 v1, s19
	v_add_co_u32_e64 v48, s[4:5], s18, v48
	v_addc_co_u32_e64 v49, s[4:5], v1, v49, s[4:5]
	v_add_f32_e32 v8, v8, v50
	global_store_dword v[48:49], v42, off
.LBB303_16:                             ;   in Loop: Header=BB303_14 Depth=1
	s_or_b64 exec, exec, s[8:9]
	v_ashrrev_i32_e32 v3, 31, v47
	v_lshrrev_b32_e32 v1, 27, v3
	v_add_u32_e32 v1, v47, v1
	v_ashrrev_i32_e32 v1, 5, v1
	v_lshrrev_b32_e32 v5, 28, v1
	v_add_u32_e32 v5, v1, v5
	v_and_b32_e32 v5, -16, v5
	v_sub_u32_e32 v5, v1, v5
	v_cmp_eq_u32_e64 s[4:5], v7, v5
	s_and_saveexec_b64 s[6:7], s[4:5]
	s_cbranch_execz .LBB303_13
; %bb.17:                               ;   in Loop: Header=BB303_14 Depth=1
	v_lshrrev_b32_e32 v3, 23, v3
	v_add_u32_e32 v3, v47, v3
	v_lshlrev_b32_e32 v1, 5, v1
	v_ashrrev_i32_e32 v3, 9, v3
	v_sub_u32_e32 v1, v47, v1
	v_lshl_add_u32 v1, v3, 5, v1
	v_lshl_add_u32 v1, v1, 2, v43
	buffer_store_dword v44, v1, s[0:3], 0 offen
	s_branch .LBB303_13
.LBB303_18:
	buffer_load_dword v1, off, s[0:3], 0 offset:92
	buffer_load_dword v0, off, s[0:3], 0 offset:96
.LBB303_19:
	buffer_load_dword v3, off, s[0:3], 0
	buffer_load_dword v4, off, s[0:3], 0 offset:4
	buffer_load_dword v5, off, s[0:3], 0 offset:8
	;; [unrolled: 1-line block ×15, first 2 shown]
	s_mov_b32 s5, 0x3fb8aa3b
	s_mov_b32 s4, 0xc2ce8ed0
	s_mov_b32 s6, 0x42b17218
	v_mov_b32_e32 v2, 0x7f800000
	s_waitcnt vmcnt(17)
	v_sub_f32_e32 v1, v1, v9
	s_waitcnt vmcnt(16)
	v_sub_f32_e32 v0, v0, v9
	;; [unrolled: 2-line block ×4, first 2 shown]
	v_mul_f32_e32 v23, 0x3fb8aa3b, v3
	s_waitcnt vmcnt(13)
	v_sub_f32_e32 v5, v5, v9
	v_mul_f32_e32 v24, 0x3fb8aa3b, v4
	v_fma_f32 v29, v3, s5, -v23
	v_rndne_f32_e32 v30, v23
	s_waitcnt vmcnt(12)
	v_sub_f32_e32 v10, v10, v9
	v_mul_f32_e32 v25, 0x3fb8aa3b, v5
	v_fma_f32 v31, v4, s5, -v24
	v_rndne_f32_e32 v32, v24
	v_fmac_f32_e32 v29, 0x32a5705f, v3
	v_sub_f32_e32 v23, v23, v30
	s_waitcnt vmcnt(11)
	v_sub_f32_e32 v11, v11, v9
	v_mul_f32_e32 v26, 0x3fb8aa3b, v10
	v_fma_f32 v33, v5, s5, -v25
	v_rndne_f32_e32 v34, v25
	v_fmac_f32_e32 v31, 0x32a5705f, v4
	v_sub_f32_e32 v24, v24, v32
	v_add_f32_e32 v23, v23, v29
	v_mul_f32_e32 v27, 0x3fb8aa3b, v11
	v_fma_f32 v35, v10, s5, -v26
	v_rndne_f32_e32 v36, v26
	v_cvt_i32_f32_e32 v30, v30
	v_fmac_f32_e32 v33, 0x32a5705f, v5
	v_sub_f32_e32 v25, v25, v34
	v_add_f32_e32 v24, v24, v31
	v_exp_f32_e32 v23, v23
	v_fma_f32 v37, v11, s5, -v27
	v_rndne_f32_e32 v38, v27
	v_cvt_i32_f32_e32 v32, v32
	v_fmac_f32_e32 v35, 0x32a5705f, v10
	v_sub_f32_e32 v26, v26, v36
	v_add_f32_e32 v25, v25, v33
	v_exp_f32_e32 v24, v24
	v_cvt_i32_f32_e32 v34, v34
	v_fmac_f32_e32 v37, 0x32a5705f, v11
	v_sub_f32_e32 v27, v27, v38
	v_add_f32_e32 v26, v26, v35
	v_exp_f32_e32 v25, v25
	v_cvt_i32_f32_e32 v36, v36
	v_add_f32_e32 v27, v27, v37
	v_exp_f32_e32 v26, v26
	v_cvt_i32_f32_e32 v38, v38
	v_exp_f32_e32 v27, v27
	v_ldexp_f32 v23, v23, v30
	v_cmp_ngt_f32_e32 vcc, s4, v3
	v_ldexp_f32 v24, v24, v32
	v_cndmask_b32_e32 v23, 0, v23, vcc
	v_cmp_ngt_f32_e32 vcc, s4, v4
	v_ldexp_f32 v25, v25, v34
	v_cndmask_b32_e32 v24, 0, v24, vcc
	;; [unrolled: 3-line block ×4, first 2 shown]
	v_cmp_ngt_f32_e32 vcc, s4, v11
	v_cndmask_b32_e32 v27, 0, v27, vcc
	v_cmp_nlt_f32_e32 vcc, s6, v3
	s_waitcnt vmcnt(10)
	v_sub_f32_e32 v12, v12, v9
	v_cndmask_b32_e32 v3, v2, v23, vcc
	v_cmp_nlt_f32_e32 vcc, s6, v4
	v_mul_f32_e32 v28, 0x3fb8aa3b, v12
	v_cndmask_b32_e32 v4, v2, v24, vcc
	v_cmp_nlt_f32_e32 vcc, s6, v5
	v_fma_f32 v39, v12, s5, -v28
	v_cndmask_b32_e32 v5, v2, v25, vcc
	v_add_f32_e32 v3, v3, v4
	v_rndne_f32_e32 v4, v28
	v_fmac_f32_e32 v39, 0x32a5705f, v12
	v_add_f32_e32 v3, v3, v5
	v_sub_f32_e32 v5, v28, v4
	v_add_f32_e32 v5, v5, v39
	v_exp_f32_e32 v5, v5
	v_cvt_i32_f32_e32 v4, v4
	v_cmp_nlt_f32_e32 vcc, s6, v10
	v_cndmask_b32_e32 v10, v2, v26, vcc
	v_cmp_nlt_f32_e32 vcc, s6, v11
	v_add_f32_e32 v3, v3, v10
	v_cndmask_b32_e32 v10, v2, v27, vcc
	v_ldexp_f32 v4, v5, v4
	s_waitcnt vmcnt(9)
	v_sub_f32_e32 v5, v13, v9
	v_add_f32_e32 v3, v3, v10
	v_mul_f32_e32 v10, 0x3fb8aa3b, v5
	v_fma_f32 v11, v5, s5, -v10
	v_rndne_f32_e32 v13, v10
	v_fmac_f32_e32 v11, 0x32a5705f, v5
	v_sub_f32_e32 v10, v10, v13
	v_add_f32_e32 v10, v10, v11
	v_exp_f32_e32 v10, v10
	v_cvt_i32_f32_e32 v11, v13
	v_cmp_ngt_f32_e32 vcc, s4, v12
	v_cndmask_b32_e32 v4, 0, v4, vcc
	v_cmp_nlt_f32_e32 vcc, s6, v12
	v_cndmask_b32_e32 v4, v2, v4, vcc
	v_add_f32_e32 v3, v3, v4
	v_ldexp_f32 v4, v10, v11
	s_waitcnt vmcnt(8)
	v_sub_f32_e32 v10, v14, v9
	v_mul_f32_e32 v11, 0x3fb8aa3b, v10
	v_fma_f32 v12, v10, s5, -v11
	v_rndne_f32_e32 v13, v11
	v_fmac_f32_e32 v12, 0x32a5705f, v10
	v_sub_f32_e32 v11, v11, v13
	v_add_f32_e32 v11, v11, v12
	v_exp_f32_e32 v11, v11
	v_cvt_i32_f32_e32 v12, v13
	v_cmp_ngt_f32_e32 vcc, s4, v5
	v_cndmask_b32_e32 v4, 0, v4, vcc
	v_cmp_nlt_f32_e32 vcc, s6, v5
	v_cndmask_b32_e32 v4, v2, v4, vcc
	s_waitcnt vmcnt(7)
	v_sub_f32_e32 v5, v15, v9
	v_add_f32_e32 v3, v3, v4
	v_ldexp_f32 v4, v11, v12
	v_mul_f32_e32 v11, 0x3fb8aa3b, v5
	v_fma_f32 v12, v5, s5, -v11
	v_rndne_f32_e32 v13, v11
	v_fmac_f32_e32 v12, 0x32a5705f, v5
	v_sub_f32_e32 v11, v11, v13
	v_add_f32_e32 v11, v11, v12
	v_exp_f32_e32 v11, v11
	v_cvt_i32_f32_e32 v12, v13
	v_cmp_ngt_f32_e32 vcc, s4, v10
	v_cndmask_b32_e32 v4, 0, v4, vcc
	v_cmp_nlt_f32_e32 vcc, s6, v10
	v_cndmask_b32_e32 v4, v2, v4, vcc
	s_waitcnt vmcnt(6)
	v_sub_f32_e32 v10, v16, v9
	v_add_f32_e32 v3, v3, v4
	v_ldexp_f32 v4, v11, v12
	;; [unrolled: 16-line block ×4, first 2 shown]
	v_mul_f32_e32 v11, 0x3fb8aa3b, v10
	v_fma_f32 v12, v10, s5, -v11
	v_rndne_f32_e32 v14, v11
	buffer_load_dword v13, off, s[0:3], 0 offset:64
	v_fmac_f32_e32 v12, 0x32a5705f, v10
	v_sub_f32_e32 v11, v11, v14
	v_add_f32_e32 v11, v11, v12
	v_exp_f32_e32 v11, v11
	v_cvt_i32_f32_e32 v12, v14
	v_cmp_ngt_f32_e32 vcc, s4, v5
	v_cndmask_b32_e32 v4, 0, v4, vcc
	v_cmp_nlt_f32_e32 vcc, s6, v5
	v_cndmask_b32_e32 v4, v2, v4, vcc
	s_waitcnt vmcnt(4)
	v_sub_f32_e32 v5, v19, v9
	v_add_f32_e32 v3, v3, v4
	v_ldexp_f32 v4, v11, v12
	buffer_load_dword v12, off, s[0:3], 0 offset:68
	v_mul_f32_e32 v11, 0x3fb8aa3b, v5
	v_fma_f32 v14, v5, s5, -v11
	v_rndne_f32_e32 v15, v11
	v_fmac_f32_e32 v14, 0x32a5705f, v5
	v_sub_f32_e32 v11, v11, v15
	v_add_f32_e32 v11, v11, v14
	v_exp_f32_e32 v11, v11
	v_cvt_i32_f32_e32 v14, v15
	v_cmp_ngt_f32_e32 vcc, s4, v10
	v_cndmask_b32_e32 v4, 0, v4, vcc
	v_cmp_nlt_f32_e32 vcc, s6, v10
	v_cndmask_b32_e32 v4, v2, v4, vcc
	v_add_f32_e32 v3, v3, v4
	v_ldexp_f32 v4, v11, v14
	buffer_load_dword v11, off, s[0:3], 0 offset:72
	s_waitcnt vmcnt(5)
	v_sub_f32_e32 v10, v20, v9
	v_mul_f32_e32 v14, 0x3fb8aa3b, v10
	v_cmp_ngt_f32_e32 vcc, s4, v5
	v_fma_f32 v15, v10, s5, -v14
	v_rndne_f32_e32 v16, v14
	v_cndmask_b32_e32 v4, 0, v4, vcc
	v_fmac_f32_e32 v15, 0x32a5705f, v10
	v_sub_f32_e32 v14, v14, v16
	v_cmp_nlt_f32_e32 vcc, s6, v5
	buffer_load_dword v5, off, s[0:3], 0 offset:76
	v_add_f32_e32 v14, v14, v15
	v_exp_f32_e32 v14, v14
	v_cvt_i32_f32_e32 v15, v16
	v_cndmask_b32_e32 v4, v2, v4, vcc
	v_add_f32_e32 v3, v3, v4
	v_cmp_ngt_f32_e32 vcc, s4, v10
	v_ldexp_f32 v4, v14, v15
	s_waitcnt vmcnt(5)
	v_sub_f32_e32 v14, v21, v9
	v_cndmask_b32_e32 v4, 0, v4, vcc
	v_mul_f32_e32 v15, 0x3fb8aa3b, v14
	v_cmp_nlt_f32_e32 vcc, s6, v10
	buffer_load_dword v10, off, s[0:3], 0 offset:80
	v_fma_f32 v16, v14, s5, -v15
	v_rndne_f32_e32 v17, v15
	v_fmac_f32_e32 v16, 0x32a5705f, v14
	v_sub_f32_e32 v15, v15, v17
	v_add_f32_e32 v15, v15, v16
	v_exp_f32_e32 v15, v15
	v_cvt_i32_f32_e32 v16, v17
	v_cndmask_b32_e32 v4, v2, v4, vcc
	v_add_f32_e32 v3, v3, v4
	v_cmp_ngt_f32_e32 vcc, s4, v14
	v_ldexp_f32 v4, v15, v16
	v_cndmask_b32_e32 v4, 0, v4, vcc
	v_cmp_nlt_f32_e32 vcc, s6, v14
	buffer_load_dword v14, off, s[0:3], 0 offset:84
	s_waitcnt vmcnt(6)
	v_sub_f32_e32 v15, v22, v9
	v_mul_f32_e32 v16, 0x3fb8aa3b, v15
	v_fma_f32 v17, v15, s5, -v16
	v_rndne_f32_e32 v18, v16
	v_fmac_f32_e32 v17, 0x32a5705f, v15
	v_sub_f32_e32 v16, v16, v18
	v_add_f32_e32 v16, v16, v17
	v_exp_f32_e32 v16, v16
	v_cvt_i32_f32_e32 v17, v18
	v_cndmask_b32_e32 v4, v2, v4, vcc
	v_add_f32_e32 v3, v3, v4
	v_cmp_ngt_f32_e32 vcc, s4, v15
	v_ldexp_f32 v4, v16, v17
	buffer_load_dword v16, off, s[0:3], 0 offset:88
	buffer_load_dword v17, off, s[0:3], 0 offset:100
	v_cndmask_b32_e32 v4, 0, v4, vcc
	s_waitcnt vmcnt(7)
	v_sub_f32_e32 v13, v13, v9
	v_mul_f32_e32 v18, 0x3fb8aa3b, v13
	v_fma_f32 v19, v13, s5, -v18
	v_rndne_f32_e32 v20, v18
	v_fmac_f32_e32 v19, 0x32a5705f, v13
	v_sub_f32_e32 v18, v18, v20
	v_add_f32_e32 v18, v18, v19
	v_exp_f32_e32 v18, v18
	v_cvt_i32_f32_e32 v19, v20
	v_cmp_nlt_f32_e32 vcc, s6, v15
	v_cndmask_b32_e32 v4, v2, v4, vcc
	v_add_f32_e32 v3, v3, v4
	v_ldexp_f32 v4, v18, v19
	s_waitcnt vmcnt(6)
	v_sub_f32_e32 v12, v12, v9
	v_mul_f32_e32 v15, 0x3fb8aa3b, v12
	v_fma_f32 v18, v12, s5, -v15
	v_rndne_f32_e32 v19, v15
	v_fmac_f32_e32 v18, 0x32a5705f, v12
	v_sub_f32_e32 v15, v15, v19
	v_add_f32_e32 v15, v15, v18
	v_exp_f32_e32 v15, v15
	v_cvt_i32_f32_e32 v18, v19
	v_cmp_ngt_f32_e32 vcc, s4, v13
	v_cndmask_b32_e32 v4, 0, v4, vcc
	v_cmp_nlt_f32_e32 vcc, s6, v13
	v_cndmask_b32_e32 v4, v2, v4, vcc
	v_add_f32_e32 v3, v3, v4
	v_ldexp_f32 v4, v15, v18
	s_waitcnt vmcnt(5)
	v_sub_f32_e32 v11, v11, v9
	v_mul_f32_e32 v13, 0x3fb8aa3b, v11
	v_fma_f32 v15, v11, s5, -v13
	v_rndne_f32_e32 v18, v13
	v_fmac_f32_e32 v15, 0x32a5705f, v11
	v_sub_f32_e32 v13, v13, v18
	v_add_f32_e32 v13, v13, v15
	v_exp_f32_e32 v13, v13
	v_cvt_i32_f32_e32 v15, v18
	v_cmp_ngt_f32_e32 vcc, s4, v12
	v_cndmask_b32_e32 v4, 0, v4, vcc
	v_cmp_nlt_f32_e32 vcc, s6, v12
	s_waitcnt vmcnt(4)
	v_sub_f32_e32 v5, v5, v9
	v_cndmask_b32_e32 v4, v2, v4, vcc
	v_mul_f32_e32 v12, 0x3fb8aa3b, v5
	v_add_f32_e32 v3, v3, v4
	v_ldexp_f32 v4, v13, v15
	v_fma_f32 v13, v5, s5, -v12
	v_rndne_f32_e32 v15, v12
	v_fmac_f32_e32 v13, 0x32a5705f, v5
	v_sub_f32_e32 v12, v12, v15
	v_add_f32_e32 v12, v12, v13
	v_exp_f32_e32 v12, v12
	v_cvt_i32_f32_e32 v13, v15
	v_cmp_ngt_f32_e32 vcc, s4, v11
	v_cndmask_b32_e32 v4, 0, v4, vcc
	v_cmp_nlt_f32_e32 vcc, s6, v11
	s_waitcnt vmcnt(3)
	v_sub_f32_e32 v10, v10, v9
	v_cndmask_b32_e32 v4, v2, v4, vcc
	v_mul_f32_e32 v11, 0x3fb8aa3b, v10
	v_add_f32_e32 v3, v3, v4
	v_ldexp_f32 v4, v12, v13
	v_fma_f32 v12, v10, s5, -v11
	v_rndne_f32_e32 v13, v11
	v_fmac_f32_e32 v12, 0x32a5705f, v10
	v_sub_f32_e32 v11, v11, v13
	v_add_f32_e32 v11, v11, v12
	v_exp_f32_e32 v11, v11
	v_cvt_i32_f32_e32 v12, v13
	v_cmp_ngt_f32_e32 vcc, s4, v5
	v_cndmask_b32_e32 v4, 0, v4, vcc
	v_cmp_nlt_f32_e32 vcc, s6, v5
	v_cndmask_b32_e32 v4, v2, v4, vcc
	v_add_f32_e32 v3, v3, v4
	v_ldexp_f32 v4, v11, v12
	s_waitcnt vmcnt(2)
	v_sub_f32_e32 v5, v14, v9
	buffer_load_dword v11, off, s[0:3], 0 offset:104
	v_mul_f32_e32 v12, 0x3fb8aa3b, v5
	v_fma_f32 v13, v5, s5, -v12
	v_rndne_f32_e32 v14, v12
	v_fmac_f32_e32 v13, 0x32a5705f, v5
	v_sub_f32_e32 v12, v12, v14
	v_add_f32_e32 v12, v12, v13
	v_exp_f32_e32 v12, v12
	v_cvt_i32_f32_e32 v13, v14
	v_cmp_ngt_f32_e32 vcc, s4, v10
	v_cndmask_b32_e32 v4, 0, v4, vcc
	v_cmp_nlt_f32_e32 vcc, s6, v10
	buffer_load_dword v10, off, s[0:3], 0 offset:108
	v_cndmask_b32_e32 v4, v2, v4, vcc
	v_add_f32_e32 v3, v3, v4
	v_ldexp_f32 v4, v12, v13
	s_waitcnt vmcnt(3)
	v_sub_f32_e32 v12, v16, v9
	v_mul_f32_e32 v13, 0x3fb8aa3b, v12
	v_fma_f32 v14, v12, s5, -v13
	v_rndne_f32_e32 v15, v13
	v_fmac_f32_e32 v14, 0x32a5705f, v12
	v_sub_f32_e32 v13, v13, v15
	v_cmp_ngt_f32_e32 vcc, s4, v5
	v_add_f32_e32 v13, v13, v14
	v_cndmask_b32_e32 v4, 0, v4, vcc
	v_exp_f32_e32 v13, v13
	v_cvt_i32_f32_e32 v14, v15
	v_cmp_nlt_f32_e32 vcc, s6, v5
	buffer_load_dword v5, off, s[0:3], 0 offset:112
	v_cndmask_b32_e32 v4, v2, v4, vcc
	v_add_f32_e32 v3, v3, v4
	v_ldexp_f32 v4, v13, v14
	v_mul_f32_e32 v13, 0x3fb8aa3b, v1
	v_fma_f32 v14, v1, s5, -v13
	v_rndne_f32_e32 v15, v13
	v_fmac_f32_e32 v14, 0x32a5705f, v1
	v_sub_f32_e32 v13, v13, v15
	v_cmp_ngt_f32_e32 vcc, s4, v12
	v_add_f32_e32 v13, v13, v14
	v_cndmask_b32_e32 v4, 0, v4, vcc
	v_exp_f32_e32 v13, v13
	v_cvt_i32_f32_e32 v14, v15
	v_cmp_nlt_f32_e32 vcc, s6, v12
	buffer_load_dword v12, off, s[0:3], 0 offset:116
	v_cndmask_b32_e32 v4, v2, v4, vcc
	v_add_f32_e32 v3, v3, v4
	v_ldexp_f32 v4, v13, v14
	v_cmp_ngt_f32_e32 vcc, s4, v1
	v_cndmask_b32_e32 v4, 0, v4, vcc
	v_mul_f32_e32 v13, 0x3fb8aa3b, v0
	v_cmp_nlt_f32_e32 vcc, s6, v1
	v_fma_f32 v14, v0, s5, -v13
	v_rndne_f32_e32 v15, v13
	v_cndmask_b32_e32 v1, v2, v4, vcc
	v_fmac_f32_e32 v14, 0x32a5705f, v0
	v_sub_f32_e32 v13, v13, v15
	v_add_f32_e32 v1, v3, v1
	buffer_load_dword v3, off, s[0:3], 0 offset:120
	v_add_f32_e32 v13, v13, v14
	v_exp_f32_e32 v13, v13
	v_cvt_i32_f32_e32 v14, v15
	v_cmp_ngt_f32_e32 vcc, s4, v0
	v_ldexp_f32 v4, v13, v14
	v_cndmask_b32_e32 v4, 0, v4, vcc
	v_cmp_nlt_f32_e32 vcc, s6, v0
	v_cndmask_b32_e32 v0, v2, v4, vcc
	buffer_load_dword v4, off, s[0:3], 0 offset:124
	s_waitcnt vmcnt(6)
	v_sub_f32_e32 v13, v17, v9
	v_mul_f32_e32 v14, 0x3fb8aa3b, v13
	v_fma_f32 v15, v13, s5, -v14
	v_rndne_f32_e32 v16, v14
	v_fmac_f32_e32 v15, 0x32a5705f, v13
	v_sub_f32_e32 v14, v14, v16
	v_add_f32_e32 v14, v14, v15
	v_exp_f32_e32 v14, v14
	v_cvt_i32_f32_e32 v15, v16
	v_add_f32_e32 v0, v1, v0
	v_cmp_ngt_f32_e32 vcc, s4, v13
	s_waitcnt vmcnt(5)
	v_sub_f32_e32 v11, v11, v9
	v_ldexp_f32 v1, v14, v15
	v_mul_f32_e32 v14, 0x3fb8aa3b, v11
	v_fma_f32 v15, v11, s5, -v14
	v_rndne_f32_e32 v16, v14
	v_fmac_f32_e32 v15, 0x32a5705f, v11
	v_sub_f32_e32 v14, v14, v16
	v_add_f32_e32 v14, v14, v15
	v_exp_f32_e32 v14, v14
	v_cvt_i32_f32_e32 v15, v16
	v_cndmask_b32_e32 v1, 0, v1, vcc
	v_cmp_nlt_f32_e32 vcc, s6, v13
	s_waitcnt vmcnt(4)
	v_sub_f32_e32 v10, v10, v9
	v_cndmask_b32_e32 v1, v2, v1, vcc
	v_mul_f32_e32 v13, 0x3fb8aa3b, v10
	v_add_f32_e32 v0, v0, v1
	v_ldexp_f32 v1, v14, v15
	v_fma_f32 v14, v10, s5, -v13
	v_rndne_f32_e32 v15, v13
	v_fmac_f32_e32 v14, 0x32a5705f, v10
	v_sub_f32_e32 v13, v13, v15
	v_add_f32_e32 v13, v13, v14
	v_exp_f32_e32 v13, v13
	v_cvt_i32_f32_e32 v14, v15
	v_cmp_ngt_f32_e32 vcc, s4, v11
	v_cndmask_b32_e32 v1, 0, v1, vcc
	v_cmp_nlt_f32_e32 vcc, s6, v11
	v_cndmask_b32_e32 v1, v2, v1, vcc
	s_waitcnt vmcnt(3)
	v_sub_f32_e32 v5, v5, v9
	v_mul_f32_e32 v11, 0x3fb8aa3b, v5
	v_add_f32_e32 v0, v0, v1
	v_ldexp_f32 v1, v13, v14
	v_fma_f32 v13, v5, s5, -v11
	v_rndne_f32_e32 v14, v11
	v_fmac_f32_e32 v13, 0x32a5705f, v5
	v_sub_f32_e32 v11, v11, v14
	v_add_f32_e32 v11, v11, v13
	v_exp_f32_e32 v11, v11
	v_cvt_i32_f32_e32 v13, v14
	v_cmp_ngt_f32_e32 vcc, s4, v10
	v_cndmask_b32_e32 v1, 0, v1, vcc
	v_cmp_nlt_f32_e32 vcc, s6, v10
	v_cndmask_b32_e32 v1, v2, v1, vcc
	s_waitcnt vmcnt(2)
	v_sub_f32_e32 v10, v12, v9
	v_add_f32_e32 v0, v0, v1
	v_ldexp_f32 v1, v11, v13
	v_mul_f32_e32 v11, 0x3fb8aa3b, v10
	v_fma_f32 v12, v10, s5, -v11
	v_rndne_f32_e32 v13, v11
	v_fmac_f32_e32 v12, 0x32a5705f, v10
	v_sub_f32_e32 v11, v11, v13
	v_add_f32_e32 v11, v11, v12
	v_exp_f32_e32 v11, v11
	v_cvt_i32_f32_e32 v12, v13
	v_cmp_ngt_f32_e32 vcc, s4, v5
	v_cndmask_b32_e32 v1, 0, v1, vcc
	v_cmp_nlt_f32_e32 vcc, s6, v5
	s_waitcnt vmcnt(1)
	v_sub_f32_e32 v3, v3, v9
	v_cndmask_b32_e32 v1, v2, v1, vcc
	v_mul_f32_e32 v5, 0x3fb8aa3b, v3
	v_add_f32_e32 v0, v0, v1
	v_ldexp_f32 v1, v11, v12
	v_fma_f32 v11, v3, s5, -v5
	v_rndne_f32_e32 v12, v5
	v_fmac_f32_e32 v11, 0x32a5705f, v3
	v_sub_f32_e32 v5, v5, v12
	v_add_f32_e32 v5, v5, v11
	v_exp_f32_e32 v5, v5
	v_cvt_i32_f32_e32 v11, v12
	v_cmp_ngt_f32_e32 vcc, s4, v10
	v_cndmask_b32_e32 v1, 0, v1, vcc
	v_cmp_nlt_f32_e32 vcc, s6, v10
	v_cndmask_b32_e32 v1, v2, v1, vcc
	s_waitcnt vmcnt(0)
	v_sub_f32_e32 v4, v4, v9
	v_add_f32_e32 v0, v0, v1
	v_ldexp_f32 v1, v5, v11
	v_mul_f32_e32 v5, 0x3fb8aa3b, v4
	v_fma_f32 v9, v4, s5, -v5
	v_rndne_f32_e32 v10, v5
	v_fmac_f32_e32 v9, 0x32a5705f, v4
	v_sub_f32_e32 v5, v5, v10
	v_add_f32_e32 v5, v5, v9
	v_exp_f32_e32 v5, v5
	v_cvt_i32_f32_e32 v9, v10
	v_cmp_ngt_f32_e32 vcc, s4, v3
	v_cndmask_b32_e32 v1, 0, v1, vcc
	v_cmp_nlt_f32_e32 vcc, s6, v3
	v_cndmask_b32_e32 v1, v2, v1, vcc
	v_add_f32_e32 v0, v0, v1
	v_ldexp_f32 v1, v5, v9
	v_cmp_ngt_f32_e32 vcc, s4, v4
	v_cndmask_b32_e32 v1, 0, v1, vcc
	v_cmp_nlt_f32_e32 vcc, s6, v4
	v_cndmask_b32_e32 v1, v2, v1, vcc
	v_add_f32_e32 v0, v0, v1
	v_cmp_eq_u32_e32 vcc, 0, v7
	s_nop 0
	v_mov_b32_dpp v1, v0 quad_perm:[1,0,3,2] row_mask:0xf bank_mask:0xf
	v_add_f32_e32 v0, v0, v1
	s_nop 1
	v_mov_b32_dpp v1, v0 quad_perm:[2,3,0,1] row_mask:0xf bank_mask:0xf
	v_add_f32_e32 v0, v0, v1
	s_nop 1
	v_mov_b32_dpp v1, v0 row_half_mirror row_mask:0xf bank_mask:0xf
	v_add_f32_e32 v0, v0, v1
	s_nop 1
	v_mov_b32_dpp v1, v0 row_mirror row_mask:0xf bank_mask:0xf
	s_and_b64 exec, exec, vcc
	s_cbranch_execz .LBB303_32
; %bb.20:
	v_add_f32_e32 v0, v0, v1
	v_add_f32_e32 v0, v8, v0
	v_cmp_neq_f32_e32 vcc, 0, v0
	s_and_b64 exec, exec, vcc
	s_cbranch_execz .LBB303_32
; %bb.21:
	s_andn2_b64 vcc, exec, s[10:11]
	s_cbranch_vccnz .LBB303_32
; %bb.22:
	v_div_scale_f32 v1, s[4:5], v0, v0, 1.0
	v_rcp_f32_e32 v2, v1
	v_div_scale_f32 v3, vcc, 1.0, v0, 1.0
	s_cmp_gt_u32 s12, 3
	v_fma_f32 v4, -v1, v2, 1.0
	v_fmac_f32_e32 v2, v4, v2
	v_mul_f32_e32 v4, v3, v2
	v_fma_f32 v5, -v1, v4, v3
	v_fmac_f32_e32 v4, v5, v2
	v_fma_f32 v1, -v1, v4, v3
	v_div_fmas_f32 v1, v1, v2, v4
	v_mul_lo_u32 v2, v6, s15
	v_div_fixup_f32 v0, v1, v0, 1.0
	v_ashrrev_i32_e32 v3, 31, v2
	s_cbranch_scc0 .LBB303_26
; %bb.23:
	v_lshlrev_b64 v[4:5], 2, v[2:3]
	v_mov_b32_e32 v6, s21
	v_add_co_u32_e32 v4, vcc, s20, v4
	v_addc_co_u32_e32 v5, vcc, v5, v6, vcc
	s_and_b32 s8, s12, 0x7ffffffc
	v_add_co_u32_e32 v4, vcc, 8, v4
	v_mov_b32_e32 v1, v0
	v_addc_co_u32_e32 v5, vcc, 0, v5, vcc
	s_mov_b32 s4, s8
.LBB303_24:                             ; =>This Inner Loop Header: Depth=1
	global_load_dwordx4 v[6:9], v[4:5], off offset:-8
	s_add_i32 s4, s4, -4
	s_cmp_lg_u32 s4, 0
	s_waitcnt vmcnt(0)
	v_pk_mul_f32 v[6:7], v[0:1], v[6:7]
	v_pk_mul_f32 v[8:9], v[0:1], v[8:9]
	global_store_dwordx4 v[4:5], v[6:9], off offset:-8
	v_add_co_u32_e32 v4, vcc, 16, v4
	v_addc_co_u32_e32 v5, vcc, 0, v5, vcc
	s_cbranch_scc1 .LBB303_24
; %bb.25:
	s_cmp_lg_u32 s8, s12
	s_mov_b64 s[6:7], 0
	s_cselect_b64 s[4:5], -1, 0
	s_branch .LBB303_27
.LBB303_26:
	s_mov_b64 s[6:7], -1
	s_mov_b64 s[4:5], 0
                                        ; implicit-def: $sgpr8
.LBB303_27:
	s_and_b64 vcc, exec, s[6:7]
	s_cbranch_vccz .LBB303_29
; %bb.28:
	s_mov_b64 s[4:5], -1
	s_mov_b32 s8, 0
.LBB303_29:
	s_andn2_b64 vcc, exec, s[4:5]
	s_cbranch_vccnz .LBB303_32
; %bb.30:
	v_add_co_u32_e32 v2, vcc, s8, v2
	v_addc_co_u32_e32 v3, vcc, 0, v3, vcc
	v_lshlrev_b64 v[2:3], 2, v[2:3]
	v_mov_b32_e32 v1, s21
	v_add_co_u32_e32 v2, vcc, s20, v2
	s_sub_i32 s4, s12, s8
	v_addc_co_u32_e32 v3, vcc, v1, v3, vcc
.LBB303_31:                             ; =>This Inner Loop Header: Depth=1
	global_load_dword v1, v[2:3], off
	s_add_i32 s4, s4, -1
	s_cmp_lg_u32 s4, 0
	s_waitcnt vmcnt(0)
	v_mul_f32_e32 v1, v0, v1
	global_store_dword v[2:3], v1, off
	v_add_co_u32_e32 v2, vcc, 4, v2
	v_addc_co_u32_e32 v3, vcc, 0, v3, vcc
	s_cbranch_scc1 .LBB303_31
.LBB303_32:
	s_endpgm
	.section	.rodata,"a",@progbits
	.p2align	6, 0x0
	.amdhsa_kernel _ZN4vllm3moe17topkGatingSoftmaxItLi32ELi512ELi2ELi64ELb0ELi2ELNS0_23SharedExpertScoringFuncE1EEEvPKT_PKbPfiPiS9_iiiiii
		.amdhsa_group_segment_fixed_size 0
		.amdhsa_private_segment_fixed_size 144
		.amdhsa_kernarg_size 72
		.amdhsa_user_sgpr_count 8
		.amdhsa_user_sgpr_private_segment_buffer 1
		.amdhsa_user_sgpr_dispatch_ptr 0
		.amdhsa_user_sgpr_queue_ptr 0
		.amdhsa_user_sgpr_kernarg_segment_ptr 1
		.amdhsa_user_sgpr_dispatch_id 0
		.amdhsa_user_sgpr_flat_scratch_init 1
		.amdhsa_user_sgpr_kernarg_preload_length 0
		.amdhsa_user_sgpr_kernarg_preload_offset 0
		.amdhsa_user_sgpr_private_segment_size 0
		.amdhsa_uses_dynamic_stack 0
		.amdhsa_system_sgpr_private_segment_wavefront_offset 1
		.amdhsa_system_sgpr_workgroup_id_x 1
		.amdhsa_system_sgpr_workgroup_id_y 0
		.amdhsa_system_sgpr_workgroup_id_z 0
		.amdhsa_system_sgpr_workgroup_info 0
		.amdhsa_system_vgpr_workitem_id 1
		.amdhsa_next_free_vgpr 61
		.amdhsa_next_free_sgpr 29
		.amdhsa_accum_offset 64
		.amdhsa_reserve_vcc 1
		.amdhsa_reserve_flat_scratch 0
		.amdhsa_float_round_mode_32 0
		.amdhsa_float_round_mode_16_64 0
		.amdhsa_float_denorm_mode_32 3
		.amdhsa_float_denorm_mode_16_64 3
		.amdhsa_dx10_clamp 1
		.amdhsa_ieee_mode 1
		.amdhsa_fp16_overflow 0
		.amdhsa_tg_split 0
		.amdhsa_exception_fp_ieee_invalid_op 0
		.amdhsa_exception_fp_denorm_src 0
		.amdhsa_exception_fp_ieee_div_zero 0
		.amdhsa_exception_fp_ieee_overflow 0
		.amdhsa_exception_fp_ieee_underflow 0
		.amdhsa_exception_fp_ieee_inexact 0
		.amdhsa_exception_int_div_zero 0
	.end_amdhsa_kernel
	.section	.text._ZN4vllm3moe17topkGatingSoftmaxItLi32ELi512ELi2ELi64ELb0ELi2ELNS0_23SharedExpertScoringFuncE1EEEvPKT_PKbPfiPiS9_iiiiii,"axG",@progbits,_ZN4vllm3moe17topkGatingSoftmaxItLi32ELi512ELi2ELi64ELb0ELi2ELNS0_23SharedExpertScoringFuncE1EEEvPKT_PKbPfiPiS9_iiiiii,comdat
.Lfunc_end303:
	.size	_ZN4vllm3moe17topkGatingSoftmaxItLi32ELi512ELi2ELi64ELb0ELi2ELNS0_23SharedExpertScoringFuncE1EEEvPKT_PKbPfiPiS9_iiiiii, .Lfunc_end303-_ZN4vllm3moe17topkGatingSoftmaxItLi32ELi512ELi2ELi64ELb0ELi2ELNS0_23SharedExpertScoringFuncE1EEEvPKT_PKbPfiPiS9_iiiiii
                                        ; -- End function
	.section	.AMDGPU.csdata,"",@progbits
; Kernel info:
; codeLenInByte = 7520
; NumSgprs: 33
; NumVgprs: 61
; NumAgprs: 0
; TotalNumVgprs: 61
; ScratchSize: 144
; MemoryBound: 0
; FloatMode: 240
; IeeeMode: 1
; LDSByteSize: 0 bytes/workgroup (compile time only)
; SGPRBlocks: 4
; VGPRBlocks: 7
; NumSGPRsForWavesPerEU: 33
; NumVGPRsForWavesPerEU: 61
; AccumOffset: 64
; Occupancy: 8
; WaveLimiterHint : 0
; COMPUTE_PGM_RSRC2:SCRATCH_EN: 1
; COMPUTE_PGM_RSRC2:USER_SGPR: 8
; COMPUTE_PGM_RSRC2:TRAP_HANDLER: 0
; COMPUTE_PGM_RSRC2:TGID_X_EN: 1
; COMPUTE_PGM_RSRC2:TGID_Y_EN: 0
; COMPUTE_PGM_RSRC2:TGID_Z_EN: 0
; COMPUTE_PGM_RSRC2:TIDIG_COMP_CNT: 1
; COMPUTE_PGM_RSRC3_GFX90A:ACCUM_OFFSET: 15
; COMPUTE_PGM_RSRC3_GFX90A:TG_SPLIT: 0
	.section	.text._ZN4vllm3moe17topkGatingSoftmaxItLi32ELi512ELi2ELi64ELb1ELi4ELNS0_23SharedExpertScoringFuncE1EEEvPKT_PKbPfiPiS9_iiiiii,"axG",@progbits,_ZN4vllm3moe17topkGatingSoftmaxItLi32ELi512ELi2ELi64ELb1ELi4ELNS0_23SharedExpertScoringFuncE1EEEvPKT_PKbPfiPiS9_iiiiii,comdat
	.protected	_ZN4vllm3moe17topkGatingSoftmaxItLi32ELi512ELi2ELi64ELb1ELi4ELNS0_23SharedExpertScoringFuncE1EEEvPKT_PKbPfiPiS9_iiiiii ; -- Begin function _ZN4vllm3moe17topkGatingSoftmaxItLi32ELi512ELi2ELi64ELb1ELi4ELNS0_23SharedExpertScoringFuncE1EEEvPKT_PKbPfiPiS9_iiiiii
	.globl	_ZN4vllm3moe17topkGatingSoftmaxItLi32ELi512ELi2ELi64ELb1ELi4ELNS0_23SharedExpertScoringFuncE1EEEvPKT_PKbPfiPiS9_iiiiii
	.p2align	8
	.type	_ZN4vllm3moe17topkGatingSoftmaxItLi32ELi512ELi2ELi64ELb1ELi4ELNS0_23SharedExpertScoringFuncE1EEEvPKT_PKbPfiPiS9_iiiiii,@function
_ZN4vllm3moe17topkGatingSoftmaxItLi32ELi512ELi2ELi64ELb1ELi4ELNS0_23SharedExpertScoringFuncE1EEEvPKT_PKbPfiPiS9_iiiiii: ; @_ZN4vllm3moe17topkGatingSoftmaxItLi32ELi512ELi2ELi64ELb1ELi4ELNS0_23SharedExpertScoringFuncE1EEEvPKT_PKbPfiPiS9_iiiiii
; %bb.0:
	s_load_dword s28, s[4:5], 0x18
	s_add_u32 s0, s0, s9
	v_bfe_u32 v1, v0, 10, 10
	v_and_b32_e32 v0, 0x3ff, v0
	s_addc_u32 s1, s1, 0
	s_lshl_b32 s29, s8, 3
	v_lshlrev_b32_e32 v41, 2, v1
	v_lshrrev_b32_e32 v42, 4, v0
	v_add3_u32 v6, s29, v41, v42
	s_waitcnt lgkmcnt(0)
	v_cmp_gt_i32_e32 vcc, s28, v6
	s_and_saveexec_b64 s[6:7], vcc
	s_cbranch_execz .LBB304_29
; %bb.1:
	s_load_dwordx4 s[8:11], s[4:5], 0x0
	s_load_dwordx2 s[20:21], s[4:5], 0x10
	s_waitcnt lgkmcnt(0)
	s_cmp_eq_u64 s[10:11], 0
	s_cbranch_scc1 .LBB304_3
; %bb.2:
	v_ashrrev_i32_e32 v1, 31, v6
	v_mov_b32_e32 v3, s11
	v_add_co_u32_e32 v2, vcc, s10, v6
	v_addc_co_u32_e32 v3, vcc, v3, v1, vcc
	global_load_ubyte v1, v[2:3], off
	s_waitcnt vmcnt(0)
	v_and_b32_e32 v1, 1, v1
	v_cmp_eq_u32_e32 vcc, 1, v1
	s_xor_b64 s[6:7], vcc, -1
	s_orn2_b64 s[22:23], s[6:7], exec
	s_branch .LBB304_4
.LBB304_3:
	s_mov_b64 s[22:23], -1
.LBB304_4:
	s_load_dwordx2 s[26:27], s[4:5], 0x40
	s_load_dwordx4 s[12:15], s[4:5], 0x30
	v_mov_b32_e32 v1, s9
	v_and_b32_e32 v7, 15, v0
	v_lshlrev_b32_e32 v0, 6, v7
	s_waitcnt lgkmcnt(0)
	v_mul_lo_u32 v2, v6, s27
	v_ashrrev_i32_e32 v3, 31, v2
	v_lshlrev_b64 v[2:3], 1, v[2:3]
	v_add_co_u32_e32 v10, vcc, s8, v2
	v_addc_co_u32_e32 v26, vcc, v1, v3, vcc
	v_add_co_u32_e32 v4, vcc, v10, v0
	v_addc_co_u32_e32 v5, vcc, 0, v26, vcc
	global_load_dwordx4 v[0:3], v[4:5], off
	global_load_dwordx4 v[28:31], v[4:5], off offset:16
	global_load_dwordx4 v[32:35], v[4:5], off offset:32
	;; [unrolled: 1-line block ×3, first 2 shown]
	v_mov_b32_e32 v8, 0
	v_lshlrev_b32_e32 v9, 5, v7
	v_cmp_gt_u32_e32 vcc, 4, v7
	s_waitcnt vmcnt(3)
	v_cvt_f32_u32_sdwa v11, v0 dst_sel:DWORD dst_unused:UNUSED_PAD src0_sel:WORD_1
	v_cvt_f32_u32_sdwa v25, v0 dst_sel:DWORD dst_unused:UNUSED_PAD src0_sel:WORD_0
	v_cvt_f32_u32_sdwa v13, v1 dst_sel:DWORD dst_unused:UNUSED_PAD src0_sel:WORD_1
	v_cvt_f32_u32_sdwa v12, v1 dst_sel:DWORD dst_unused:UNUSED_PAD src0_sel:WORD_0
	;; [unrolled: 2-line block ×4, first 2 shown]
	s_waitcnt vmcnt(2)
	v_cvt_f32_u32_sdwa v19, v28 dst_sel:DWORD dst_unused:UNUSED_PAD src0_sel:WORD_1
	v_cvt_f32_u32_sdwa v18, v28 dst_sel:DWORD dst_unused:UNUSED_PAD src0_sel:WORD_0
	v_cvt_f32_u32_sdwa v21, v29 dst_sel:DWORD dst_unused:UNUSED_PAD src0_sel:WORD_1
	v_cvt_f32_u32_sdwa v20, v29 dst_sel:DWORD dst_unused:UNUSED_PAD src0_sel:WORD_0
	;; [unrolled: 2-line block ×4, first 2 shown]
	s_waitcnt vmcnt(1)
	v_cvt_f32_u32_sdwa v3, v32 dst_sel:DWORD dst_unused:UNUSED_PAD src0_sel:WORD_1
	v_cvt_f32_u32_sdwa v4, v32 dst_sel:DWORD dst_unused:UNUSED_PAD src0_sel:WORD_0
	v_cvt_f32_u32_sdwa v1, v33 dst_sel:DWORD dst_unused:UNUSED_PAD src0_sel:WORD_1
	v_cvt_f32_u32_sdwa v2, v33 dst_sel:DWORD dst_unused:UNUSED_PAD src0_sel:WORD_0
	;; [unrolled: 2-line block ×3, first 2 shown]
	s_waitcnt vmcnt(0)
	v_cvt_f32_u32_sdwa v34, v39 dst_sel:DWORD dst_unused:UNUSED_PAD src0_sel:WORD_1
	v_cvt_f32_u32_sdwa v28, v35 dst_sel:DWORD dst_unused:UNUSED_PAD src0_sel:WORD_0
	v_cvt_f32_u32_sdwa v29, v35 dst_sel:DWORD dst_unused:UNUSED_PAD src0_sel:WORD_1
	v_cvt_f32_u32_sdwa v35, v39 dst_sel:DWORD dst_unused:UNUSED_PAD src0_sel:WORD_0
	v_cvt_f32_u32_sdwa v30, v36 dst_sel:DWORD dst_unused:UNUSED_PAD src0_sel:WORD_0
	v_cvt_f32_u32_sdwa v31, v36 dst_sel:DWORD dst_unused:UNUSED_PAD src0_sel:WORD_1
	v_cvt_f32_u32_sdwa v36, v38 dst_sel:DWORD dst_unused:UNUSED_PAD src0_sel:WORD_1
	v_cvt_f32_u32_sdwa v32, v37 dst_sel:DWORD dst_unused:UNUSED_PAD src0_sel:WORD_0
	v_cvt_f32_u32_sdwa v33, v37 dst_sel:DWORD dst_unused:UNUSED_PAD src0_sel:WORD_1
	v_cvt_f32_u32_sdwa v37, v38 dst_sel:DWORD dst_unused:UNUSED_PAD src0_sel:WORD_0
	buffer_store_dword v34, off, s[0:3], 0 offset:124
	buffer_store_dword v35, off, s[0:3], 0 offset:120
	;; [unrolled: 1-line block ×31, first 2 shown]
	buffer_store_dword v25, off, s[0:3], 0
	s_and_saveexec_b64 s[6:7], vcc
	s_cbranch_execz .LBB304_6
; %bb.5:
	v_lshlrev_b32_e32 v27, 1, v7
	v_add_co_u32_e32 v28, vcc, v10, v27
	v_addc_co_u32_e32 v29, vcc, 0, v26, vcc
	global_load_ushort v10, v[28:29], off offset:1024
	s_mov_b32 s8, 0xbfb8aa3b
	s_mov_b32 s9, 0x42ce8ed0
	;; [unrolled: 1-line block ×3, first 2 shown]
	v_mov_b32_e32 v28, 0x7f800000
	v_mul_lo_u32 v26, v6, s15
	v_add3_u32 v26, v26, s12, v7
	v_mov_b32_e32 v31, s21
	s_waitcnt vmcnt(0)
	v_cvt_f32_u32_e32 v10, v10
	v_mul_f32_e32 v27, 0xbfb8aa3b, v10
	v_fma_f32 v29, v10, s8, -v27
	v_rndne_f32_e32 v30, v27
	v_fmac_f32_e32 v29, 0xb2a5705f, v10
	v_sub_f32_e32 v27, v27, v30
	v_add_f32_e32 v27, v27, v29
	v_cvt_i32_f32_e32 v30, v30
	v_exp_f32_e32 v29, v27
	v_cmp_nlt_f32_e32 vcc, s9, v10
	v_ashrrev_i32_e32 v27, 31, v26
	v_lshlrev_b64 v[26:27], 2, v[26:27]
	v_ldexp_f32 v29, v29, v30
	v_cndmask_b32_e32 v29, 0, v29, vcc
	v_cmp_ngt_f32_e32 vcc, s10, v10
	v_cndmask_b32_e32 v10, v28, v29, vcc
	v_add_f32_e32 v10, 1.0, v10
	v_div_scale_f32 v28, s[8:9], v10, v10, 1.0
	v_rcp_f32_e32 v29, v28
	v_div_scale_f32 v30, vcc, 1.0, v10, 1.0
	v_fma_f32 v32, -v28, v29, 1.0
	v_fmac_f32_e32 v29, v32, v29
	v_mul_f32_e32 v32, v30, v29
	v_fma_f32 v33, -v28, v32, v30
	v_fmac_f32_e32 v32, v33, v29
	v_fma_f32 v28, -v28, v32, v30
	v_div_fmas_f32 v28, v28, v29, v32
	v_add_co_u32_e32 v26, vcc, s20, v26
	v_div_fixup_f32 v10, v28, v10, 1.0
	v_addc_co_u32_e32 v27, vcc, v31, v27, vcc
	global_store_dword v[26:27], v10, off
.LBB304_6:
	s_or_b64 exec, exec, s[6:7]
	buffer_load_dword v31, off, s[0:3], 0 offset:84
	buffer_load_dword v32, off, s[0:3], 0 offset:88
	;; [unrolled: 1-line block ×11, first 2 shown]
	v_cmp_lt_f32_e32 vcc, v25, v11
	v_or_b32_e32 v10, 1, v9
	v_cndmask_b32_e32 v25, v25, v11, vcc
	v_cndmask_b32_e32 v26, v9, v10, vcc
	v_cmp_lt_f32_e32 vcc, v25, v12
	v_or_b32_e32 v11, 2, v9
	v_cndmask_b32_e32 v25, v25, v12, vcc
	v_cndmask_b32_e32 v26, v26, v11, vcc
	v_cmp_lt_f32_e32 vcc, v25, v13
	v_or_b32_e32 v12, 3, v9
	v_cndmask_b32_e32 v25, v25, v13, vcc
	v_cndmask_b32_e32 v26, v26, v12, vcc
	v_cmp_lt_f32_e32 vcc, v25, v14
	v_or_b32_e32 v13, 4, v9
	v_cndmask_b32_e32 v25, v25, v14, vcc
	v_cndmask_b32_e32 v26, v26, v13, vcc
	v_cmp_lt_f32_e32 vcc, v25, v15
	v_or_b32_e32 v14, 5, v9
	v_cndmask_b32_e32 v25, v25, v15, vcc
	v_cndmask_b32_e32 v26, v26, v14, vcc
	v_cmp_lt_f32_e32 vcc, v25, v16
	v_or_b32_e32 v15, 6, v9
	v_cndmask_b32_e32 v25, v25, v16, vcc
	v_cndmask_b32_e32 v26, v26, v15, vcc
	v_cmp_lt_f32_e32 vcc, v25, v17
	v_or_b32_e32 v16, 7, v9
	v_cndmask_b32_e32 v25, v25, v17, vcc
	v_cndmask_b32_e32 v26, v26, v16, vcc
	v_cmp_lt_f32_e32 vcc, v25, v18
	v_or_b32_e32 v17, 8, v9
	v_cndmask_b32_e32 v25, v25, v18, vcc
	v_cndmask_b32_e32 v26, v26, v17, vcc
	v_cmp_lt_f32_e32 vcc, v25, v19
	v_or_b32_e32 v18, 9, v9
	v_cndmask_b32_e32 v25, v25, v19, vcc
	v_cndmask_b32_e32 v26, v26, v18, vcc
	v_cmp_lt_f32_e32 vcc, v25, v20
	v_or_b32_e32 v19, 10, v9
	v_cndmask_b32_e32 v25, v25, v20, vcc
	v_cndmask_b32_e32 v26, v26, v19, vcc
	v_cmp_lt_f32_e32 vcc, v25, v21
	v_or_b32_e32 v20, 11, v9
	v_cndmask_b32_e32 v25, v25, v21, vcc
	v_cndmask_b32_e32 v26, v26, v20, vcc
	v_cmp_lt_f32_e32 vcc, v25, v22
	v_or_b32_e32 v21, 12, v9
	v_cndmask_b32_e32 v25, v25, v22, vcc
	v_cndmask_b32_e32 v26, v26, v21, vcc
	v_cmp_lt_f32_e32 vcc, v25, v23
	v_or_b32_e32 v22, 13, v9
	v_cndmask_b32_e32 v25, v25, v23, vcc
	v_cndmask_b32_e32 v26, v26, v22, vcc
	v_cmp_lt_f32_e32 vcc, v25, v24
	v_or_b32_e32 v23, 14, v9
	v_cndmask_b32_e32 v25, v25, v24, vcc
	v_cndmask_b32_e32 v26, v26, v23, vcc
	v_cmp_lt_f32_e32 vcc, v25, v5
	v_or_b32_e32 v24, 15, v9
	v_cndmask_b32_e32 v5, v25, v5, vcc
	v_cndmask_b32_e32 v26, v26, v24, vcc
	v_cmp_lt_f32_e32 vcc, v5, v4
	v_or_b32_e32 v25, 16, v9
	v_cndmask_b32_e32 v4, v5, v4, vcc
	v_cndmask_b32_e32 v27, v26, v25, vcc
	v_cmp_lt_f32_e32 vcc, v4, v3
	v_or_b32_e32 v26, 17, v9
	v_cndmask_b32_e32 v3, v4, v3, vcc
	v_cndmask_b32_e32 v5, v27, v26, vcc
	v_cmp_lt_f32_e32 vcc, v3, v2
	v_or_b32_e32 v27, 18, v9
	v_cndmask_b32_e32 v2, v3, v2, vcc
	v_cndmask_b32_e32 v4, v5, v27, vcc
	v_cmp_lt_f32_e32 vcc, v2, v1
	v_or_b32_e32 v28, 19, v9
	v_cndmask_b32_e32 v1, v2, v1, vcc
	v_cndmask_b32_e32 v3, v4, v28, vcc
	v_cmp_lt_f32_e32 vcc, v1, v0
	v_or_b32_e32 v29, 20, v9
	v_cndmask_b32_e32 v0, v1, v0, vcc
	v_cndmask_b32_e32 v2, v3, v29, vcc
	s_waitcnt vmcnt(10)
	v_cmp_lt_f32_e32 vcc, v0, v31
	v_or_b32_e32 v30, 21, v9
	v_cndmask_b32_e32 v0, v0, v31, vcc
	v_cndmask_b32_e32 v1, v2, v30, vcc
	s_waitcnt vmcnt(9)
	v_cmp_lt_f32_e32 vcc, v0, v32
	v_or_b32_e32 v31, 22, v9
	v_cndmask_b32_e32 v0, v0, v32, vcc
	v_cndmask_b32_e32 v1, v1, v31, vcc
	;; [unrolled: 5-line block ×10, first 2 shown]
	v_or_b32_e32 v40, 31, v9
	s_waitcnt vmcnt(0)
	v_cmp_lt_f32_e32 vcc, v0, v43
	v_cndmask_b32_e32 v1, v1, v40, vcc
	v_cndmask_b32_e32 v0, v0, v43, vcc
	s_nop 0
	v_mov_b32_dpp v2, v1 quad_perm:[1,0,3,2] row_mask:0xf bank_mask:0xf
	v_mov_b32_dpp v3, v0 quad_perm:[1,0,3,2] row_mask:0xf bank_mask:0xf
	v_cmp_eq_f32_e64 s[6:7], v0, v3
	v_cmp_lt_i32_e64 s[8:9], v2, v1
	v_cmp_lt_f32_e32 vcc, v0, v3
	s_and_b64 s[6:7], s[6:7], s[8:9]
	s_or_b64 vcc, vcc, s[6:7]
	v_cndmask_b32_e32 v0, v0, v3, vcc
	v_cndmask_b32_e32 v1, v1, v2, vcc
	s_nop 0
	v_mov_b32_dpp v3, v0 quad_perm:[2,3,0,1] row_mask:0xf bank_mask:0xf
	v_mov_b32_dpp v2, v1 quad_perm:[2,3,0,1] row_mask:0xf bank_mask:0xf
	v_cmp_eq_f32_e64 s[6:7], v0, v3
	v_cmp_lt_i32_e64 s[8:9], v2, v1
	v_cmp_lt_f32_e32 vcc, v0, v3
	s_and_b64 s[6:7], s[6:7], s[8:9]
	s_or_b64 vcc, vcc, s[6:7]
	v_cndmask_b32_e32 v0, v0, v3, vcc
	v_cndmask_b32_e32 v1, v1, v2, vcc
	s_nop 0
	v_mov_b32_dpp v3, v0 row_half_mirror row_mask:0xf bank_mask:0xf
	v_mov_b32_dpp v2, v1 row_half_mirror row_mask:0xf bank_mask:0xf
	v_cmp_eq_f32_e64 s[6:7], v0, v3
	v_cmp_lt_i32_e64 s[8:9], v2, v1
	v_cmp_lt_f32_e32 vcc, v0, v3
	s_and_b64 s[6:7], s[6:7], s[8:9]
	s_or_b64 vcc, vcc, s[6:7]
	v_cndmask_b32_e32 v0, v0, v3, vcc
	v_cndmask_b32_e32 v1, v1, v2, vcc
	s_cmp_gt_i32 s12, 0
	v_mov_b32_dpp v3, v0 row_mirror row_mask:0xf bank_mask:0xf
	v_mov_b32_dpp v2, v1 row_mirror row_mask:0xf bank_mask:0xf
	s_cselect_b64 s[24:25], -1, 0
	s_cmp_lt_i32 s12, 1
	v_cmp_eq_u32_e32 vcc, 0, v7
	s_cbranch_scc1 .LBB304_18
; %bb.7:
	s_load_dwordx4 s[16:19], s[4:5], 0x20
	v_cmp_eq_f32_e64 s[8:9], v0, v3
	v_cmp_lt_i32_e64 s[10:11], v2, v1
	v_cmp_lt_f32_e64 s[6:7], v0, v3
	s_and_b64 s[8:9], s[8:9], s[10:11]
	s_or_b64 s[6:7], s[6:7], s[8:9]
	v_cndmask_b32_e64 v44, v1, v2, s[6:7]
	v_cndmask_b32_e64 v43, v0, v3, s[6:7]
	v_mul_lo_u32 v4, v6, s15
	v_mul_lo_u32 v2, v6, s26
	;; [unrolled: 1-line block ×3, first 2 shown]
	v_mov_b32_e32 v8, 0
	s_and_saveexec_b64 s[8:9], vcc
	s_cbranch_execz .LBB304_9
; %bb.8:
	v_sub_f32_e32 v1, v43, v43
	v_mul_f32_e32 v3, 0x3fb8aa3b, v1
	s_mov_b32 s4, 0x3fb8aa3b
	v_rndne_f32_e32 v5, v3
	v_sub_f32_e32 v8, v3, v5
	v_fma_f32 v3, v1, s4, -v3
	v_fmac_f32_e32 v3, 0x32a5705f, v1
	v_add_f32_e32 v3, v8, v3
	v_exp_f32_e32 v3, v3
	v_cvt_i32_f32_e32 v5, v5
	v_cmp_le_i32_e64 s[4:5], s13, v44
	v_cmp_gt_i32_e64 s[6:7], s14, v44
	s_and_b64 s[6:7], s[4:5], s[6:7]
	s_mov_b32 s4, 0xc2ce8ed0
	v_ldexp_f32 v3, v3, v5
	v_cmp_ngt_f32_e64 s[4:5], s4, v1
	v_cndmask_b32_e64 v3, 0, v3, s[4:5]
	s_mov_b32 s4, 0x42b17218
	v_mov_b32_e32 v5, 0x7f800000
	v_cmp_nlt_f32_e64 s[4:5], s4, v1
	v_cndmask_b32_e64 v8, v5, v3, s[4:5]
	v_ashrrev_i32_e32 v5, 31, v4
	v_lshlrev_b64 v[46:47], 2, v[4:5]
	v_mov_b32_e32 v1, s21
	v_add_co_u32_e64 v46, s[4:5], s20, v46
	v_addc_co_u32_e64 v47, s[4:5], v1, v47, s[4:5]
	v_subrev_u32_e32 v1, s13, v44
	v_mov_b32_e32 v3, 0x200
	s_and_b64 s[4:5], s[22:23], s[6:7]
	v_cndmask_b32_e64 v1, v3, v1, s[4:5]
	v_ashrrev_i32_e32 v3, 31, v2
	global_store_dword v[46:47], v8, off
	v_lshlrev_b64 v[46:47], 2, v[2:3]
	s_waitcnt lgkmcnt(0)
	v_mov_b32_e32 v3, s17
	v_add_co_u32_e64 v46, s[4:5], s16, v46
	v_addc_co_u32_e64 v47, s[4:5], v3, v47, s[4:5]
	global_store_dword v[46:47], v1, off
	v_ashrrev_i32_e32 v1, 31, v0
	v_lshlrev_b64 v[46:47], 2, v[0:1]
	v_mov_b32_e32 v1, s19
	v_add_co_u32_e64 v46, s[4:5], s18, v46
	v_addc_co_u32_e64 v47, s[4:5], v1, v47, s[4:5]
	global_store_dword v[46:47], v6, off
.LBB304_9:
	s_or_b64 exec, exec, s[8:9]
	v_ashrrev_i32_e32 v3, 31, v44
	v_lshrrev_b32_e32 v1, 27, v3
	v_add_u32_e32 v1, v44, v1
	v_ashrrev_i32_e32 v1, 5, v1
	v_lshrrev_b32_e32 v5, 28, v1
	v_add_u32_e32 v5, v1, v5
	v_and_b32_e32 v5, -16, v5
	v_sub_u32_e32 v5, v1, v5
	v_cmp_eq_u32_e64 s[4:5], v7, v5
	s_and_saveexec_b64 s[6:7], s[4:5]
	s_cbranch_execz .LBB304_11
; %bb.10:
	v_lshrrev_b32_e32 v3, 23, v3
	v_add_u32_e32 v3, v44, v3
	v_lshlrev_b32_e32 v1, 5, v1
	v_ashrrev_i32_e32 v3, 9, v3
	v_sub_u32_e32 v1, v44, v1
	v_lshl_add_u32 v1, v3, 5, v1
	v_mov_b32_e32 v3, 0
	v_lshl_add_u32 v1, v1, 2, v3
	v_mov_b32_e32 v3, 0xff800000
	buffer_store_dword v3, v1, s[0:3], 0 offen
.LBB304_11:
	s_or_b64 exec, exec, s[6:7]
	s_cmp_eq_u32 s12, 1
	s_cbranch_scc1 .LBB304_18
; %bb.12:
	s_add_i32 s29, s29, s28
	s_add_i32 s10, s12, -1
	v_add3_u32 v41, s29, v42, v41
	v_add_u32_e32 v0, 1, v0
	v_add_u32_e32 v2, 1, v2
	;; [unrolled: 1-line block ×3, first 2 shown]
	s_mov_b32 s11, 0x3fb8aa3b
	s_mov_b32 s26, 0xc2ce8ed0
	;; [unrolled: 1-line block ×3, first 2 shown]
	v_mov_b32_e32 v42, 0
	v_mov_b32_e32 v44, 0xff800000
	;; [unrolled: 1-line block ×4, first 2 shown]
	s_branch .LBB304_14
.LBB304_13:                             ;   in Loop: Header=BB304_14 Depth=1
	s_or_b64 exec, exec, s[6:7]
	s_add_i32 s10, s10, -1
	v_add_u32_e32 v41, s28, v41
	v_add_u32_e32 v0, 1, v0
	;; [unrolled: 1-line block ×3, first 2 shown]
	s_cmp_eq_u32 s10, 0
	v_add_u32_e32 v4, 1, v4
	s_cbranch_scc1 .LBB304_18
.LBB304_14:                             ; =>This Inner Loop Header: Depth=1
	buffer_load_dword v1, off, s[0:3], 0
	buffer_load_dword v3, off, s[0:3], 0 offset:4
	buffer_load_dword v5, off, s[0:3], 0 offset:8
	;; [unrolled: 1-line block ×15, first 2 shown]
	s_waitcnt vmcnt(14)
	v_cmp_gt_f32_e64 s[4:5], v3, v1
	v_cndmask_b32_e64 v1, v1, v3, s[4:5]
	v_cndmask_b32_e64 v60, v9, v10, s[4:5]
	s_waitcnt vmcnt(13)
	v_cmp_gt_f32_e64 s[4:5], v5, v1
	v_cndmask_b32_e64 v1, v1, v5, s[4:5]
	buffer_load_dword v5, off, s[0:3], 0 offset:64
	v_cndmask_b32_e64 v3, v60, v11, s[4:5]
	s_waitcnt vmcnt(13)
	v_cmp_gt_f32_e64 s[4:5], v47, v1
	v_cndmask_b32_e64 v1, v1, v47, s[4:5]
	v_cndmask_b32_e64 v3, v3, v12, s[4:5]
	s_waitcnt vmcnt(12)
	v_cmp_gt_f32_e64 s[4:5], v48, v1
	v_cndmask_b32_e64 v1, v1, v48, s[4:5]
	;; [unrolled: 4-line block ×14, first 2 shown]
	buffer_load_dword v5, off, s[0:3], 0 offset:68
	v_cndmask_b32_e64 v3, v3, v25, s[4:5]
	s_waitcnt vmcnt(0)
	v_cmp_gt_f32_e64 s[4:5], v5, v1
	v_cndmask_b32_e64 v1, v1, v5, s[4:5]
	buffer_load_dword v5, off, s[0:3], 0 offset:72
	v_cndmask_b32_e64 v3, v3, v26, s[4:5]
	s_waitcnt vmcnt(0)
	v_cmp_gt_f32_e64 s[4:5], v5, v1
	v_cndmask_b32_e64 v1, v1, v5, s[4:5]
	buffer_load_dword v5, off, s[0:3], 0 offset:76
	v_cndmask_b32_e64 v3, v3, v27, s[4:5]
	s_waitcnt vmcnt(0)
	v_cmp_gt_f32_e64 s[4:5], v5, v1
	v_cndmask_b32_e64 v1, v1, v5, s[4:5]
	buffer_load_dword v5, off, s[0:3], 0 offset:80
	v_cndmask_b32_e64 v3, v3, v28, s[4:5]
	s_waitcnt vmcnt(0)
	v_cmp_gt_f32_e64 s[4:5], v5, v1
	v_cndmask_b32_e64 v1, v1, v5, s[4:5]
	buffer_load_dword v5, off, s[0:3], 0 offset:84
	v_cndmask_b32_e64 v3, v3, v29, s[4:5]
	s_waitcnt vmcnt(0)
	v_cmp_gt_f32_e64 s[4:5], v5, v1
	v_cndmask_b32_e64 v1, v1, v5, s[4:5]
	buffer_load_dword v5, off, s[0:3], 0 offset:88
	v_cndmask_b32_e64 v3, v3, v30, s[4:5]
	s_waitcnt vmcnt(0)
	v_cmp_gt_f32_e64 s[4:5], v5, v1
	v_cndmask_b32_e64 v1, v1, v5, s[4:5]
	buffer_load_dword v5, off, s[0:3], 0 offset:92
	v_cndmask_b32_e64 v3, v3, v31, s[4:5]
	s_waitcnt vmcnt(0)
	v_cmp_gt_f32_e64 s[4:5], v5, v1
	v_cndmask_b32_e64 v1, v1, v5, s[4:5]
	buffer_load_dword v5, off, s[0:3], 0 offset:96
	v_cndmask_b32_e64 v3, v3, v32, s[4:5]
	s_waitcnt vmcnt(0)
	v_cmp_gt_f32_e64 s[4:5], v5, v1
	v_cndmask_b32_e64 v1, v1, v5, s[4:5]
	buffer_load_dword v5, off, s[0:3], 0 offset:100
	v_cndmask_b32_e64 v3, v3, v33, s[4:5]
	s_waitcnt vmcnt(0)
	v_cmp_gt_f32_e64 s[4:5], v5, v1
	v_cndmask_b32_e64 v1, v1, v5, s[4:5]
	buffer_load_dword v5, off, s[0:3], 0 offset:104
	v_cndmask_b32_e64 v3, v3, v34, s[4:5]
	s_waitcnt vmcnt(0)
	v_cmp_gt_f32_e64 s[4:5], v5, v1
	v_cndmask_b32_e64 v1, v1, v5, s[4:5]
	buffer_load_dword v5, off, s[0:3], 0 offset:108
	v_cndmask_b32_e64 v3, v3, v35, s[4:5]
	s_waitcnt vmcnt(0)
	v_cmp_gt_f32_e64 s[4:5], v5, v1
	v_cndmask_b32_e64 v1, v1, v5, s[4:5]
	buffer_load_dword v5, off, s[0:3], 0 offset:112
	v_cndmask_b32_e64 v3, v3, v36, s[4:5]
	s_waitcnt vmcnt(0)
	v_cmp_gt_f32_e64 s[4:5], v5, v1
	v_cndmask_b32_e64 v1, v1, v5, s[4:5]
	buffer_load_dword v5, off, s[0:3], 0 offset:116
	v_cndmask_b32_e64 v3, v3, v37, s[4:5]
	s_waitcnt vmcnt(0)
	v_cmp_gt_f32_e64 s[4:5], v5, v1
	v_cndmask_b32_e64 v1, v1, v5, s[4:5]
	buffer_load_dword v5, off, s[0:3], 0 offset:120
	v_cndmask_b32_e64 v3, v3, v38, s[4:5]
	s_waitcnt vmcnt(0)
	v_cmp_gt_f32_e64 s[4:5], v5, v1
	v_cndmask_b32_e64 v1, v1, v5, s[4:5]
	buffer_load_dword v5, off, s[0:3], 0 offset:124
	v_cndmask_b32_e64 v3, v3, v39, s[4:5]
	s_waitcnt vmcnt(0)
	v_cmp_gt_f32_e64 s[4:5], v5, v1
	v_cndmask_b32_e64 v3, v3, v40, s[4:5]
	v_cndmask_b32_e64 v1, v1, v5, s[4:5]
	s_nop 0
	v_mov_b32_dpp v5, v3 quad_perm:[1,0,3,2] row_mask:0xf bank_mask:0xf
	v_mov_b32_dpp v47, v1 quad_perm:[1,0,3,2] row_mask:0xf bank_mask:0xf
	v_cmp_eq_f32_e64 s[6:7], v1, v47
	v_cmp_lt_i32_e64 s[8:9], v5, v3
	v_cmp_lt_f32_e64 s[4:5], v1, v47
	s_and_b64 s[6:7], s[6:7], s[8:9]
	s_or_b64 s[4:5], s[4:5], s[6:7]
	v_cndmask_b32_e64 v1, v1, v47, s[4:5]
	v_cndmask_b32_e64 v3, v3, v5, s[4:5]
	s_nop 0
	v_mov_b32_dpp v47, v1 quad_perm:[2,3,0,1] row_mask:0xf bank_mask:0xf
	v_mov_b32_dpp v5, v3 quad_perm:[2,3,0,1] row_mask:0xf bank_mask:0xf
	v_cmp_eq_f32_e64 s[6:7], v1, v47
	v_cmp_lt_i32_e64 s[8:9], v5, v3
	v_cmp_lt_f32_e64 s[4:5], v1, v47
	s_and_b64 s[6:7], s[6:7], s[8:9]
	s_or_b64 s[4:5], s[4:5], s[6:7]
	v_cndmask_b32_e64 v1, v1, v47, s[4:5]
	v_cndmask_b32_e64 v3, v3, v5, s[4:5]
	s_nop 0
	v_mov_b32_dpp v47, v1 row_half_mirror row_mask:0xf bank_mask:0xf
	v_mov_b32_dpp v5, v3 row_half_mirror row_mask:0xf bank_mask:0xf
	v_cmp_eq_f32_e64 s[6:7], v1, v47
	v_cmp_lt_i32_e64 s[8:9], v5, v3
	v_cmp_lt_f32_e64 s[4:5], v1, v47
	s_and_b64 s[6:7], s[6:7], s[8:9]
	s_or_b64 s[4:5], s[4:5], s[6:7]
	v_cndmask_b32_e64 v1, v1, v47, s[4:5]
	v_cndmask_b32_e64 v5, v3, v5, s[4:5]
	s_nop 0
	v_mov_b32_dpp v3, v1 row_mirror row_mask:0xf bank_mask:0xf
	v_mov_b32_dpp v47, v5 row_mirror row_mask:0xf bank_mask:0xf
	v_cmp_eq_f32_e64 s[6:7], v1, v3
	v_cmp_lt_i32_e64 s[8:9], v47, v5
	v_cmp_lt_f32_e64 s[4:5], v1, v3
	s_and_b64 s[6:7], s[6:7], s[8:9]
	s_or_b64 s[4:5], s[4:5], s[6:7]
	v_cndmask_b32_e64 v47, v5, v47, s[4:5]
	s_and_saveexec_b64 s[8:9], vcc
	s_cbranch_execz .LBB304_16
; %bb.15:                               ;   in Loop: Header=BB304_14 Depth=1
	v_cndmask_b32_e64 v1, v1, v3, s[4:5]
	v_sub_f32_e32 v1, v1, v43
	v_mul_f32_e32 v3, 0x3fb8aa3b, v1
	v_fma_f32 v5, v1, s11, -v3
	v_rndne_f32_e32 v48, v3
	v_fmac_f32_e32 v5, 0x32a5705f, v1
	v_sub_f32_e32 v3, v3, v48
	v_add_f32_e32 v3, v3, v5
	v_exp_f32_e32 v3, v3
	v_cvt_i32_f32_e32 v5, v48
	v_cmp_le_i32_e64 s[4:5], s13, v47
	v_cmp_gt_i32_e64 s[6:7], s14, v47
	s_and_b64 s[6:7], s[4:5], s[6:7]
	v_ldexp_f32 v3, v3, v5
	v_cmp_ngt_f32_e64 s[4:5], s26, v1
	v_ashrrev_i32_e32 v5, 31, v4
	v_cndmask_b32_e64 v3, 0, v3, s[4:5]
	v_cmp_nlt_f32_e64 s[4:5], s27, v1
	v_lshlrev_b64 v[48:49], 2, v[4:5]
	v_cndmask_b32_e64 v50, v45, v3, s[4:5]
	v_mov_b32_e32 v1, s21
	v_add_co_u32_e64 v48, s[4:5], s20, v48
	v_addc_co_u32_e64 v49, s[4:5], v1, v49, s[4:5]
	v_ashrrev_i32_e32 v3, 31, v2
	global_store_dword v[48:49], v50, off
	v_subrev_u32_e32 v1, s13, v47
	s_and_b64 s[4:5], s[22:23], s[6:7]
	v_lshlrev_b64 v[48:49], 2, v[2:3]
	v_cndmask_b32_e64 v1, v46, v1, s[4:5]
	s_waitcnt lgkmcnt(0)
	v_mov_b32_e32 v3, s17
	v_add_co_u32_e64 v48, s[4:5], s16, v48
	v_addc_co_u32_e64 v49, s[4:5], v3, v49, s[4:5]
	global_store_dword v[48:49], v1, off
	v_ashrrev_i32_e32 v1, 31, v0
	v_lshlrev_b64 v[48:49], 2, v[0:1]
	v_mov_b32_e32 v1, s19
	v_add_co_u32_e64 v48, s[4:5], s18, v48
	v_addc_co_u32_e64 v49, s[4:5], v1, v49, s[4:5]
	v_add_f32_e32 v8, v8, v50
	global_store_dword v[48:49], v41, off
.LBB304_16:                             ;   in Loop: Header=BB304_14 Depth=1
	s_or_b64 exec, exec, s[8:9]
	v_ashrrev_i32_e32 v3, 31, v47
	v_lshrrev_b32_e32 v1, 27, v3
	v_add_u32_e32 v1, v47, v1
	v_ashrrev_i32_e32 v1, 5, v1
	v_lshrrev_b32_e32 v5, 28, v1
	v_add_u32_e32 v5, v1, v5
	v_and_b32_e32 v5, -16, v5
	v_sub_u32_e32 v5, v1, v5
	v_cmp_eq_u32_e64 s[4:5], v7, v5
	s_and_saveexec_b64 s[6:7], s[4:5]
	s_cbranch_execz .LBB304_13
; %bb.17:                               ;   in Loop: Header=BB304_14 Depth=1
	v_lshrrev_b32_e32 v3, 23, v3
	v_add_u32_e32 v3, v47, v3
	v_lshlrev_b32_e32 v1, 5, v1
	v_ashrrev_i32_e32 v3, 9, v3
	v_sub_u32_e32 v1, v47, v1
	v_lshl_add_u32 v1, v3, 5, v1
	v_lshl_add_u32 v1, v1, 2, v42
	buffer_store_dword v44, v1, s[0:3], 0 offen
	s_branch .LBB304_13
.LBB304_18:
	v_cmp_eq_u32_e32 vcc, 0, v7
	v_cmp_neq_f32_e64 s[4:5], 0, v8
	s_and_b64 s[4:5], vcc, s[4:5]
	s_and_b64 exec, exec, s[4:5]
	s_cbranch_execz .LBB304_29
; %bb.19:
	s_andn2_b64 vcc, exec, s[24:25]
	s_cbranch_vccnz .LBB304_29
; %bb.20:
	v_div_scale_f32 v0, s[4:5], v8, v8, 1.0
	v_rcp_f32_e32 v1, v0
	v_div_scale_f32 v2, vcc, 1.0, v8, 1.0
	s_cmp_gt_u32 s12, 3
	v_fma_f32 v3, -v0, v1, 1.0
	v_fmac_f32_e32 v1, v3, v1
	v_mul_f32_e32 v3, v2, v1
	v_fma_f32 v4, -v0, v3, v2
	v_fmac_f32_e32 v3, v4, v1
	v_fma_f32 v0, -v0, v3, v2
	v_div_fmas_f32 v0, v0, v1, v3
	v_mul_lo_u32 v2, v6, s15
	v_div_fixup_f32 v0, v0, v8, 1.0
	v_ashrrev_i32_e32 v3, 31, v2
	s_cbranch_scc0 .LBB304_24
; %bb.21:
	v_lshlrev_b64 v[4:5], 2, v[2:3]
	v_mov_b32_e32 v6, s21
	v_add_co_u32_e32 v4, vcc, s20, v4
	v_addc_co_u32_e32 v5, vcc, v5, v6, vcc
	s_and_b32 s8, s12, 0x7ffffffc
	v_add_co_u32_e32 v4, vcc, 8, v4
	v_mov_b32_e32 v1, v0
	v_addc_co_u32_e32 v5, vcc, 0, v5, vcc
	s_mov_b32 s4, s8
.LBB304_22:                             ; =>This Inner Loop Header: Depth=1
	global_load_dwordx4 v[6:9], v[4:5], off offset:-8
	s_add_i32 s4, s4, -4
	s_cmp_lg_u32 s4, 0
	s_waitcnt vmcnt(0)
	v_pk_mul_f32 v[6:7], v[0:1], v[6:7]
	v_pk_mul_f32 v[8:9], v[0:1], v[8:9]
	global_store_dwordx4 v[4:5], v[6:9], off offset:-8
	v_add_co_u32_e32 v4, vcc, 16, v4
	v_addc_co_u32_e32 v5, vcc, 0, v5, vcc
	s_cbranch_scc1 .LBB304_22
; %bb.23:
	s_cmp_lg_u32 s8, s12
	s_cselect_b64 s[4:5], -1, 0
	s_branch .LBB304_26
.LBB304_24:
	s_mov_b64 s[4:5], 0
                                        ; implicit-def: $sgpr8
	s_cbranch_execz .LBB304_26
; %bb.25:
	s_mov_b64 s[4:5], -1
	s_mov_b32 s8, 0
.LBB304_26:
	s_andn2_b64 vcc, exec, s[4:5]
	s_cbranch_vccnz .LBB304_29
; %bb.27:
	v_add_co_u32_e32 v2, vcc, s8, v2
	v_addc_co_u32_e32 v3, vcc, 0, v3, vcc
	v_lshlrev_b64 v[2:3], 2, v[2:3]
	v_mov_b32_e32 v1, s21
	v_add_co_u32_e32 v2, vcc, s20, v2
	s_sub_i32 s4, s12, s8
	v_addc_co_u32_e32 v3, vcc, v1, v3, vcc
.LBB304_28:                             ; =>This Inner Loop Header: Depth=1
	global_load_dword v1, v[2:3], off
	s_add_i32 s4, s4, -1
	s_cmp_lg_u32 s4, 0
	s_waitcnt vmcnt(0)
	v_mul_f32_e32 v1, v0, v1
	global_store_dword v[2:3], v1, off
	v_add_co_u32_e32 v2, vcc, 4, v2
	v_addc_co_u32_e32 v3, vcc, 0, v3, vcc
	s_cbranch_scc1 .LBB304_28
.LBB304_29:
	s_endpgm
	.section	.rodata,"a",@progbits
	.p2align	6, 0x0
	.amdhsa_kernel _ZN4vllm3moe17topkGatingSoftmaxItLi32ELi512ELi2ELi64ELb1ELi4ELNS0_23SharedExpertScoringFuncE1EEEvPKT_PKbPfiPiS9_iiiiii
		.amdhsa_group_segment_fixed_size 0
		.amdhsa_private_segment_fixed_size 144
		.amdhsa_kernarg_size 72
		.amdhsa_user_sgpr_count 8
		.amdhsa_user_sgpr_private_segment_buffer 1
		.amdhsa_user_sgpr_dispatch_ptr 0
		.amdhsa_user_sgpr_queue_ptr 0
		.amdhsa_user_sgpr_kernarg_segment_ptr 1
		.amdhsa_user_sgpr_dispatch_id 0
		.amdhsa_user_sgpr_flat_scratch_init 1
		.amdhsa_user_sgpr_kernarg_preload_length 0
		.amdhsa_user_sgpr_kernarg_preload_offset 0
		.amdhsa_user_sgpr_private_segment_size 0
		.amdhsa_uses_dynamic_stack 0
		.amdhsa_system_sgpr_private_segment_wavefront_offset 1
		.amdhsa_system_sgpr_workgroup_id_x 1
		.amdhsa_system_sgpr_workgroup_id_y 0
		.amdhsa_system_sgpr_workgroup_id_z 0
		.amdhsa_system_sgpr_workgroup_info 0
		.amdhsa_system_vgpr_workitem_id 1
		.amdhsa_next_free_vgpr 61
		.amdhsa_next_free_sgpr 30
		.amdhsa_accum_offset 64
		.amdhsa_reserve_vcc 1
		.amdhsa_reserve_flat_scratch 0
		.amdhsa_float_round_mode_32 0
		.amdhsa_float_round_mode_16_64 0
		.amdhsa_float_denorm_mode_32 3
		.amdhsa_float_denorm_mode_16_64 3
		.amdhsa_dx10_clamp 1
		.amdhsa_ieee_mode 1
		.amdhsa_fp16_overflow 0
		.amdhsa_tg_split 0
		.amdhsa_exception_fp_ieee_invalid_op 0
		.amdhsa_exception_fp_denorm_src 0
		.amdhsa_exception_fp_ieee_div_zero 0
		.amdhsa_exception_fp_ieee_overflow 0
		.amdhsa_exception_fp_ieee_underflow 0
		.amdhsa_exception_fp_ieee_inexact 0
		.amdhsa_exception_int_div_zero 0
	.end_amdhsa_kernel
	.section	.text._ZN4vllm3moe17topkGatingSoftmaxItLi32ELi512ELi2ELi64ELb1ELi4ELNS0_23SharedExpertScoringFuncE1EEEvPKT_PKbPfiPiS9_iiiiii,"axG",@progbits,_ZN4vllm3moe17topkGatingSoftmaxItLi32ELi512ELi2ELi64ELb1ELi4ELNS0_23SharedExpertScoringFuncE1EEEvPKT_PKbPfiPiS9_iiiiii,comdat
.Lfunc_end304:
	.size	_ZN4vllm3moe17topkGatingSoftmaxItLi32ELi512ELi2ELi64ELb1ELi4ELNS0_23SharedExpertScoringFuncE1EEEvPKT_PKbPfiPiS9_iiiiii, .Lfunc_end304-_ZN4vllm3moe17topkGatingSoftmaxItLi32ELi512ELi2ELi64ELb1ELi4ELNS0_23SharedExpertScoringFuncE1EEEvPKT_PKbPfiPiS9_iiiiii
                                        ; -- End function
	.section	.AMDGPU.csdata,"",@progbits
; Kernel info:
; codeLenInByte = 4596
; NumSgprs: 34
; NumVgprs: 61
; NumAgprs: 0
; TotalNumVgprs: 61
; ScratchSize: 144
; MemoryBound: 0
; FloatMode: 240
; IeeeMode: 1
; LDSByteSize: 0 bytes/workgroup (compile time only)
; SGPRBlocks: 4
; VGPRBlocks: 7
; NumSGPRsForWavesPerEU: 34
; NumVGPRsForWavesPerEU: 61
; AccumOffset: 64
; Occupancy: 8
; WaveLimiterHint : 0
; COMPUTE_PGM_RSRC2:SCRATCH_EN: 1
; COMPUTE_PGM_RSRC2:USER_SGPR: 8
; COMPUTE_PGM_RSRC2:TRAP_HANDLER: 0
; COMPUTE_PGM_RSRC2:TGID_X_EN: 1
; COMPUTE_PGM_RSRC2:TGID_Y_EN: 0
; COMPUTE_PGM_RSRC2:TGID_Z_EN: 0
; COMPUTE_PGM_RSRC2:TIDIG_COMP_CNT: 1
; COMPUTE_PGM_RSRC3_GFX90A:ACCUM_OFFSET: 15
; COMPUTE_PGM_RSRC3_GFX90A:TG_SPLIT: 0
	.section	.text._ZN4vllm3moe17topkGatingSoftmaxItLi32ELi512ELi2ELi64ELb0ELi4ELNS0_23SharedExpertScoringFuncE1EEEvPKT_PKbPfiPiS9_iiiiii,"axG",@progbits,_ZN4vllm3moe17topkGatingSoftmaxItLi32ELi512ELi2ELi64ELb0ELi4ELNS0_23SharedExpertScoringFuncE1EEEvPKT_PKbPfiPiS9_iiiiii,comdat
	.protected	_ZN4vllm3moe17topkGatingSoftmaxItLi32ELi512ELi2ELi64ELb0ELi4ELNS0_23SharedExpertScoringFuncE1EEEvPKT_PKbPfiPiS9_iiiiii ; -- Begin function _ZN4vllm3moe17topkGatingSoftmaxItLi32ELi512ELi2ELi64ELb0ELi4ELNS0_23SharedExpertScoringFuncE1EEEvPKT_PKbPfiPiS9_iiiiii
	.globl	_ZN4vllm3moe17topkGatingSoftmaxItLi32ELi512ELi2ELi64ELb0ELi4ELNS0_23SharedExpertScoringFuncE1EEEvPKT_PKbPfiPiS9_iiiiii
	.p2align	8
	.type	_ZN4vllm3moe17topkGatingSoftmaxItLi32ELi512ELi2ELi64ELb0ELi4ELNS0_23SharedExpertScoringFuncE1EEEvPKT_PKbPfiPiS9_iiiiii,@function
_ZN4vllm3moe17topkGatingSoftmaxItLi32ELi512ELi2ELi64ELb0ELi4ELNS0_23SharedExpertScoringFuncE1EEEvPKT_PKbPfiPiS9_iiiiii: ; @_ZN4vllm3moe17topkGatingSoftmaxItLi32ELi512ELi2ELi64ELb0ELi4ELNS0_23SharedExpertScoringFuncE1EEEvPKT_PKbPfiPiS9_iiiiii
; %bb.0:
	s_load_dword s26, s[4:5], 0x18
	s_add_u32 s0, s0, s9
	v_bfe_u32 v1, v0, 10, 10
	v_and_b32_e32 v0, 0x3ff, v0
	s_addc_u32 s1, s1, 0
	s_lshl_b32 s27, s8, 3
	v_lshlrev_b32_e32 v42, 2, v1
	v_lshrrev_b32_e32 v43, 4, v0
	v_add3_u32 v6, s27, v42, v43
	s_waitcnt lgkmcnt(0)
	v_cmp_gt_i32_e32 vcc, s26, v6
	s_and_saveexec_b64 s[6:7], vcc
	s_cbranch_execz .LBB305_32
; %bb.1:
	s_load_dwordx4 s[8:11], s[4:5], 0x0
	s_load_dwordx2 s[20:21], s[4:5], 0x10
	s_waitcnt lgkmcnt(0)
	s_cmp_eq_u64 s[10:11], 0
	s_cbranch_scc1 .LBB305_3
; %bb.2:
	v_ashrrev_i32_e32 v1, 31, v6
	v_mov_b32_e32 v3, s11
	v_add_co_u32_e32 v2, vcc, s10, v6
	v_addc_co_u32_e32 v3, vcc, v3, v1, vcc
	global_load_ubyte v1, v[2:3], off
	s_waitcnt vmcnt(0)
	v_and_b32_e32 v1, 1, v1
	v_cmp_eq_u32_e32 vcc, 1, v1
	s_xor_b64 s[6:7], vcc, -1
	s_orn2_b64 s[22:23], s[6:7], exec
	s_branch .LBB305_4
.LBB305_3:
	s_mov_b64 s[22:23], -1
.LBB305_4:
	s_load_dwordx2 s[24:25], s[4:5], 0x40
	s_load_dwordx4 s[12:15], s[4:5], 0x30
	v_mov_b32_e32 v1, s9
	v_and_b32_e32 v7, 15, v0
	v_lshlrev_b32_e32 v0, 6, v7
	s_waitcnt lgkmcnt(0)
	v_mul_lo_u32 v2, v6, s25
	v_ashrrev_i32_e32 v3, 31, v2
	v_lshlrev_b64 v[2:3], 1, v[2:3]
	v_add_co_u32_e32 v11, vcc, s8, v2
	v_addc_co_u32_e32 v16, vcc, v1, v3, vcc
	v_add_co_u32_e32 v4, vcc, v11, v0
	v_addc_co_u32_e32 v5, vcc, 0, v16, vcc
	global_load_dwordx4 v[0:3], v[4:5], off
	global_load_dwordx4 v[24:27], v[4:5], off offset:16
	global_load_dwordx4 v[28:31], v[4:5], off offset:32
	;; [unrolled: 1-line block ×3, first 2 shown]
	v_mov_b32_e32 v8, 0
	v_lshlrev_b32_e32 v10, 5, v7
	v_cmp_gt_u32_e32 vcc, 4, v7
	s_waitcnt vmcnt(3)
	v_cvt_f32_u32_sdwa v12, v0 dst_sel:DWORD dst_unused:UNUSED_PAD src0_sel:WORD_1
	v_cvt_f32_u32_sdwa v15, v0 dst_sel:DWORD dst_unused:UNUSED_PAD src0_sel:WORD_0
	v_cvt_f32_u32_sdwa v14, v1 dst_sel:DWORD dst_unused:UNUSED_PAD src0_sel:WORD_1
	v_cvt_f32_u32_sdwa v13, v1 dst_sel:DWORD dst_unused:UNUSED_PAD src0_sel:WORD_0
	v_cvt_f32_u32_sdwa v0, v2 dst_sel:DWORD dst_unused:UNUSED_PAD src0_sel:WORD_1
	v_cvt_f32_u32_sdwa v1, v2 dst_sel:DWORD dst_unused:UNUSED_PAD src0_sel:WORD_0
	v_cvt_f32_u32_sdwa v18, v3 dst_sel:DWORD dst_unused:UNUSED_PAD src0_sel:WORD_1
	v_cvt_f32_u32_sdwa v17, v3 dst_sel:DWORD dst_unused:UNUSED_PAD src0_sel:WORD_0
	s_waitcnt vmcnt(2)
	v_cvt_f32_u32_sdwa v20, v24 dst_sel:DWORD dst_unused:UNUSED_PAD src0_sel:WORD_1
	v_cvt_f32_u32_sdwa v19, v24 dst_sel:DWORD dst_unused:UNUSED_PAD src0_sel:WORD_0
	v_cvt_f32_u32_sdwa v22, v25 dst_sel:DWORD dst_unused:UNUSED_PAD src0_sel:WORD_1
	v_cvt_f32_u32_sdwa v21, v25 dst_sel:DWORD dst_unused:UNUSED_PAD src0_sel:WORD_0
	;; [unrolled: 2-line block ×4, first 2 shown]
	s_waitcnt vmcnt(1)
	v_cvt_f32_u32_sdwa v5, v28 dst_sel:DWORD dst_unused:UNUSED_PAD src0_sel:WORD_1
	v_cvt_f32_u32_sdwa v9, v28 dst_sel:DWORD dst_unused:UNUSED_PAD src0_sel:WORD_0
	v_cvt_f32_u32_sdwa v3, v29 dst_sel:DWORD dst_unused:UNUSED_PAD src0_sel:WORD_1
	v_cvt_f32_u32_sdwa v4, v29 dst_sel:DWORD dst_unused:UNUSED_PAD src0_sel:WORD_0
	v_cvt_f32_u32_sdwa v2, v30 dst_sel:DWORD dst_unused:UNUSED_PAD src0_sel:WORD_0
	s_waitcnt vmcnt(0)
	v_cvt_f32_u32_sdwa v36, v35 dst_sel:DWORD dst_unused:UNUSED_PAD src0_sel:WORD_1
	v_cvt_f32_u32_sdwa v35, v35 dst_sel:DWORD dst_unused:UNUSED_PAD src0_sel:WORD_0
	v_cvt_f32_u32_sdwa v37, v34 dst_sel:DWORD dst_unused:UNUSED_PAD src0_sel:WORD_1
	v_cvt_f32_u32_sdwa v34, v34 dst_sel:DWORD dst_unused:UNUSED_PAD src0_sel:WORD_0
	v_cvt_f32_u32_sdwa v27, v30 dst_sel:DWORD dst_unused:UNUSED_PAD src0_sel:WORD_1
	v_cvt_f32_u32_sdwa v28, v31 dst_sel:DWORD dst_unused:UNUSED_PAD src0_sel:WORD_0
	v_cvt_f32_u32_sdwa v29, v31 dst_sel:DWORD dst_unused:UNUSED_PAD src0_sel:WORD_1
	v_cvt_f32_u32_sdwa v30, v32 dst_sel:DWORD dst_unused:UNUSED_PAD src0_sel:WORD_0
	v_cvt_f32_u32_sdwa v31, v32 dst_sel:DWORD dst_unused:UNUSED_PAD src0_sel:WORD_1
	v_cvt_f32_u32_sdwa v32, v33 dst_sel:DWORD dst_unused:UNUSED_PAD src0_sel:WORD_0
	v_cvt_f32_u32_sdwa v33, v33 dst_sel:DWORD dst_unused:UNUSED_PAD src0_sel:WORD_1
	buffer_store_dword v36, off, s[0:3], 0 offset:124
	buffer_store_dword v35, off, s[0:3], 0 offset:120
	;; [unrolled: 1-line block ×31, first 2 shown]
	buffer_store_dword v15, off, s[0:3], 0
	s_and_saveexec_b64 s[6:7], vcc
	s_cbranch_execz .LBB305_6
; %bb.5:
	v_lshlrev_b32_e32 v27, 1, v7
	v_add_co_u32_e32 v28, vcc, v11, v27
	v_addc_co_u32_e32 v29, vcc, 0, v16, vcc
	global_load_ushort v11, v[28:29], off offset:1024
	s_mov_b32 s8, 0xbfb8aa3b
	v_mul_lo_u32 v16, v6, s15
	s_mov_b32 s9, 0x42ce8ed0
	s_mov_b32 s10, 0xc2b17218
	v_mov_b32_e32 v27, 0x7f800000
	v_mov_b32_e32 v32, s21
	s_waitcnt vmcnt(0)
	v_cvt_f32_u32_e32 v11, v11
	v_mul_f32_e32 v28, 0xbfb8aa3b, v11
	v_fma_f32 v29, v11, s8, -v28
	v_rndne_f32_e32 v30, v28
	v_fmac_f32_e32 v29, 0xb2a5705f, v11
	v_sub_f32_e32 v28, v28, v30
	v_add_f32_e32 v28, v28, v29
	v_cvt_i32_f32_e32 v30, v30
	v_exp_f32_e32 v31, v28
	v_add3_u32 v28, v16, s12, v7
	v_cmp_nlt_f32_e32 vcc, s9, v11
	v_ashrrev_i32_e32 v29, 31, v28
	v_ldexp_f32 v16, v31, v30
	v_cndmask_b32_e32 v16, 0, v16, vcc
	v_cmp_ngt_f32_e32 vcc, s10, v11
	v_cndmask_b32_e32 v11, v27, v16, vcc
	v_add_f32_e32 v11, 1.0, v11
	v_div_scale_f32 v16, s[8:9], v11, v11, 1.0
	v_rcp_f32_e32 v27, v16
	v_div_scale_f32 v30, vcc, 1.0, v11, 1.0
	v_lshlrev_b64 v[28:29], 2, v[28:29]
	v_fma_f32 v31, -v16, v27, 1.0
	v_fmac_f32_e32 v27, v31, v27
	v_mul_f32_e32 v31, v30, v27
	v_fma_f32 v33, -v16, v31, v30
	v_fmac_f32_e32 v31, v33, v27
	v_fma_f32 v16, -v16, v31, v30
	v_div_fmas_f32 v16, v16, v27, v31
	v_add_co_u32_e32 v28, vcc, s20, v28
	v_div_fixup_f32 v11, v16, v11, 1.0
	v_addc_co_u32_e32 v29, vcc, v32, v29, vcc
	global_store_dword v[28:29], v11, off
.LBB305_6:
	s_or_b64 exec, exec, s[6:7]
	v_cmp_lt_f32_e32 vcc, v15, v12
	v_or_b32_e32 v11, 1, v10
	v_cndmask_b32_e32 v15, v15, v12, vcc
	v_cndmask_b32_e32 v16, v10, v11, vcc
	v_cmp_lt_f32_e32 vcc, v15, v13
	v_or_b32_e32 v12, 2, v10
	v_cndmask_b32_e32 v15, v15, v13, vcc
	buffer_load_dword v32, off, s[0:3], 0 offset:84
	buffer_load_dword v33, off, s[0:3], 0 offset:88
	v_cndmask_b32_e32 v16, v16, v12, vcc
	v_cmp_lt_f32_e32 vcc, v15, v14
	v_or_b32_e32 v13, 3, v10
	v_cndmask_b32_e32 v15, v15, v14, vcc
	v_cndmask_b32_e32 v16, v16, v13, vcc
	v_cmp_lt_f32_e32 vcc, v15, v1
	v_or_b32_e32 v14, 4, v10
	v_cndmask_b32_e32 v27, v15, v1, vcc
	buffer_load_dword v1, off, s[0:3], 0 offset:92
	v_cndmask_b32_e32 v16, v16, v14, vcc
	v_cmp_lt_f32_e32 vcc, v27, v0
	v_cndmask_b32_e32 v27, v27, v0, vcc
	buffer_load_dword v0, off, s[0:3], 0 offset:96
	buffer_load_dword v36, off, s[0:3], 0 offset:100
	;; [unrolled: 1-line block ×8, first 2 shown]
	v_or_b32_e32 v15, 5, v10
	v_cndmask_b32_e32 v28, v16, v15, vcc
	v_cmp_lt_f32_e32 vcc, v27, v17
	v_or_b32_e32 v16, 6, v10
	v_cndmask_b32_e32 v27, v27, v17, vcc
	v_cndmask_b32_e32 v28, v28, v16, vcc
	v_cmp_lt_f32_e32 vcc, v27, v18
	v_or_b32_e32 v17, 7, v10
	v_cndmask_b32_e32 v27, v27, v18, vcc
	;; [unrolled: 4-line block ×15, first 2 shown]
	v_cndmask_b32_e32 v4, v5, v30, vcc
	s_waitcnt vmcnt(10)
	v_cmp_lt_f32_e32 vcc, v2, v32
	v_or_b32_e32 v31, 21, v10
	v_cndmask_b32_e32 v2, v2, v32, vcc
	v_cndmask_b32_e32 v3, v4, v31, vcc
	s_waitcnt vmcnt(9)
	v_cmp_lt_f32_e32 vcc, v2, v33
	v_or_b32_e32 v32, 22, v10
	v_cndmask_b32_e32 v2, v2, v33, vcc
	;; [unrolled: 5-line block ×10, first 2 shown]
	v_cndmask_b32_e32 v3, v3, v40, vcc
	v_or_b32_e32 v41, 31, v10
	s_waitcnt vmcnt(0)
	v_cmp_lt_f32_e32 vcc, v2, v44
	v_cndmask_b32_e32 v3, v3, v41, vcc
	v_cndmask_b32_e32 v2, v2, v44, vcc
	s_nop 0
	v_mov_b32_dpp v4, v3 quad_perm:[1,0,3,2] row_mask:0xf bank_mask:0xf
	v_mov_b32_dpp v5, v2 quad_perm:[1,0,3,2] row_mask:0xf bank_mask:0xf
	v_cmp_eq_f32_e64 s[6:7], v2, v5
	v_cmp_lt_i32_e64 s[8:9], v4, v3
	v_cmp_lt_f32_e32 vcc, v2, v5
	s_and_b64 s[6:7], s[6:7], s[8:9]
	s_or_b64 vcc, vcc, s[6:7]
	v_cndmask_b32_e32 v2, v2, v5, vcc
	v_cndmask_b32_e32 v3, v3, v4, vcc
	s_nop 0
	v_mov_b32_dpp v5, v2 quad_perm:[2,3,0,1] row_mask:0xf bank_mask:0xf
	v_mov_b32_dpp v4, v3 quad_perm:[2,3,0,1] row_mask:0xf bank_mask:0xf
	v_cmp_eq_f32_e64 s[6:7], v2, v5
	v_cmp_lt_i32_e64 s[8:9], v4, v3
	v_cmp_lt_f32_e32 vcc, v2, v5
	s_and_b64 s[6:7], s[6:7], s[8:9]
	s_or_b64 vcc, vcc, s[6:7]
	v_cndmask_b32_e32 v2, v2, v5, vcc
	v_cndmask_b32_e32 v3, v3, v4, vcc
	s_nop 0
	v_mov_b32_dpp v5, v2 row_half_mirror row_mask:0xf bank_mask:0xf
	v_mov_b32_dpp v4, v3 row_half_mirror row_mask:0xf bank_mask:0xf
	v_cmp_eq_f32_e64 s[6:7], v2, v5
	v_cmp_lt_i32_e64 s[8:9], v4, v3
	v_cmp_lt_f32_e32 vcc, v2, v5
	s_and_b64 s[6:7], s[6:7], s[8:9]
	s_or_b64 vcc, vcc, s[6:7]
	v_cndmask_b32_e32 v5, v2, v5, vcc
	v_cndmask_b32_e32 v2, v3, v4, vcc
	s_nop 0
	v_mov_b32_dpp v4, v5 row_mirror row_mask:0xf bank_mask:0xf
	v_mov_b32_dpp v3, v2 row_mirror row_mask:0xf bank_mask:0xf
	v_cmp_eq_f32_e64 s[6:7], v5, v4
	v_cmp_lt_i32_e64 s[8:9], v3, v2
	v_cmp_lt_f32_e32 vcc, v5, v4
	s_and_b64 s[6:7], s[6:7], s[8:9]
	s_or_b64 s[6:7], vcc, s[6:7]
	s_cmp_gt_i32 s12, 0
	v_cndmask_b32_e64 v9, v5, v4, s[6:7]
	s_cselect_b64 s[10:11], -1, 0
	s_cmp_lt_i32 s12, 1
	v_cmp_eq_u32_e32 vcc, 0, v7
	s_cbranch_scc1 .LBB305_19
; %bb.7:
	s_load_dwordx4 s[16:19], s[4:5], 0x20
	v_cndmask_b32_e64 v44, v2, v3, s[6:7]
	v_mul_lo_u32 v4, v6, s15
	v_mul_lo_u32 v2, v6, s24
	;; [unrolled: 1-line block ×3, first 2 shown]
	v_mov_b32_e32 v8, 0
	s_and_saveexec_b64 s[8:9], vcc
	s_cbranch_execz .LBB305_9
; %bb.8:
	v_sub_f32_e32 v1, v9, v9
	v_mul_f32_e32 v3, 0x3fb8aa3b, v1
	s_mov_b32 s4, 0x3fb8aa3b
	v_rndne_f32_e32 v5, v3
	v_sub_f32_e32 v8, v3, v5
	v_fma_f32 v3, v1, s4, -v3
	v_fmac_f32_e32 v3, 0x32a5705f, v1
	v_add_f32_e32 v3, v8, v3
	v_exp_f32_e32 v3, v3
	v_cvt_i32_f32_e32 v5, v5
	v_cmp_le_i32_e64 s[4:5], s13, v44
	v_cmp_gt_i32_e64 s[6:7], s14, v44
	s_and_b64 s[6:7], s[4:5], s[6:7]
	s_mov_b32 s4, 0xc2ce8ed0
	v_ldexp_f32 v3, v3, v5
	v_cmp_ngt_f32_e64 s[4:5], s4, v1
	v_cndmask_b32_e64 v3, 0, v3, s[4:5]
	s_mov_b32 s4, 0x42b17218
	v_mov_b32_e32 v5, 0x7f800000
	v_cmp_nlt_f32_e64 s[4:5], s4, v1
	v_cndmask_b32_e64 v8, v5, v3, s[4:5]
	v_ashrrev_i32_e32 v5, 31, v4
	v_lshlrev_b64 v[46:47], 2, v[4:5]
	v_mov_b32_e32 v1, s21
	v_add_co_u32_e64 v46, s[4:5], s20, v46
	v_addc_co_u32_e64 v47, s[4:5], v1, v47, s[4:5]
	v_subrev_u32_e32 v1, s13, v44
	v_mov_b32_e32 v3, 0x200
	s_and_b64 s[4:5], s[22:23], s[6:7]
	v_cndmask_b32_e64 v1, v3, v1, s[4:5]
	v_ashrrev_i32_e32 v3, 31, v2
	global_store_dword v[46:47], v8, off
	v_lshlrev_b64 v[46:47], 2, v[2:3]
	s_waitcnt lgkmcnt(0)
	v_mov_b32_e32 v3, s17
	v_add_co_u32_e64 v46, s[4:5], s16, v46
	v_addc_co_u32_e64 v47, s[4:5], v3, v47, s[4:5]
	global_store_dword v[46:47], v1, off
	v_ashrrev_i32_e32 v1, 31, v0
	v_lshlrev_b64 v[46:47], 2, v[0:1]
	v_mov_b32_e32 v1, s19
	v_add_co_u32_e64 v46, s[4:5], s18, v46
	v_addc_co_u32_e64 v47, s[4:5], v1, v47, s[4:5]
	global_store_dword v[46:47], v6, off
.LBB305_9:
	s_or_b64 exec, exec, s[8:9]
	v_ashrrev_i32_e32 v3, 31, v44
	v_lshrrev_b32_e32 v1, 27, v3
	v_add_u32_e32 v1, v44, v1
	v_ashrrev_i32_e32 v1, 5, v1
	v_lshrrev_b32_e32 v5, 28, v1
	v_add_u32_e32 v5, v1, v5
	v_and_b32_e32 v5, -16, v5
	v_sub_u32_e32 v5, v1, v5
	v_cmp_eq_u32_e64 s[4:5], v7, v5
	s_and_saveexec_b64 s[6:7], s[4:5]
	s_cbranch_execz .LBB305_11
; %bb.10:
	v_lshrrev_b32_e32 v3, 23, v3
	v_add_u32_e32 v3, v44, v3
	v_lshlrev_b32_e32 v1, 5, v1
	v_ashrrev_i32_e32 v3, 9, v3
	v_sub_u32_e32 v1, v44, v1
	v_lshl_add_u32 v1, v3, 5, v1
	v_mov_b32_e32 v3, 0
	v_lshl_add_u32 v1, v1, 2, v3
	v_mov_b32_e32 v3, 0xff800000
	buffer_store_dword v3, v1, s[0:3], 0 offen
.LBB305_11:
	s_or_b64 exec, exec, s[6:7]
	s_cmp_eq_u32 s12, 1
	s_cbranch_scc1 .LBB305_18
; %bb.12:
	s_add_i32 s27, s27, s26
	s_add_i32 s24, s12, -1
	v_add3_u32 v42, s27, v43, v42
	v_add_u32_e32 v0, 1, v0
	v_add_u32_e32 v2, 1, v2
	;; [unrolled: 1-line block ×3, first 2 shown]
	s_mov_b32 s25, 0x3fb8aa3b
	s_mov_b32 s27, 0xc2ce8ed0
	;; [unrolled: 1-line block ×3, first 2 shown]
	v_mov_b32_e32 v43, 0
	v_mov_b32_e32 v44, 0xff800000
	;; [unrolled: 1-line block ×4, first 2 shown]
	s_branch .LBB305_14
.LBB305_13:                             ;   in Loop: Header=BB305_14 Depth=1
	s_or_b64 exec, exec, s[6:7]
	s_add_i32 s24, s24, -1
	v_add_u32_e32 v42, s26, v42
	v_add_u32_e32 v0, 1, v0
	;; [unrolled: 1-line block ×3, first 2 shown]
	s_cmp_eq_u32 s24, 0
	v_add_u32_e32 v4, 1, v4
	s_cbranch_scc1 .LBB305_18
.LBB305_14:                             ; =>This Inner Loop Header: Depth=1
	buffer_load_dword v1, off, s[0:3], 0
	buffer_load_dword v3, off, s[0:3], 0 offset:4
	buffer_load_dword v5, off, s[0:3], 0 offset:8
	;; [unrolled: 1-line block ×15, first 2 shown]
	s_waitcnt vmcnt(14)
	v_cmp_gt_f32_e64 s[4:5], v3, v1
	v_cndmask_b32_e64 v1, v1, v3, s[4:5]
	v_cndmask_b32_e64 v60, v10, v11, s[4:5]
	s_waitcnt vmcnt(13)
	v_cmp_gt_f32_e64 s[4:5], v5, v1
	v_cndmask_b32_e64 v1, v1, v5, s[4:5]
	buffer_load_dword v5, off, s[0:3], 0 offset:64
	v_cndmask_b32_e64 v3, v60, v12, s[4:5]
	s_waitcnt vmcnt(13)
	v_cmp_gt_f32_e64 s[4:5], v47, v1
	v_cndmask_b32_e64 v1, v1, v47, s[4:5]
	v_cndmask_b32_e64 v3, v3, v13, s[4:5]
	s_waitcnt vmcnt(12)
	v_cmp_gt_f32_e64 s[4:5], v48, v1
	v_cndmask_b32_e64 v1, v1, v48, s[4:5]
	;; [unrolled: 4-line block ×14, first 2 shown]
	buffer_load_dword v5, off, s[0:3], 0 offset:68
	v_cndmask_b32_e64 v3, v3, v26, s[4:5]
	s_waitcnt vmcnt(0)
	v_cmp_gt_f32_e64 s[4:5], v5, v1
	v_cndmask_b32_e64 v1, v1, v5, s[4:5]
	buffer_load_dword v5, off, s[0:3], 0 offset:72
	v_cndmask_b32_e64 v3, v3, v27, s[4:5]
	s_waitcnt vmcnt(0)
	v_cmp_gt_f32_e64 s[4:5], v5, v1
	v_cndmask_b32_e64 v1, v1, v5, s[4:5]
	;; [unrolled: 5-line block ×15, first 2 shown]
	v_cndmask_b32_e64 v1, v1, v5, s[4:5]
	s_nop 0
	v_mov_b32_dpp v5, v3 quad_perm:[1,0,3,2] row_mask:0xf bank_mask:0xf
	v_mov_b32_dpp v47, v1 quad_perm:[1,0,3,2] row_mask:0xf bank_mask:0xf
	v_cmp_eq_f32_e64 s[6:7], v1, v47
	v_cmp_lt_i32_e64 s[8:9], v5, v3
	v_cmp_lt_f32_e64 s[4:5], v1, v47
	s_and_b64 s[6:7], s[6:7], s[8:9]
	s_or_b64 s[4:5], s[4:5], s[6:7]
	v_cndmask_b32_e64 v1, v1, v47, s[4:5]
	v_cndmask_b32_e64 v3, v3, v5, s[4:5]
	s_nop 0
	v_mov_b32_dpp v47, v1 quad_perm:[2,3,0,1] row_mask:0xf bank_mask:0xf
	v_mov_b32_dpp v5, v3 quad_perm:[2,3,0,1] row_mask:0xf bank_mask:0xf
	v_cmp_eq_f32_e64 s[6:7], v1, v47
	v_cmp_lt_i32_e64 s[8:9], v5, v3
	v_cmp_lt_f32_e64 s[4:5], v1, v47
	s_and_b64 s[6:7], s[6:7], s[8:9]
	s_or_b64 s[4:5], s[4:5], s[6:7]
	v_cndmask_b32_e64 v1, v1, v47, s[4:5]
	v_cndmask_b32_e64 v3, v3, v5, s[4:5]
	s_nop 0
	v_mov_b32_dpp v47, v1 row_half_mirror row_mask:0xf bank_mask:0xf
	v_mov_b32_dpp v5, v3 row_half_mirror row_mask:0xf bank_mask:0xf
	v_cmp_eq_f32_e64 s[6:7], v1, v47
	v_cmp_lt_i32_e64 s[8:9], v5, v3
	v_cmp_lt_f32_e64 s[4:5], v1, v47
	s_and_b64 s[6:7], s[6:7], s[8:9]
	s_or_b64 s[4:5], s[4:5], s[6:7]
	v_cndmask_b32_e64 v1, v1, v47, s[4:5]
	v_cndmask_b32_e64 v5, v3, v5, s[4:5]
	s_nop 0
	v_mov_b32_dpp v3, v1 row_mirror row_mask:0xf bank_mask:0xf
	v_mov_b32_dpp v47, v5 row_mirror row_mask:0xf bank_mask:0xf
	v_cmp_eq_f32_e64 s[6:7], v1, v3
	v_cmp_lt_i32_e64 s[8:9], v47, v5
	v_cmp_lt_f32_e64 s[4:5], v1, v3
	s_and_b64 s[6:7], s[6:7], s[8:9]
	s_or_b64 s[4:5], s[4:5], s[6:7]
	v_cndmask_b32_e64 v47, v5, v47, s[4:5]
	s_and_saveexec_b64 s[8:9], vcc
	s_cbranch_execz .LBB305_16
; %bb.15:                               ;   in Loop: Header=BB305_14 Depth=1
	v_cndmask_b32_e64 v1, v1, v3, s[4:5]
	v_sub_f32_e32 v1, v1, v9
	v_mul_f32_e32 v3, 0x3fb8aa3b, v1
	v_fma_f32 v5, v1, s25, -v3
	v_rndne_f32_e32 v48, v3
	v_fmac_f32_e32 v5, 0x32a5705f, v1
	v_sub_f32_e32 v3, v3, v48
	v_add_f32_e32 v3, v3, v5
	v_exp_f32_e32 v3, v3
	v_cvt_i32_f32_e32 v5, v48
	v_cmp_le_i32_e64 s[4:5], s13, v47
	v_cmp_gt_i32_e64 s[6:7], s14, v47
	s_and_b64 s[6:7], s[4:5], s[6:7]
	v_ldexp_f32 v3, v3, v5
	v_cmp_ngt_f32_e64 s[4:5], s27, v1
	v_ashrrev_i32_e32 v5, 31, v4
	v_cndmask_b32_e64 v3, 0, v3, s[4:5]
	v_cmp_nlt_f32_e64 s[4:5], s28, v1
	v_lshlrev_b64 v[48:49], 2, v[4:5]
	v_cndmask_b32_e64 v50, v45, v3, s[4:5]
	v_mov_b32_e32 v1, s21
	v_add_co_u32_e64 v48, s[4:5], s20, v48
	v_addc_co_u32_e64 v49, s[4:5], v1, v49, s[4:5]
	v_ashrrev_i32_e32 v3, 31, v2
	global_store_dword v[48:49], v50, off
	v_subrev_u32_e32 v1, s13, v47
	s_and_b64 s[4:5], s[22:23], s[6:7]
	v_lshlrev_b64 v[48:49], 2, v[2:3]
	v_cndmask_b32_e64 v1, v46, v1, s[4:5]
	s_waitcnt lgkmcnt(0)
	v_mov_b32_e32 v3, s17
	v_add_co_u32_e64 v48, s[4:5], s16, v48
	v_addc_co_u32_e64 v49, s[4:5], v3, v49, s[4:5]
	global_store_dword v[48:49], v1, off
	v_ashrrev_i32_e32 v1, 31, v0
	v_lshlrev_b64 v[48:49], 2, v[0:1]
	v_mov_b32_e32 v1, s19
	v_add_co_u32_e64 v48, s[4:5], s18, v48
	v_addc_co_u32_e64 v49, s[4:5], v1, v49, s[4:5]
	v_add_f32_e32 v8, v8, v50
	global_store_dword v[48:49], v42, off
.LBB305_16:                             ;   in Loop: Header=BB305_14 Depth=1
	s_or_b64 exec, exec, s[8:9]
	v_ashrrev_i32_e32 v3, 31, v47
	v_lshrrev_b32_e32 v1, 27, v3
	v_add_u32_e32 v1, v47, v1
	v_ashrrev_i32_e32 v1, 5, v1
	v_lshrrev_b32_e32 v5, 28, v1
	v_add_u32_e32 v5, v1, v5
	v_and_b32_e32 v5, -16, v5
	v_sub_u32_e32 v5, v1, v5
	v_cmp_eq_u32_e64 s[4:5], v7, v5
	s_and_saveexec_b64 s[6:7], s[4:5]
	s_cbranch_execz .LBB305_13
; %bb.17:                               ;   in Loop: Header=BB305_14 Depth=1
	v_lshrrev_b32_e32 v3, 23, v3
	v_add_u32_e32 v3, v47, v3
	v_lshlrev_b32_e32 v1, 5, v1
	v_ashrrev_i32_e32 v3, 9, v3
	v_sub_u32_e32 v1, v47, v1
	v_lshl_add_u32 v1, v3, 5, v1
	v_lshl_add_u32 v1, v1, 2, v43
	buffer_store_dword v44, v1, s[0:3], 0 offen
	s_branch .LBB305_13
.LBB305_18:
	buffer_load_dword v1, off, s[0:3], 0 offset:92
	buffer_load_dword v0, off, s[0:3], 0 offset:96
.LBB305_19:
	buffer_load_dword v3, off, s[0:3], 0
	buffer_load_dword v4, off, s[0:3], 0 offset:4
	buffer_load_dword v5, off, s[0:3], 0 offset:8
	;; [unrolled: 1-line block ×15, first 2 shown]
	s_mov_b32 s5, 0x3fb8aa3b
	s_mov_b32 s4, 0xc2ce8ed0
	;; [unrolled: 1-line block ×3, first 2 shown]
	v_mov_b32_e32 v2, 0x7f800000
	s_waitcnt vmcnt(17)
	v_sub_f32_e32 v1, v1, v9
	s_waitcnt vmcnt(16)
	v_sub_f32_e32 v0, v0, v9
	;; [unrolled: 2-line block ×4, first 2 shown]
	v_mul_f32_e32 v23, 0x3fb8aa3b, v3
	s_waitcnt vmcnt(13)
	v_sub_f32_e32 v5, v5, v9
	v_mul_f32_e32 v24, 0x3fb8aa3b, v4
	v_fma_f32 v29, v3, s5, -v23
	v_rndne_f32_e32 v30, v23
	s_waitcnt vmcnt(12)
	v_sub_f32_e32 v10, v10, v9
	v_mul_f32_e32 v25, 0x3fb8aa3b, v5
	v_fma_f32 v31, v4, s5, -v24
	v_rndne_f32_e32 v32, v24
	v_fmac_f32_e32 v29, 0x32a5705f, v3
	v_sub_f32_e32 v23, v23, v30
	s_waitcnt vmcnt(11)
	v_sub_f32_e32 v11, v11, v9
	v_mul_f32_e32 v26, 0x3fb8aa3b, v10
	v_fma_f32 v33, v5, s5, -v25
	v_rndne_f32_e32 v34, v25
	v_fmac_f32_e32 v31, 0x32a5705f, v4
	v_sub_f32_e32 v24, v24, v32
	v_add_f32_e32 v23, v23, v29
	v_mul_f32_e32 v27, 0x3fb8aa3b, v11
	v_fma_f32 v35, v10, s5, -v26
	v_rndne_f32_e32 v36, v26
	v_cvt_i32_f32_e32 v30, v30
	v_fmac_f32_e32 v33, 0x32a5705f, v5
	v_sub_f32_e32 v25, v25, v34
	v_add_f32_e32 v24, v24, v31
	v_exp_f32_e32 v23, v23
	v_fma_f32 v37, v11, s5, -v27
	v_rndne_f32_e32 v38, v27
	v_cvt_i32_f32_e32 v32, v32
	v_fmac_f32_e32 v35, 0x32a5705f, v10
	v_sub_f32_e32 v26, v26, v36
	v_add_f32_e32 v25, v25, v33
	v_exp_f32_e32 v24, v24
	v_cvt_i32_f32_e32 v34, v34
	v_fmac_f32_e32 v37, 0x32a5705f, v11
	v_sub_f32_e32 v27, v27, v38
	v_add_f32_e32 v26, v26, v35
	v_exp_f32_e32 v25, v25
	v_cvt_i32_f32_e32 v36, v36
	v_add_f32_e32 v27, v27, v37
	v_exp_f32_e32 v26, v26
	v_cvt_i32_f32_e32 v38, v38
	v_exp_f32_e32 v27, v27
	v_ldexp_f32 v23, v23, v30
	v_cmp_ngt_f32_e32 vcc, s4, v3
	v_ldexp_f32 v24, v24, v32
	v_cndmask_b32_e32 v23, 0, v23, vcc
	v_cmp_ngt_f32_e32 vcc, s4, v4
	v_ldexp_f32 v25, v25, v34
	v_cndmask_b32_e32 v24, 0, v24, vcc
	;; [unrolled: 3-line block ×4, first 2 shown]
	v_cmp_ngt_f32_e32 vcc, s4, v11
	v_cndmask_b32_e32 v27, 0, v27, vcc
	v_cmp_nlt_f32_e32 vcc, s6, v3
	s_waitcnt vmcnt(10)
	v_sub_f32_e32 v12, v12, v9
	v_cndmask_b32_e32 v3, v2, v23, vcc
	v_cmp_nlt_f32_e32 vcc, s6, v4
	v_mul_f32_e32 v28, 0x3fb8aa3b, v12
	v_cndmask_b32_e32 v4, v2, v24, vcc
	v_cmp_nlt_f32_e32 vcc, s6, v5
	v_fma_f32 v39, v12, s5, -v28
	v_cndmask_b32_e32 v5, v2, v25, vcc
	v_add_f32_e32 v3, v3, v4
	v_rndne_f32_e32 v4, v28
	v_fmac_f32_e32 v39, 0x32a5705f, v12
	v_add_f32_e32 v3, v3, v5
	v_sub_f32_e32 v5, v28, v4
	v_add_f32_e32 v5, v5, v39
	v_exp_f32_e32 v5, v5
	v_cvt_i32_f32_e32 v4, v4
	v_cmp_nlt_f32_e32 vcc, s6, v10
	v_cndmask_b32_e32 v10, v2, v26, vcc
	v_cmp_nlt_f32_e32 vcc, s6, v11
	v_add_f32_e32 v3, v3, v10
	v_cndmask_b32_e32 v10, v2, v27, vcc
	v_ldexp_f32 v4, v5, v4
	s_waitcnt vmcnt(9)
	v_sub_f32_e32 v5, v13, v9
	v_add_f32_e32 v3, v3, v10
	v_mul_f32_e32 v10, 0x3fb8aa3b, v5
	v_fma_f32 v11, v5, s5, -v10
	v_rndne_f32_e32 v13, v10
	v_fmac_f32_e32 v11, 0x32a5705f, v5
	v_sub_f32_e32 v10, v10, v13
	v_add_f32_e32 v10, v10, v11
	v_exp_f32_e32 v10, v10
	v_cvt_i32_f32_e32 v11, v13
	v_cmp_ngt_f32_e32 vcc, s4, v12
	v_cndmask_b32_e32 v4, 0, v4, vcc
	v_cmp_nlt_f32_e32 vcc, s6, v12
	v_cndmask_b32_e32 v4, v2, v4, vcc
	v_add_f32_e32 v3, v3, v4
	v_ldexp_f32 v4, v10, v11
	s_waitcnt vmcnt(8)
	v_sub_f32_e32 v10, v14, v9
	v_mul_f32_e32 v11, 0x3fb8aa3b, v10
	v_fma_f32 v12, v10, s5, -v11
	v_rndne_f32_e32 v13, v11
	v_fmac_f32_e32 v12, 0x32a5705f, v10
	v_sub_f32_e32 v11, v11, v13
	v_add_f32_e32 v11, v11, v12
	v_exp_f32_e32 v11, v11
	v_cvt_i32_f32_e32 v12, v13
	v_cmp_ngt_f32_e32 vcc, s4, v5
	v_cndmask_b32_e32 v4, 0, v4, vcc
	v_cmp_nlt_f32_e32 vcc, s6, v5
	v_cndmask_b32_e32 v4, v2, v4, vcc
	s_waitcnt vmcnt(7)
	v_sub_f32_e32 v5, v15, v9
	v_add_f32_e32 v3, v3, v4
	v_ldexp_f32 v4, v11, v12
	v_mul_f32_e32 v11, 0x3fb8aa3b, v5
	v_fma_f32 v12, v5, s5, -v11
	v_rndne_f32_e32 v13, v11
	v_fmac_f32_e32 v12, 0x32a5705f, v5
	v_sub_f32_e32 v11, v11, v13
	v_add_f32_e32 v11, v11, v12
	v_exp_f32_e32 v11, v11
	v_cvt_i32_f32_e32 v12, v13
	v_cmp_ngt_f32_e32 vcc, s4, v10
	v_cndmask_b32_e32 v4, 0, v4, vcc
	v_cmp_nlt_f32_e32 vcc, s6, v10
	v_cndmask_b32_e32 v4, v2, v4, vcc
	s_waitcnt vmcnt(6)
	v_sub_f32_e32 v10, v16, v9
	v_add_f32_e32 v3, v3, v4
	v_ldexp_f32 v4, v11, v12
	;; [unrolled: 16-line block ×4, first 2 shown]
	v_mul_f32_e32 v11, 0x3fb8aa3b, v10
	v_fma_f32 v12, v10, s5, -v11
	v_rndne_f32_e32 v14, v11
	buffer_load_dword v13, off, s[0:3], 0 offset:64
	v_fmac_f32_e32 v12, 0x32a5705f, v10
	v_sub_f32_e32 v11, v11, v14
	v_add_f32_e32 v11, v11, v12
	v_exp_f32_e32 v11, v11
	v_cvt_i32_f32_e32 v12, v14
	v_cmp_ngt_f32_e32 vcc, s4, v5
	v_cndmask_b32_e32 v4, 0, v4, vcc
	v_cmp_nlt_f32_e32 vcc, s6, v5
	v_cndmask_b32_e32 v4, v2, v4, vcc
	s_waitcnt vmcnt(4)
	v_sub_f32_e32 v5, v19, v9
	v_add_f32_e32 v3, v3, v4
	v_ldexp_f32 v4, v11, v12
	buffer_load_dword v12, off, s[0:3], 0 offset:68
	v_mul_f32_e32 v11, 0x3fb8aa3b, v5
	v_fma_f32 v14, v5, s5, -v11
	v_rndne_f32_e32 v15, v11
	v_fmac_f32_e32 v14, 0x32a5705f, v5
	v_sub_f32_e32 v11, v11, v15
	v_add_f32_e32 v11, v11, v14
	v_exp_f32_e32 v11, v11
	v_cvt_i32_f32_e32 v14, v15
	v_cmp_ngt_f32_e32 vcc, s4, v10
	v_cndmask_b32_e32 v4, 0, v4, vcc
	v_cmp_nlt_f32_e32 vcc, s6, v10
	v_cndmask_b32_e32 v4, v2, v4, vcc
	v_add_f32_e32 v3, v3, v4
	v_ldexp_f32 v4, v11, v14
	buffer_load_dword v11, off, s[0:3], 0 offset:72
	s_waitcnt vmcnt(5)
	v_sub_f32_e32 v10, v20, v9
	v_mul_f32_e32 v14, 0x3fb8aa3b, v10
	v_cmp_ngt_f32_e32 vcc, s4, v5
	v_fma_f32 v15, v10, s5, -v14
	v_rndne_f32_e32 v16, v14
	v_cndmask_b32_e32 v4, 0, v4, vcc
	v_fmac_f32_e32 v15, 0x32a5705f, v10
	v_sub_f32_e32 v14, v14, v16
	v_cmp_nlt_f32_e32 vcc, s6, v5
	buffer_load_dword v5, off, s[0:3], 0 offset:76
	v_add_f32_e32 v14, v14, v15
	v_exp_f32_e32 v14, v14
	v_cvt_i32_f32_e32 v15, v16
	v_cndmask_b32_e32 v4, v2, v4, vcc
	v_add_f32_e32 v3, v3, v4
	v_cmp_ngt_f32_e32 vcc, s4, v10
	v_ldexp_f32 v4, v14, v15
	s_waitcnt vmcnt(5)
	v_sub_f32_e32 v14, v21, v9
	v_cndmask_b32_e32 v4, 0, v4, vcc
	v_mul_f32_e32 v15, 0x3fb8aa3b, v14
	v_cmp_nlt_f32_e32 vcc, s6, v10
	buffer_load_dword v10, off, s[0:3], 0 offset:80
	v_fma_f32 v16, v14, s5, -v15
	v_rndne_f32_e32 v17, v15
	v_fmac_f32_e32 v16, 0x32a5705f, v14
	v_sub_f32_e32 v15, v15, v17
	v_add_f32_e32 v15, v15, v16
	v_exp_f32_e32 v15, v15
	v_cvt_i32_f32_e32 v16, v17
	v_cndmask_b32_e32 v4, v2, v4, vcc
	v_add_f32_e32 v3, v3, v4
	v_cmp_ngt_f32_e32 vcc, s4, v14
	v_ldexp_f32 v4, v15, v16
	v_cndmask_b32_e32 v4, 0, v4, vcc
	v_cmp_nlt_f32_e32 vcc, s6, v14
	buffer_load_dword v14, off, s[0:3], 0 offset:84
	s_waitcnt vmcnt(6)
	v_sub_f32_e32 v15, v22, v9
	v_mul_f32_e32 v16, 0x3fb8aa3b, v15
	v_fma_f32 v17, v15, s5, -v16
	v_rndne_f32_e32 v18, v16
	v_fmac_f32_e32 v17, 0x32a5705f, v15
	v_sub_f32_e32 v16, v16, v18
	v_add_f32_e32 v16, v16, v17
	v_exp_f32_e32 v16, v16
	v_cvt_i32_f32_e32 v17, v18
	v_cndmask_b32_e32 v4, v2, v4, vcc
	v_add_f32_e32 v3, v3, v4
	v_cmp_ngt_f32_e32 vcc, s4, v15
	v_ldexp_f32 v4, v16, v17
	buffer_load_dword v16, off, s[0:3], 0 offset:88
	buffer_load_dword v17, off, s[0:3], 0 offset:100
	v_cndmask_b32_e32 v4, 0, v4, vcc
	s_waitcnt vmcnt(7)
	v_sub_f32_e32 v13, v13, v9
	v_mul_f32_e32 v18, 0x3fb8aa3b, v13
	v_fma_f32 v19, v13, s5, -v18
	v_rndne_f32_e32 v20, v18
	v_fmac_f32_e32 v19, 0x32a5705f, v13
	v_sub_f32_e32 v18, v18, v20
	v_add_f32_e32 v18, v18, v19
	v_exp_f32_e32 v18, v18
	v_cvt_i32_f32_e32 v19, v20
	v_cmp_nlt_f32_e32 vcc, s6, v15
	v_cndmask_b32_e32 v4, v2, v4, vcc
	v_add_f32_e32 v3, v3, v4
	v_ldexp_f32 v4, v18, v19
	s_waitcnt vmcnt(6)
	v_sub_f32_e32 v12, v12, v9
	v_mul_f32_e32 v15, 0x3fb8aa3b, v12
	v_fma_f32 v18, v12, s5, -v15
	v_rndne_f32_e32 v19, v15
	v_fmac_f32_e32 v18, 0x32a5705f, v12
	v_sub_f32_e32 v15, v15, v19
	v_add_f32_e32 v15, v15, v18
	v_exp_f32_e32 v15, v15
	v_cvt_i32_f32_e32 v18, v19
	v_cmp_ngt_f32_e32 vcc, s4, v13
	v_cndmask_b32_e32 v4, 0, v4, vcc
	v_cmp_nlt_f32_e32 vcc, s6, v13
	v_cndmask_b32_e32 v4, v2, v4, vcc
	v_add_f32_e32 v3, v3, v4
	v_ldexp_f32 v4, v15, v18
	s_waitcnt vmcnt(5)
	v_sub_f32_e32 v11, v11, v9
	v_mul_f32_e32 v13, 0x3fb8aa3b, v11
	v_fma_f32 v15, v11, s5, -v13
	v_rndne_f32_e32 v18, v13
	v_fmac_f32_e32 v15, 0x32a5705f, v11
	v_sub_f32_e32 v13, v13, v18
	v_add_f32_e32 v13, v13, v15
	v_exp_f32_e32 v13, v13
	v_cvt_i32_f32_e32 v15, v18
	v_cmp_ngt_f32_e32 vcc, s4, v12
	v_cndmask_b32_e32 v4, 0, v4, vcc
	v_cmp_nlt_f32_e32 vcc, s6, v12
	s_waitcnt vmcnt(4)
	v_sub_f32_e32 v5, v5, v9
	v_cndmask_b32_e32 v4, v2, v4, vcc
	v_mul_f32_e32 v12, 0x3fb8aa3b, v5
	v_add_f32_e32 v3, v3, v4
	v_ldexp_f32 v4, v13, v15
	v_fma_f32 v13, v5, s5, -v12
	v_rndne_f32_e32 v15, v12
	v_fmac_f32_e32 v13, 0x32a5705f, v5
	v_sub_f32_e32 v12, v12, v15
	v_add_f32_e32 v12, v12, v13
	v_exp_f32_e32 v12, v12
	v_cvt_i32_f32_e32 v13, v15
	v_cmp_ngt_f32_e32 vcc, s4, v11
	v_cndmask_b32_e32 v4, 0, v4, vcc
	v_cmp_nlt_f32_e32 vcc, s6, v11
	s_waitcnt vmcnt(3)
	v_sub_f32_e32 v10, v10, v9
	v_cndmask_b32_e32 v4, v2, v4, vcc
	v_mul_f32_e32 v11, 0x3fb8aa3b, v10
	v_add_f32_e32 v3, v3, v4
	v_ldexp_f32 v4, v12, v13
	v_fma_f32 v12, v10, s5, -v11
	v_rndne_f32_e32 v13, v11
	v_fmac_f32_e32 v12, 0x32a5705f, v10
	v_sub_f32_e32 v11, v11, v13
	v_add_f32_e32 v11, v11, v12
	v_exp_f32_e32 v11, v11
	v_cvt_i32_f32_e32 v12, v13
	v_cmp_ngt_f32_e32 vcc, s4, v5
	v_cndmask_b32_e32 v4, 0, v4, vcc
	v_cmp_nlt_f32_e32 vcc, s6, v5
	v_cndmask_b32_e32 v4, v2, v4, vcc
	v_add_f32_e32 v3, v3, v4
	v_ldexp_f32 v4, v11, v12
	s_waitcnt vmcnt(2)
	v_sub_f32_e32 v5, v14, v9
	buffer_load_dword v11, off, s[0:3], 0 offset:104
	v_mul_f32_e32 v12, 0x3fb8aa3b, v5
	v_fma_f32 v13, v5, s5, -v12
	v_rndne_f32_e32 v14, v12
	v_fmac_f32_e32 v13, 0x32a5705f, v5
	v_sub_f32_e32 v12, v12, v14
	v_add_f32_e32 v12, v12, v13
	v_exp_f32_e32 v12, v12
	v_cvt_i32_f32_e32 v13, v14
	v_cmp_ngt_f32_e32 vcc, s4, v10
	v_cndmask_b32_e32 v4, 0, v4, vcc
	v_cmp_nlt_f32_e32 vcc, s6, v10
	buffer_load_dword v10, off, s[0:3], 0 offset:108
	v_cndmask_b32_e32 v4, v2, v4, vcc
	v_add_f32_e32 v3, v3, v4
	v_ldexp_f32 v4, v12, v13
	s_waitcnt vmcnt(3)
	v_sub_f32_e32 v12, v16, v9
	v_mul_f32_e32 v13, 0x3fb8aa3b, v12
	v_fma_f32 v14, v12, s5, -v13
	v_rndne_f32_e32 v15, v13
	v_fmac_f32_e32 v14, 0x32a5705f, v12
	v_sub_f32_e32 v13, v13, v15
	v_cmp_ngt_f32_e32 vcc, s4, v5
	v_add_f32_e32 v13, v13, v14
	v_cndmask_b32_e32 v4, 0, v4, vcc
	v_exp_f32_e32 v13, v13
	v_cvt_i32_f32_e32 v14, v15
	v_cmp_nlt_f32_e32 vcc, s6, v5
	buffer_load_dword v5, off, s[0:3], 0 offset:112
	v_cndmask_b32_e32 v4, v2, v4, vcc
	v_add_f32_e32 v3, v3, v4
	v_ldexp_f32 v4, v13, v14
	v_mul_f32_e32 v13, 0x3fb8aa3b, v1
	v_fma_f32 v14, v1, s5, -v13
	v_rndne_f32_e32 v15, v13
	v_fmac_f32_e32 v14, 0x32a5705f, v1
	v_sub_f32_e32 v13, v13, v15
	v_cmp_ngt_f32_e32 vcc, s4, v12
	v_add_f32_e32 v13, v13, v14
	v_cndmask_b32_e32 v4, 0, v4, vcc
	v_exp_f32_e32 v13, v13
	v_cvt_i32_f32_e32 v14, v15
	v_cmp_nlt_f32_e32 vcc, s6, v12
	buffer_load_dword v12, off, s[0:3], 0 offset:116
	v_cndmask_b32_e32 v4, v2, v4, vcc
	v_add_f32_e32 v3, v3, v4
	v_ldexp_f32 v4, v13, v14
	v_cmp_ngt_f32_e32 vcc, s4, v1
	v_cndmask_b32_e32 v4, 0, v4, vcc
	v_mul_f32_e32 v13, 0x3fb8aa3b, v0
	v_cmp_nlt_f32_e32 vcc, s6, v1
	v_fma_f32 v14, v0, s5, -v13
	v_rndne_f32_e32 v15, v13
	v_cndmask_b32_e32 v1, v2, v4, vcc
	v_fmac_f32_e32 v14, 0x32a5705f, v0
	v_sub_f32_e32 v13, v13, v15
	v_add_f32_e32 v1, v3, v1
	buffer_load_dword v3, off, s[0:3], 0 offset:120
	v_add_f32_e32 v13, v13, v14
	v_exp_f32_e32 v13, v13
	v_cvt_i32_f32_e32 v14, v15
	v_cmp_ngt_f32_e32 vcc, s4, v0
	v_ldexp_f32 v4, v13, v14
	v_cndmask_b32_e32 v4, 0, v4, vcc
	v_cmp_nlt_f32_e32 vcc, s6, v0
	v_cndmask_b32_e32 v0, v2, v4, vcc
	buffer_load_dword v4, off, s[0:3], 0 offset:124
	s_waitcnt vmcnt(6)
	v_sub_f32_e32 v13, v17, v9
	v_mul_f32_e32 v14, 0x3fb8aa3b, v13
	v_fma_f32 v15, v13, s5, -v14
	v_rndne_f32_e32 v16, v14
	v_fmac_f32_e32 v15, 0x32a5705f, v13
	v_sub_f32_e32 v14, v14, v16
	v_add_f32_e32 v14, v14, v15
	v_exp_f32_e32 v14, v14
	v_cvt_i32_f32_e32 v15, v16
	v_add_f32_e32 v0, v1, v0
	v_cmp_ngt_f32_e32 vcc, s4, v13
	s_waitcnt vmcnt(5)
	v_sub_f32_e32 v11, v11, v9
	v_ldexp_f32 v1, v14, v15
	v_mul_f32_e32 v14, 0x3fb8aa3b, v11
	v_fma_f32 v15, v11, s5, -v14
	v_rndne_f32_e32 v16, v14
	v_fmac_f32_e32 v15, 0x32a5705f, v11
	v_sub_f32_e32 v14, v14, v16
	v_add_f32_e32 v14, v14, v15
	v_exp_f32_e32 v14, v14
	v_cvt_i32_f32_e32 v15, v16
	v_cndmask_b32_e32 v1, 0, v1, vcc
	v_cmp_nlt_f32_e32 vcc, s6, v13
	s_waitcnt vmcnt(4)
	v_sub_f32_e32 v10, v10, v9
	v_cndmask_b32_e32 v1, v2, v1, vcc
	v_mul_f32_e32 v13, 0x3fb8aa3b, v10
	v_add_f32_e32 v0, v0, v1
	v_ldexp_f32 v1, v14, v15
	v_fma_f32 v14, v10, s5, -v13
	v_rndne_f32_e32 v15, v13
	v_fmac_f32_e32 v14, 0x32a5705f, v10
	v_sub_f32_e32 v13, v13, v15
	v_add_f32_e32 v13, v13, v14
	v_exp_f32_e32 v13, v13
	v_cvt_i32_f32_e32 v14, v15
	v_cmp_ngt_f32_e32 vcc, s4, v11
	v_cndmask_b32_e32 v1, 0, v1, vcc
	v_cmp_nlt_f32_e32 vcc, s6, v11
	v_cndmask_b32_e32 v1, v2, v1, vcc
	s_waitcnt vmcnt(3)
	v_sub_f32_e32 v5, v5, v9
	v_mul_f32_e32 v11, 0x3fb8aa3b, v5
	v_add_f32_e32 v0, v0, v1
	v_ldexp_f32 v1, v13, v14
	v_fma_f32 v13, v5, s5, -v11
	v_rndne_f32_e32 v14, v11
	v_fmac_f32_e32 v13, 0x32a5705f, v5
	v_sub_f32_e32 v11, v11, v14
	v_add_f32_e32 v11, v11, v13
	v_exp_f32_e32 v11, v11
	v_cvt_i32_f32_e32 v13, v14
	v_cmp_ngt_f32_e32 vcc, s4, v10
	v_cndmask_b32_e32 v1, 0, v1, vcc
	v_cmp_nlt_f32_e32 vcc, s6, v10
	v_cndmask_b32_e32 v1, v2, v1, vcc
	s_waitcnt vmcnt(2)
	v_sub_f32_e32 v10, v12, v9
	v_add_f32_e32 v0, v0, v1
	v_ldexp_f32 v1, v11, v13
	v_mul_f32_e32 v11, 0x3fb8aa3b, v10
	v_fma_f32 v12, v10, s5, -v11
	v_rndne_f32_e32 v13, v11
	v_fmac_f32_e32 v12, 0x32a5705f, v10
	v_sub_f32_e32 v11, v11, v13
	v_add_f32_e32 v11, v11, v12
	v_exp_f32_e32 v11, v11
	v_cvt_i32_f32_e32 v12, v13
	v_cmp_ngt_f32_e32 vcc, s4, v5
	v_cndmask_b32_e32 v1, 0, v1, vcc
	v_cmp_nlt_f32_e32 vcc, s6, v5
	s_waitcnt vmcnt(1)
	v_sub_f32_e32 v3, v3, v9
	v_cndmask_b32_e32 v1, v2, v1, vcc
	v_mul_f32_e32 v5, 0x3fb8aa3b, v3
	v_add_f32_e32 v0, v0, v1
	v_ldexp_f32 v1, v11, v12
	v_fma_f32 v11, v3, s5, -v5
	v_rndne_f32_e32 v12, v5
	v_fmac_f32_e32 v11, 0x32a5705f, v3
	v_sub_f32_e32 v5, v5, v12
	v_add_f32_e32 v5, v5, v11
	v_exp_f32_e32 v5, v5
	v_cvt_i32_f32_e32 v11, v12
	v_cmp_ngt_f32_e32 vcc, s4, v10
	v_cndmask_b32_e32 v1, 0, v1, vcc
	v_cmp_nlt_f32_e32 vcc, s6, v10
	v_cndmask_b32_e32 v1, v2, v1, vcc
	s_waitcnt vmcnt(0)
	v_sub_f32_e32 v4, v4, v9
	v_add_f32_e32 v0, v0, v1
	v_ldexp_f32 v1, v5, v11
	v_mul_f32_e32 v5, 0x3fb8aa3b, v4
	v_fma_f32 v9, v4, s5, -v5
	v_rndne_f32_e32 v10, v5
	v_fmac_f32_e32 v9, 0x32a5705f, v4
	v_sub_f32_e32 v5, v5, v10
	v_add_f32_e32 v5, v5, v9
	v_exp_f32_e32 v5, v5
	v_cvt_i32_f32_e32 v9, v10
	v_cmp_ngt_f32_e32 vcc, s4, v3
	v_cndmask_b32_e32 v1, 0, v1, vcc
	v_cmp_nlt_f32_e32 vcc, s6, v3
	v_cndmask_b32_e32 v1, v2, v1, vcc
	v_add_f32_e32 v0, v0, v1
	v_ldexp_f32 v1, v5, v9
	v_cmp_ngt_f32_e32 vcc, s4, v4
	v_cndmask_b32_e32 v1, 0, v1, vcc
	v_cmp_nlt_f32_e32 vcc, s6, v4
	v_cndmask_b32_e32 v1, v2, v1, vcc
	v_add_f32_e32 v0, v0, v1
	v_cmp_eq_u32_e32 vcc, 0, v7
	s_nop 0
	v_mov_b32_dpp v1, v0 quad_perm:[1,0,3,2] row_mask:0xf bank_mask:0xf
	v_add_f32_e32 v0, v0, v1
	s_nop 1
	v_mov_b32_dpp v1, v0 quad_perm:[2,3,0,1] row_mask:0xf bank_mask:0xf
	v_add_f32_e32 v0, v0, v1
	s_nop 1
	v_mov_b32_dpp v1, v0 row_half_mirror row_mask:0xf bank_mask:0xf
	v_add_f32_e32 v0, v0, v1
	s_nop 1
	v_mov_b32_dpp v1, v0 row_mirror row_mask:0xf bank_mask:0xf
	s_and_b64 exec, exec, vcc
	s_cbranch_execz .LBB305_32
; %bb.20:
	v_add_f32_e32 v0, v0, v1
	v_add_f32_e32 v0, v8, v0
	v_cmp_neq_f32_e32 vcc, 0, v0
	s_and_b64 exec, exec, vcc
	s_cbranch_execz .LBB305_32
; %bb.21:
	s_andn2_b64 vcc, exec, s[10:11]
	s_cbranch_vccnz .LBB305_32
; %bb.22:
	v_div_scale_f32 v1, s[4:5], v0, v0, 1.0
	v_rcp_f32_e32 v2, v1
	v_div_scale_f32 v3, vcc, 1.0, v0, 1.0
	s_cmp_gt_u32 s12, 3
	v_fma_f32 v4, -v1, v2, 1.0
	v_fmac_f32_e32 v2, v4, v2
	v_mul_f32_e32 v4, v3, v2
	v_fma_f32 v5, -v1, v4, v3
	v_fmac_f32_e32 v4, v5, v2
	v_fma_f32 v1, -v1, v4, v3
	v_div_fmas_f32 v1, v1, v2, v4
	v_mul_lo_u32 v2, v6, s15
	v_div_fixup_f32 v0, v1, v0, 1.0
	v_ashrrev_i32_e32 v3, 31, v2
	s_cbranch_scc0 .LBB305_26
; %bb.23:
	v_lshlrev_b64 v[4:5], 2, v[2:3]
	v_mov_b32_e32 v6, s21
	v_add_co_u32_e32 v4, vcc, s20, v4
	v_addc_co_u32_e32 v5, vcc, v5, v6, vcc
	s_and_b32 s8, s12, 0x7ffffffc
	v_add_co_u32_e32 v4, vcc, 8, v4
	v_mov_b32_e32 v1, v0
	v_addc_co_u32_e32 v5, vcc, 0, v5, vcc
	s_mov_b32 s4, s8
.LBB305_24:                             ; =>This Inner Loop Header: Depth=1
	global_load_dwordx4 v[6:9], v[4:5], off offset:-8
	s_add_i32 s4, s4, -4
	s_cmp_lg_u32 s4, 0
	s_waitcnt vmcnt(0)
	v_pk_mul_f32 v[6:7], v[0:1], v[6:7]
	v_pk_mul_f32 v[8:9], v[0:1], v[8:9]
	global_store_dwordx4 v[4:5], v[6:9], off offset:-8
	v_add_co_u32_e32 v4, vcc, 16, v4
	v_addc_co_u32_e32 v5, vcc, 0, v5, vcc
	s_cbranch_scc1 .LBB305_24
; %bb.25:
	s_cmp_lg_u32 s8, s12
	s_mov_b64 s[6:7], 0
	s_cselect_b64 s[4:5], -1, 0
	s_branch .LBB305_27
.LBB305_26:
	s_mov_b64 s[6:7], -1
	s_mov_b64 s[4:5], 0
                                        ; implicit-def: $sgpr8
.LBB305_27:
	s_and_b64 vcc, exec, s[6:7]
	s_cbranch_vccz .LBB305_29
; %bb.28:
	s_mov_b64 s[4:5], -1
	s_mov_b32 s8, 0
.LBB305_29:
	s_andn2_b64 vcc, exec, s[4:5]
	s_cbranch_vccnz .LBB305_32
; %bb.30:
	v_add_co_u32_e32 v2, vcc, s8, v2
	v_addc_co_u32_e32 v3, vcc, 0, v3, vcc
	v_lshlrev_b64 v[2:3], 2, v[2:3]
	v_mov_b32_e32 v1, s21
	v_add_co_u32_e32 v2, vcc, s20, v2
	s_sub_i32 s4, s12, s8
	v_addc_co_u32_e32 v3, vcc, v1, v3, vcc
.LBB305_31:                             ; =>This Inner Loop Header: Depth=1
	global_load_dword v1, v[2:3], off
	s_add_i32 s4, s4, -1
	s_cmp_lg_u32 s4, 0
	s_waitcnt vmcnt(0)
	v_mul_f32_e32 v1, v0, v1
	global_store_dword v[2:3], v1, off
	v_add_co_u32_e32 v2, vcc, 4, v2
	v_addc_co_u32_e32 v3, vcc, 0, v3, vcc
	s_cbranch_scc1 .LBB305_31
.LBB305_32:
	s_endpgm
	.section	.rodata,"a",@progbits
	.p2align	6, 0x0
	.amdhsa_kernel _ZN4vllm3moe17topkGatingSoftmaxItLi32ELi512ELi2ELi64ELb0ELi4ELNS0_23SharedExpertScoringFuncE1EEEvPKT_PKbPfiPiS9_iiiiii
		.amdhsa_group_segment_fixed_size 0
		.amdhsa_private_segment_fixed_size 144
		.amdhsa_kernarg_size 72
		.amdhsa_user_sgpr_count 8
		.amdhsa_user_sgpr_private_segment_buffer 1
		.amdhsa_user_sgpr_dispatch_ptr 0
		.amdhsa_user_sgpr_queue_ptr 0
		.amdhsa_user_sgpr_kernarg_segment_ptr 1
		.amdhsa_user_sgpr_dispatch_id 0
		.amdhsa_user_sgpr_flat_scratch_init 1
		.amdhsa_user_sgpr_kernarg_preload_length 0
		.amdhsa_user_sgpr_kernarg_preload_offset 0
		.amdhsa_user_sgpr_private_segment_size 0
		.amdhsa_uses_dynamic_stack 0
		.amdhsa_system_sgpr_private_segment_wavefront_offset 1
		.amdhsa_system_sgpr_workgroup_id_x 1
		.amdhsa_system_sgpr_workgroup_id_y 0
		.amdhsa_system_sgpr_workgroup_id_z 0
		.amdhsa_system_sgpr_workgroup_info 0
		.amdhsa_system_vgpr_workitem_id 1
		.amdhsa_next_free_vgpr 61
		.amdhsa_next_free_sgpr 29
		.amdhsa_accum_offset 64
		.amdhsa_reserve_vcc 1
		.amdhsa_reserve_flat_scratch 0
		.amdhsa_float_round_mode_32 0
		.amdhsa_float_round_mode_16_64 0
		.amdhsa_float_denorm_mode_32 3
		.amdhsa_float_denorm_mode_16_64 3
		.amdhsa_dx10_clamp 1
		.amdhsa_ieee_mode 1
		.amdhsa_fp16_overflow 0
		.amdhsa_tg_split 0
		.amdhsa_exception_fp_ieee_invalid_op 0
		.amdhsa_exception_fp_denorm_src 0
		.amdhsa_exception_fp_ieee_div_zero 0
		.amdhsa_exception_fp_ieee_overflow 0
		.amdhsa_exception_fp_ieee_underflow 0
		.amdhsa_exception_fp_ieee_inexact 0
		.amdhsa_exception_int_div_zero 0
	.end_amdhsa_kernel
	.section	.text._ZN4vllm3moe17topkGatingSoftmaxItLi32ELi512ELi2ELi64ELb0ELi4ELNS0_23SharedExpertScoringFuncE1EEEvPKT_PKbPfiPiS9_iiiiii,"axG",@progbits,_ZN4vllm3moe17topkGatingSoftmaxItLi32ELi512ELi2ELi64ELb0ELi4ELNS0_23SharedExpertScoringFuncE1EEEvPKT_PKbPfiPiS9_iiiiii,comdat
.Lfunc_end305:
	.size	_ZN4vllm3moe17topkGatingSoftmaxItLi32ELi512ELi2ELi64ELb0ELi4ELNS0_23SharedExpertScoringFuncE1EEEvPKT_PKbPfiPiS9_iiiiii, .Lfunc_end305-_ZN4vllm3moe17topkGatingSoftmaxItLi32ELi512ELi2ELi64ELb0ELi4ELNS0_23SharedExpertScoringFuncE1EEEvPKT_PKbPfiPiS9_iiiiii
                                        ; -- End function
	.section	.AMDGPU.csdata,"",@progbits
; Kernel info:
; codeLenInByte = 7520
; NumSgprs: 33
; NumVgprs: 61
; NumAgprs: 0
; TotalNumVgprs: 61
; ScratchSize: 144
; MemoryBound: 0
; FloatMode: 240
; IeeeMode: 1
; LDSByteSize: 0 bytes/workgroup (compile time only)
; SGPRBlocks: 4
; VGPRBlocks: 7
; NumSGPRsForWavesPerEU: 33
; NumVGPRsForWavesPerEU: 61
; AccumOffset: 64
; Occupancy: 8
; WaveLimiterHint : 0
; COMPUTE_PGM_RSRC2:SCRATCH_EN: 1
; COMPUTE_PGM_RSRC2:USER_SGPR: 8
; COMPUTE_PGM_RSRC2:TRAP_HANDLER: 0
; COMPUTE_PGM_RSRC2:TGID_X_EN: 1
; COMPUTE_PGM_RSRC2:TGID_Y_EN: 0
; COMPUTE_PGM_RSRC2:TGID_Z_EN: 0
; COMPUTE_PGM_RSRC2:TIDIG_COMP_CNT: 1
; COMPUTE_PGM_RSRC3_GFX90A:ACCUM_OFFSET: 15
; COMPUTE_PGM_RSRC3_GFX90A:TG_SPLIT: 0
	.section	.text._ZN4vllm3moe17topkGatingSoftmaxItLi32ELi512ELi2ELi64ELb1ELi8ELNS0_23SharedExpertScoringFuncE1EEEvPKT_PKbPfiPiS9_iiiiii,"axG",@progbits,_ZN4vllm3moe17topkGatingSoftmaxItLi32ELi512ELi2ELi64ELb1ELi8ELNS0_23SharedExpertScoringFuncE1EEEvPKT_PKbPfiPiS9_iiiiii,comdat
	.protected	_ZN4vllm3moe17topkGatingSoftmaxItLi32ELi512ELi2ELi64ELb1ELi8ELNS0_23SharedExpertScoringFuncE1EEEvPKT_PKbPfiPiS9_iiiiii ; -- Begin function _ZN4vllm3moe17topkGatingSoftmaxItLi32ELi512ELi2ELi64ELb1ELi8ELNS0_23SharedExpertScoringFuncE1EEEvPKT_PKbPfiPiS9_iiiiii
	.globl	_ZN4vllm3moe17topkGatingSoftmaxItLi32ELi512ELi2ELi64ELb1ELi8ELNS0_23SharedExpertScoringFuncE1EEEvPKT_PKbPfiPiS9_iiiiii
	.p2align	8
	.type	_ZN4vllm3moe17topkGatingSoftmaxItLi32ELi512ELi2ELi64ELb1ELi8ELNS0_23SharedExpertScoringFuncE1EEEvPKT_PKbPfiPiS9_iiiiii,@function
_ZN4vllm3moe17topkGatingSoftmaxItLi32ELi512ELi2ELi64ELb1ELi8ELNS0_23SharedExpertScoringFuncE1EEEvPKT_PKbPfiPiS9_iiiiii: ; @_ZN4vllm3moe17topkGatingSoftmaxItLi32ELi512ELi2ELi64ELb1ELi8ELNS0_23SharedExpertScoringFuncE1EEEvPKT_PKbPfiPiS9_iiiiii
; %bb.0:
	s_load_dword s28, s[4:5], 0x18
	s_add_u32 s0, s0, s9
	v_bfe_u32 v1, v0, 10, 10
	v_and_b32_e32 v0, 0x3ff, v0
	s_addc_u32 s1, s1, 0
	s_lshl_b32 s29, s8, 3
	v_lshlrev_b32_e32 v41, 2, v1
	v_lshrrev_b32_e32 v42, 4, v0
	v_add3_u32 v6, s29, v41, v42
	s_waitcnt lgkmcnt(0)
	v_cmp_gt_i32_e32 vcc, s28, v6
	s_and_saveexec_b64 s[6:7], vcc
	s_cbranch_execz .LBB306_29
; %bb.1:
	s_load_dwordx4 s[8:11], s[4:5], 0x0
	s_load_dwordx2 s[20:21], s[4:5], 0x10
	s_waitcnt lgkmcnt(0)
	s_cmp_eq_u64 s[10:11], 0
	s_cbranch_scc1 .LBB306_3
; %bb.2:
	v_ashrrev_i32_e32 v1, 31, v6
	v_mov_b32_e32 v3, s11
	v_add_co_u32_e32 v2, vcc, s10, v6
	v_addc_co_u32_e32 v3, vcc, v3, v1, vcc
	global_load_ubyte v1, v[2:3], off
	s_waitcnt vmcnt(0)
	v_and_b32_e32 v1, 1, v1
	v_cmp_eq_u32_e32 vcc, 1, v1
	s_xor_b64 s[6:7], vcc, -1
	s_orn2_b64 s[22:23], s[6:7], exec
	s_branch .LBB306_4
.LBB306_3:
	s_mov_b64 s[22:23], -1
.LBB306_4:
	s_load_dwordx2 s[26:27], s[4:5], 0x40
	s_load_dwordx4 s[12:15], s[4:5], 0x30
	v_mov_b32_e32 v1, s9
	v_and_b32_e32 v7, 15, v0
	v_lshlrev_b32_e32 v0, 6, v7
	s_waitcnt lgkmcnt(0)
	v_mul_lo_u32 v2, v6, s27
	v_ashrrev_i32_e32 v3, 31, v2
	v_lshlrev_b64 v[2:3], 1, v[2:3]
	v_add_co_u32_e32 v10, vcc, s8, v2
	v_addc_co_u32_e32 v26, vcc, v1, v3, vcc
	v_add_co_u32_e32 v4, vcc, v10, v0
	v_addc_co_u32_e32 v5, vcc, 0, v26, vcc
	global_load_dwordx4 v[0:3], v[4:5], off
	global_load_dwordx4 v[28:31], v[4:5], off offset:16
	global_load_dwordx4 v[32:35], v[4:5], off offset:32
	;; [unrolled: 1-line block ×3, first 2 shown]
	v_mov_b32_e32 v8, 0
	v_lshlrev_b32_e32 v9, 5, v7
	v_cmp_gt_u32_e32 vcc, 8, v7
	s_waitcnt vmcnt(3)
	v_cvt_f32_u32_sdwa v11, v0 dst_sel:DWORD dst_unused:UNUSED_PAD src0_sel:WORD_1
	v_cvt_f32_u32_sdwa v25, v0 dst_sel:DWORD dst_unused:UNUSED_PAD src0_sel:WORD_0
	v_cvt_f32_u32_sdwa v13, v1 dst_sel:DWORD dst_unused:UNUSED_PAD src0_sel:WORD_1
	v_cvt_f32_u32_sdwa v12, v1 dst_sel:DWORD dst_unused:UNUSED_PAD src0_sel:WORD_0
	;; [unrolled: 2-line block ×4, first 2 shown]
	s_waitcnt vmcnt(2)
	v_cvt_f32_u32_sdwa v19, v28 dst_sel:DWORD dst_unused:UNUSED_PAD src0_sel:WORD_1
	v_cvt_f32_u32_sdwa v18, v28 dst_sel:DWORD dst_unused:UNUSED_PAD src0_sel:WORD_0
	v_cvt_f32_u32_sdwa v21, v29 dst_sel:DWORD dst_unused:UNUSED_PAD src0_sel:WORD_1
	v_cvt_f32_u32_sdwa v20, v29 dst_sel:DWORD dst_unused:UNUSED_PAD src0_sel:WORD_0
	v_cvt_f32_u32_sdwa v23, v30 dst_sel:DWORD dst_unused:UNUSED_PAD src0_sel:WORD_1
	v_cvt_f32_u32_sdwa v22, v30 dst_sel:DWORD dst_unused:UNUSED_PAD src0_sel:WORD_0
	v_cvt_f32_u32_sdwa v5, v31 dst_sel:DWORD dst_unused:UNUSED_PAD src0_sel:WORD_1
	v_cvt_f32_u32_sdwa v24, v31 dst_sel:DWORD dst_unused:UNUSED_PAD src0_sel:WORD_0
	s_waitcnt vmcnt(1)
	v_cvt_f32_u32_sdwa v3, v32 dst_sel:DWORD dst_unused:UNUSED_PAD src0_sel:WORD_1
	v_cvt_f32_u32_sdwa v4, v32 dst_sel:DWORD dst_unused:UNUSED_PAD src0_sel:WORD_0
	v_cvt_f32_u32_sdwa v1, v33 dst_sel:DWORD dst_unused:UNUSED_PAD src0_sel:WORD_1
	v_cvt_f32_u32_sdwa v2, v33 dst_sel:DWORD dst_unused:UNUSED_PAD src0_sel:WORD_0
	;; [unrolled: 2-line block ×3, first 2 shown]
	s_waitcnt vmcnt(0)
	v_cvt_f32_u32_sdwa v34, v39 dst_sel:DWORD dst_unused:UNUSED_PAD src0_sel:WORD_1
	v_cvt_f32_u32_sdwa v28, v35 dst_sel:DWORD dst_unused:UNUSED_PAD src0_sel:WORD_0
	v_cvt_f32_u32_sdwa v29, v35 dst_sel:DWORD dst_unused:UNUSED_PAD src0_sel:WORD_1
	v_cvt_f32_u32_sdwa v35, v39 dst_sel:DWORD dst_unused:UNUSED_PAD src0_sel:WORD_0
	v_cvt_f32_u32_sdwa v30, v36 dst_sel:DWORD dst_unused:UNUSED_PAD src0_sel:WORD_0
	v_cvt_f32_u32_sdwa v31, v36 dst_sel:DWORD dst_unused:UNUSED_PAD src0_sel:WORD_1
	v_cvt_f32_u32_sdwa v36, v38 dst_sel:DWORD dst_unused:UNUSED_PAD src0_sel:WORD_1
	v_cvt_f32_u32_sdwa v32, v37 dst_sel:DWORD dst_unused:UNUSED_PAD src0_sel:WORD_0
	v_cvt_f32_u32_sdwa v33, v37 dst_sel:DWORD dst_unused:UNUSED_PAD src0_sel:WORD_1
	v_cvt_f32_u32_sdwa v37, v38 dst_sel:DWORD dst_unused:UNUSED_PAD src0_sel:WORD_0
	buffer_store_dword v34, off, s[0:3], 0 offset:124
	buffer_store_dword v35, off, s[0:3], 0 offset:120
	;; [unrolled: 1-line block ×31, first 2 shown]
	buffer_store_dword v25, off, s[0:3], 0
	s_and_saveexec_b64 s[6:7], vcc
	s_cbranch_execz .LBB306_6
; %bb.5:
	v_lshlrev_b32_e32 v27, 1, v7
	v_add_co_u32_e32 v28, vcc, v10, v27
	v_addc_co_u32_e32 v29, vcc, 0, v26, vcc
	global_load_ushort v10, v[28:29], off offset:1024
	s_mov_b32 s8, 0xbfb8aa3b
	s_mov_b32 s9, 0x42ce8ed0
	;; [unrolled: 1-line block ×3, first 2 shown]
	v_mov_b32_e32 v28, 0x7f800000
	v_mul_lo_u32 v26, v6, s15
	v_add3_u32 v26, v26, s12, v7
	v_mov_b32_e32 v31, s21
	s_waitcnt vmcnt(0)
	v_cvt_f32_u32_e32 v10, v10
	v_mul_f32_e32 v27, 0xbfb8aa3b, v10
	v_fma_f32 v29, v10, s8, -v27
	v_rndne_f32_e32 v30, v27
	v_fmac_f32_e32 v29, 0xb2a5705f, v10
	v_sub_f32_e32 v27, v27, v30
	v_add_f32_e32 v27, v27, v29
	v_cvt_i32_f32_e32 v30, v30
	v_exp_f32_e32 v29, v27
	v_cmp_nlt_f32_e32 vcc, s9, v10
	v_ashrrev_i32_e32 v27, 31, v26
	v_lshlrev_b64 v[26:27], 2, v[26:27]
	v_ldexp_f32 v29, v29, v30
	v_cndmask_b32_e32 v29, 0, v29, vcc
	v_cmp_ngt_f32_e32 vcc, s10, v10
	v_cndmask_b32_e32 v10, v28, v29, vcc
	v_add_f32_e32 v10, 1.0, v10
	v_div_scale_f32 v28, s[8:9], v10, v10, 1.0
	v_rcp_f32_e32 v29, v28
	v_div_scale_f32 v30, vcc, 1.0, v10, 1.0
	v_fma_f32 v32, -v28, v29, 1.0
	v_fmac_f32_e32 v29, v32, v29
	v_mul_f32_e32 v32, v30, v29
	v_fma_f32 v33, -v28, v32, v30
	v_fmac_f32_e32 v32, v33, v29
	v_fma_f32 v28, -v28, v32, v30
	v_div_fmas_f32 v28, v28, v29, v32
	v_add_co_u32_e32 v26, vcc, s20, v26
	v_div_fixup_f32 v10, v28, v10, 1.0
	v_addc_co_u32_e32 v27, vcc, v31, v27, vcc
	global_store_dword v[26:27], v10, off
.LBB306_6:
	s_or_b64 exec, exec, s[6:7]
	buffer_load_dword v31, off, s[0:3], 0 offset:84
	buffer_load_dword v32, off, s[0:3], 0 offset:88
	;; [unrolled: 1-line block ×11, first 2 shown]
	v_cmp_lt_f32_e32 vcc, v25, v11
	v_or_b32_e32 v10, 1, v9
	v_cndmask_b32_e32 v25, v25, v11, vcc
	v_cndmask_b32_e32 v26, v9, v10, vcc
	v_cmp_lt_f32_e32 vcc, v25, v12
	v_or_b32_e32 v11, 2, v9
	v_cndmask_b32_e32 v25, v25, v12, vcc
	v_cndmask_b32_e32 v26, v26, v11, vcc
	;; [unrolled: 4-line block ×20, first 2 shown]
	s_waitcnt vmcnt(10)
	v_cmp_lt_f32_e32 vcc, v0, v31
	v_or_b32_e32 v30, 21, v9
	v_cndmask_b32_e32 v0, v0, v31, vcc
	v_cndmask_b32_e32 v1, v2, v30, vcc
	s_waitcnt vmcnt(9)
	v_cmp_lt_f32_e32 vcc, v0, v32
	v_or_b32_e32 v31, 22, v9
	v_cndmask_b32_e32 v0, v0, v32, vcc
	v_cndmask_b32_e32 v1, v1, v31, vcc
	;; [unrolled: 5-line block ×10, first 2 shown]
	v_or_b32_e32 v40, 31, v9
	s_waitcnt vmcnt(0)
	v_cmp_lt_f32_e32 vcc, v0, v43
	v_cndmask_b32_e32 v1, v1, v40, vcc
	v_cndmask_b32_e32 v0, v0, v43, vcc
	s_nop 0
	v_mov_b32_dpp v2, v1 quad_perm:[1,0,3,2] row_mask:0xf bank_mask:0xf
	v_mov_b32_dpp v3, v0 quad_perm:[1,0,3,2] row_mask:0xf bank_mask:0xf
	v_cmp_eq_f32_e64 s[6:7], v0, v3
	v_cmp_lt_i32_e64 s[8:9], v2, v1
	v_cmp_lt_f32_e32 vcc, v0, v3
	s_and_b64 s[6:7], s[6:7], s[8:9]
	s_or_b64 vcc, vcc, s[6:7]
	v_cndmask_b32_e32 v0, v0, v3, vcc
	v_cndmask_b32_e32 v1, v1, v2, vcc
	s_nop 0
	v_mov_b32_dpp v3, v0 quad_perm:[2,3,0,1] row_mask:0xf bank_mask:0xf
	v_mov_b32_dpp v2, v1 quad_perm:[2,3,0,1] row_mask:0xf bank_mask:0xf
	v_cmp_eq_f32_e64 s[6:7], v0, v3
	v_cmp_lt_i32_e64 s[8:9], v2, v1
	v_cmp_lt_f32_e32 vcc, v0, v3
	s_and_b64 s[6:7], s[6:7], s[8:9]
	s_or_b64 vcc, vcc, s[6:7]
	v_cndmask_b32_e32 v0, v0, v3, vcc
	v_cndmask_b32_e32 v1, v1, v2, vcc
	s_nop 0
	v_mov_b32_dpp v3, v0 row_half_mirror row_mask:0xf bank_mask:0xf
	v_mov_b32_dpp v2, v1 row_half_mirror row_mask:0xf bank_mask:0xf
	v_cmp_eq_f32_e64 s[6:7], v0, v3
	v_cmp_lt_i32_e64 s[8:9], v2, v1
	v_cmp_lt_f32_e32 vcc, v0, v3
	s_and_b64 s[6:7], s[6:7], s[8:9]
	s_or_b64 vcc, vcc, s[6:7]
	v_cndmask_b32_e32 v0, v0, v3, vcc
	v_cndmask_b32_e32 v1, v1, v2, vcc
	s_cmp_gt_i32 s12, 0
	v_mov_b32_dpp v3, v0 row_mirror row_mask:0xf bank_mask:0xf
	v_mov_b32_dpp v2, v1 row_mirror row_mask:0xf bank_mask:0xf
	s_cselect_b64 s[24:25], -1, 0
	s_cmp_lt_i32 s12, 1
	v_cmp_eq_u32_e32 vcc, 0, v7
	s_cbranch_scc1 .LBB306_18
; %bb.7:
	s_load_dwordx4 s[16:19], s[4:5], 0x20
	v_cmp_eq_f32_e64 s[8:9], v0, v3
	v_cmp_lt_i32_e64 s[10:11], v2, v1
	v_cmp_lt_f32_e64 s[6:7], v0, v3
	s_and_b64 s[8:9], s[8:9], s[10:11]
	s_or_b64 s[6:7], s[6:7], s[8:9]
	v_cndmask_b32_e64 v44, v1, v2, s[6:7]
	v_cndmask_b32_e64 v43, v0, v3, s[6:7]
	v_mul_lo_u32 v4, v6, s15
	v_mul_lo_u32 v2, v6, s26
	;; [unrolled: 1-line block ×3, first 2 shown]
	v_mov_b32_e32 v8, 0
	s_and_saveexec_b64 s[8:9], vcc
	s_cbranch_execz .LBB306_9
; %bb.8:
	v_sub_f32_e32 v1, v43, v43
	v_mul_f32_e32 v3, 0x3fb8aa3b, v1
	s_mov_b32 s4, 0x3fb8aa3b
	v_rndne_f32_e32 v5, v3
	v_sub_f32_e32 v8, v3, v5
	v_fma_f32 v3, v1, s4, -v3
	v_fmac_f32_e32 v3, 0x32a5705f, v1
	v_add_f32_e32 v3, v8, v3
	v_exp_f32_e32 v3, v3
	v_cvt_i32_f32_e32 v5, v5
	v_cmp_le_i32_e64 s[4:5], s13, v44
	v_cmp_gt_i32_e64 s[6:7], s14, v44
	s_and_b64 s[6:7], s[4:5], s[6:7]
	s_mov_b32 s4, 0xc2ce8ed0
	v_ldexp_f32 v3, v3, v5
	v_cmp_ngt_f32_e64 s[4:5], s4, v1
	v_cndmask_b32_e64 v3, 0, v3, s[4:5]
	s_mov_b32 s4, 0x42b17218
	v_mov_b32_e32 v5, 0x7f800000
	v_cmp_nlt_f32_e64 s[4:5], s4, v1
	v_cndmask_b32_e64 v8, v5, v3, s[4:5]
	v_ashrrev_i32_e32 v5, 31, v4
	v_lshlrev_b64 v[46:47], 2, v[4:5]
	v_mov_b32_e32 v1, s21
	v_add_co_u32_e64 v46, s[4:5], s20, v46
	v_addc_co_u32_e64 v47, s[4:5], v1, v47, s[4:5]
	v_subrev_u32_e32 v1, s13, v44
	v_mov_b32_e32 v3, 0x200
	s_and_b64 s[4:5], s[22:23], s[6:7]
	v_cndmask_b32_e64 v1, v3, v1, s[4:5]
	v_ashrrev_i32_e32 v3, 31, v2
	global_store_dword v[46:47], v8, off
	v_lshlrev_b64 v[46:47], 2, v[2:3]
	s_waitcnt lgkmcnt(0)
	v_mov_b32_e32 v3, s17
	v_add_co_u32_e64 v46, s[4:5], s16, v46
	v_addc_co_u32_e64 v47, s[4:5], v3, v47, s[4:5]
	global_store_dword v[46:47], v1, off
	v_ashrrev_i32_e32 v1, 31, v0
	v_lshlrev_b64 v[46:47], 2, v[0:1]
	v_mov_b32_e32 v1, s19
	v_add_co_u32_e64 v46, s[4:5], s18, v46
	v_addc_co_u32_e64 v47, s[4:5], v1, v47, s[4:5]
	global_store_dword v[46:47], v6, off
.LBB306_9:
	s_or_b64 exec, exec, s[8:9]
	v_ashrrev_i32_e32 v3, 31, v44
	v_lshrrev_b32_e32 v1, 27, v3
	v_add_u32_e32 v1, v44, v1
	v_ashrrev_i32_e32 v1, 5, v1
	v_lshrrev_b32_e32 v5, 28, v1
	v_add_u32_e32 v5, v1, v5
	v_and_b32_e32 v5, -16, v5
	v_sub_u32_e32 v5, v1, v5
	v_cmp_eq_u32_e64 s[4:5], v7, v5
	s_and_saveexec_b64 s[6:7], s[4:5]
	s_cbranch_execz .LBB306_11
; %bb.10:
	v_lshrrev_b32_e32 v3, 23, v3
	v_add_u32_e32 v3, v44, v3
	v_lshlrev_b32_e32 v1, 5, v1
	v_ashrrev_i32_e32 v3, 9, v3
	v_sub_u32_e32 v1, v44, v1
	v_lshl_add_u32 v1, v3, 5, v1
	v_mov_b32_e32 v3, 0
	v_lshl_add_u32 v1, v1, 2, v3
	v_mov_b32_e32 v3, 0xff800000
	buffer_store_dword v3, v1, s[0:3], 0 offen
.LBB306_11:
	s_or_b64 exec, exec, s[6:7]
	s_cmp_eq_u32 s12, 1
	s_cbranch_scc1 .LBB306_18
; %bb.12:
	s_add_i32 s29, s29, s28
	s_add_i32 s10, s12, -1
	v_add3_u32 v41, s29, v42, v41
	v_add_u32_e32 v0, 1, v0
	v_add_u32_e32 v2, 1, v2
	;; [unrolled: 1-line block ×3, first 2 shown]
	s_mov_b32 s11, 0x3fb8aa3b
	s_mov_b32 s26, 0xc2ce8ed0
	;; [unrolled: 1-line block ×3, first 2 shown]
	v_mov_b32_e32 v42, 0
	v_mov_b32_e32 v44, 0xff800000
	;; [unrolled: 1-line block ×4, first 2 shown]
	s_branch .LBB306_14
.LBB306_13:                             ;   in Loop: Header=BB306_14 Depth=1
	s_or_b64 exec, exec, s[6:7]
	s_add_i32 s10, s10, -1
	v_add_u32_e32 v41, s28, v41
	v_add_u32_e32 v0, 1, v0
	;; [unrolled: 1-line block ×3, first 2 shown]
	s_cmp_eq_u32 s10, 0
	v_add_u32_e32 v4, 1, v4
	s_cbranch_scc1 .LBB306_18
.LBB306_14:                             ; =>This Inner Loop Header: Depth=1
	buffer_load_dword v1, off, s[0:3], 0
	buffer_load_dword v3, off, s[0:3], 0 offset:4
	buffer_load_dword v5, off, s[0:3], 0 offset:8
	;; [unrolled: 1-line block ×15, first 2 shown]
	s_waitcnt vmcnt(14)
	v_cmp_gt_f32_e64 s[4:5], v3, v1
	v_cndmask_b32_e64 v1, v1, v3, s[4:5]
	v_cndmask_b32_e64 v60, v9, v10, s[4:5]
	s_waitcnt vmcnt(13)
	v_cmp_gt_f32_e64 s[4:5], v5, v1
	v_cndmask_b32_e64 v1, v1, v5, s[4:5]
	buffer_load_dword v5, off, s[0:3], 0 offset:64
	v_cndmask_b32_e64 v3, v60, v11, s[4:5]
	s_waitcnt vmcnt(13)
	v_cmp_gt_f32_e64 s[4:5], v47, v1
	v_cndmask_b32_e64 v1, v1, v47, s[4:5]
	v_cndmask_b32_e64 v3, v3, v12, s[4:5]
	s_waitcnt vmcnt(12)
	v_cmp_gt_f32_e64 s[4:5], v48, v1
	v_cndmask_b32_e64 v1, v1, v48, s[4:5]
	;; [unrolled: 4-line block ×14, first 2 shown]
	buffer_load_dword v5, off, s[0:3], 0 offset:68
	v_cndmask_b32_e64 v3, v3, v25, s[4:5]
	s_waitcnt vmcnt(0)
	v_cmp_gt_f32_e64 s[4:5], v5, v1
	v_cndmask_b32_e64 v1, v1, v5, s[4:5]
	buffer_load_dword v5, off, s[0:3], 0 offset:72
	v_cndmask_b32_e64 v3, v3, v26, s[4:5]
	s_waitcnt vmcnt(0)
	v_cmp_gt_f32_e64 s[4:5], v5, v1
	v_cndmask_b32_e64 v1, v1, v5, s[4:5]
	;; [unrolled: 5-line block ×15, first 2 shown]
	v_cndmask_b32_e64 v1, v1, v5, s[4:5]
	s_nop 0
	v_mov_b32_dpp v5, v3 quad_perm:[1,0,3,2] row_mask:0xf bank_mask:0xf
	v_mov_b32_dpp v47, v1 quad_perm:[1,0,3,2] row_mask:0xf bank_mask:0xf
	v_cmp_eq_f32_e64 s[6:7], v1, v47
	v_cmp_lt_i32_e64 s[8:9], v5, v3
	v_cmp_lt_f32_e64 s[4:5], v1, v47
	s_and_b64 s[6:7], s[6:7], s[8:9]
	s_or_b64 s[4:5], s[4:5], s[6:7]
	v_cndmask_b32_e64 v1, v1, v47, s[4:5]
	v_cndmask_b32_e64 v3, v3, v5, s[4:5]
	s_nop 0
	v_mov_b32_dpp v47, v1 quad_perm:[2,3,0,1] row_mask:0xf bank_mask:0xf
	v_mov_b32_dpp v5, v3 quad_perm:[2,3,0,1] row_mask:0xf bank_mask:0xf
	v_cmp_eq_f32_e64 s[6:7], v1, v47
	v_cmp_lt_i32_e64 s[8:9], v5, v3
	v_cmp_lt_f32_e64 s[4:5], v1, v47
	s_and_b64 s[6:7], s[6:7], s[8:9]
	s_or_b64 s[4:5], s[4:5], s[6:7]
	v_cndmask_b32_e64 v1, v1, v47, s[4:5]
	v_cndmask_b32_e64 v3, v3, v5, s[4:5]
	s_nop 0
	v_mov_b32_dpp v47, v1 row_half_mirror row_mask:0xf bank_mask:0xf
	v_mov_b32_dpp v5, v3 row_half_mirror row_mask:0xf bank_mask:0xf
	v_cmp_eq_f32_e64 s[6:7], v1, v47
	v_cmp_lt_i32_e64 s[8:9], v5, v3
	v_cmp_lt_f32_e64 s[4:5], v1, v47
	s_and_b64 s[6:7], s[6:7], s[8:9]
	s_or_b64 s[4:5], s[4:5], s[6:7]
	v_cndmask_b32_e64 v1, v1, v47, s[4:5]
	v_cndmask_b32_e64 v5, v3, v5, s[4:5]
	s_nop 0
	v_mov_b32_dpp v3, v1 row_mirror row_mask:0xf bank_mask:0xf
	v_mov_b32_dpp v47, v5 row_mirror row_mask:0xf bank_mask:0xf
	v_cmp_eq_f32_e64 s[6:7], v1, v3
	v_cmp_lt_i32_e64 s[8:9], v47, v5
	v_cmp_lt_f32_e64 s[4:5], v1, v3
	s_and_b64 s[6:7], s[6:7], s[8:9]
	s_or_b64 s[4:5], s[4:5], s[6:7]
	v_cndmask_b32_e64 v47, v5, v47, s[4:5]
	s_and_saveexec_b64 s[8:9], vcc
	s_cbranch_execz .LBB306_16
; %bb.15:                               ;   in Loop: Header=BB306_14 Depth=1
	v_cndmask_b32_e64 v1, v1, v3, s[4:5]
	v_sub_f32_e32 v1, v1, v43
	v_mul_f32_e32 v3, 0x3fb8aa3b, v1
	v_fma_f32 v5, v1, s11, -v3
	v_rndne_f32_e32 v48, v3
	v_fmac_f32_e32 v5, 0x32a5705f, v1
	v_sub_f32_e32 v3, v3, v48
	v_add_f32_e32 v3, v3, v5
	v_exp_f32_e32 v3, v3
	v_cvt_i32_f32_e32 v5, v48
	v_cmp_le_i32_e64 s[4:5], s13, v47
	v_cmp_gt_i32_e64 s[6:7], s14, v47
	s_and_b64 s[6:7], s[4:5], s[6:7]
	v_ldexp_f32 v3, v3, v5
	v_cmp_ngt_f32_e64 s[4:5], s26, v1
	v_ashrrev_i32_e32 v5, 31, v4
	v_cndmask_b32_e64 v3, 0, v3, s[4:5]
	v_cmp_nlt_f32_e64 s[4:5], s27, v1
	v_lshlrev_b64 v[48:49], 2, v[4:5]
	v_cndmask_b32_e64 v50, v45, v3, s[4:5]
	v_mov_b32_e32 v1, s21
	v_add_co_u32_e64 v48, s[4:5], s20, v48
	v_addc_co_u32_e64 v49, s[4:5], v1, v49, s[4:5]
	v_ashrrev_i32_e32 v3, 31, v2
	global_store_dword v[48:49], v50, off
	v_subrev_u32_e32 v1, s13, v47
	s_and_b64 s[4:5], s[22:23], s[6:7]
	v_lshlrev_b64 v[48:49], 2, v[2:3]
	v_cndmask_b32_e64 v1, v46, v1, s[4:5]
	s_waitcnt lgkmcnt(0)
	v_mov_b32_e32 v3, s17
	v_add_co_u32_e64 v48, s[4:5], s16, v48
	v_addc_co_u32_e64 v49, s[4:5], v3, v49, s[4:5]
	global_store_dword v[48:49], v1, off
	v_ashrrev_i32_e32 v1, 31, v0
	v_lshlrev_b64 v[48:49], 2, v[0:1]
	v_mov_b32_e32 v1, s19
	v_add_co_u32_e64 v48, s[4:5], s18, v48
	v_addc_co_u32_e64 v49, s[4:5], v1, v49, s[4:5]
	v_add_f32_e32 v8, v8, v50
	global_store_dword v[48:49], v41, off
.LBB306_16:                             ;   in Loop: Header=BB306_14 Depth=1
	s_or_b64 exec, exec, s[8:9]
	v_ashrrev_i32_e32 v3, 31, v47
	v_lshrrev_b32_e32 v1, 27, v3
	v_add_u32_e32 v1, v47, v1
	v_ashrrev_i32_e32 v1, 5, v1
	v_lshrrev_b32_e32 v5, 28, v1
	v_add_u32_e32 v5, v1, v5
	v_and_b32_e32 v5, -16, v5
	v_sub_u32_e32 v5, v1, v5
	v_cmp_eq_u32_e64 s[4:5], v7, v5
	s_and_saveexec_b64 s[6:7], s[4:5]
	s_cbranch_execz .LBB306_13
; %bb.17:                               ;   in Loop: Header=BB306_14 Depth=1
	v_lshrrev_b32_e32 v3, 23, v3
	v_add_u32_e32 v3, v47, v3
	v_lshlrev_b32_e32 v1, 5, v1
	v_ashrrev_i32_e32 v3, 9, v3
	v_sub_u32_e32 v1, v47, v1
	v_lshl_add_u32 v1, v3, 5, v1
	v_lshl_add_u32 v1, v1, 2, v42
	buffer_store_dword v44, v1, s[0:3], 0 offen
	s_branch .LBB306_13
.LBB306_18:
	v_cmp_eq_u32_e32 vcc, 0, v7
	v_cmp_neq_f32_e64 s[4:5], 0, v8
	s_and_b64 s[4:5], vcc, s[4:5]
	s_and_b64 exec, exec, s[4:5]
	s_cbranch_execz .LBB306_29
; %bb.19:
	s_andn2_b64 vcc, exec, s[24:25]
	s_cbranch_vccnz .LBB306_29
; %bb.20:
	v_div_scale_f32 v0, s[4:5], v8, v8, 1.0
	v_rcp_f32_e32 v1, v0
	v_div_scale_f32 v2, vcc, 1.0, v8, 1.0
	s_cmp_gt_u32 s12, 3
	v_fma_f32 v3, -v0, v1, 1.0
	v_fmac_f32_e32 v1, v3, v1
	v_mul_f32_e32 v3, v2, v1
	v_fma_f32 v4, -v0, v3, v2
	v_fmac_f32_e32 v3, v4, v1
	v_fma_f32 v0, -v0, v3, v2
	v_div_fmas_f32 v0, v0, v1, v3
	v_mul_lo_u32 v2, v6, s15
	v_div_fixup_f32 v0, v0, v8, 1.0
	v_ashrrev_i32_e32 v3, 31, v2
	s_cbranch_scc0 .LBB306_24
; %bb.21:
	v_lshlrev_b64 v[4:5], 2, v[2:3]
	v_mov_b32_e32 v6, s21
	v_add_co_u32_e32 v4, vcc, s20, v4
	v_addc_co_u32_e32 v5, vcc, v5, v6, vcc
	s_and_b32 s8, s12, 0x7ffffffc
	v_add_co_u32_e32 v4, vcc, 8, v4
	v_mov_b32_e32 v1, v0
	v_addc_co_u32_e32 v5, vcc, 0, v5, vcc
	s_mov_b32 s4, s8
.LBB306_22:                             ; =>This Inner Loop Header: Depth=1
	global_load_dwordx4 v[6:9], v[4:5], off offset:-8
	s_add_i32 s4, s4, -4
	s_cmp_lg_u32 s4, 0
	s_waitcnt vmcnt(0)
	v_pk_mul_f32 v[6:7], v[0:1], v[6:7]
	v_pk_mul_f32 v[8:9], v[0:1], v[8:9]
	global_store_dwordx4 v[4:5], v[6:9], off offset:-8
	v_add_co_u32_e32 v4, vcc, 16, v4
	v_addc_co_u32_e32 v5, vcc, 0, v5, vcc
	s_cbranch_scc1 .LBB306_22
; %bb.23:
	s_cmp_lg_u32 s8, s12
	s_cselect_b64 s[4:5], -1, 0
	s_branch .LBB306_26
.LBB306_24:
	s_mov_b64 s[4:5], 0
                                        ; implicit-def: $sgpr8
	s_cbranch_execz .LBB306_26
; %bb.25:
	s_mov_b64 s[4:5], -1
	s_mov_b32 s8, 0
.LBB306_26:
	s_andn2_b64 vcc, exec, s[4:5]
	s_cbranch_vccnz .LBB306_29
; %bb.27:
	v_add_co_u32_e32 v2, vcc, s8, v2
	v_addc_co_u32_e32 v3, vcc, 0, v3, vcc
	v_lshlrev_b64 v[2:3], 2, v[2:3]
	v_mov_b32_e32 v1, s21
	v_add_co_u32_e32 v2, vcc, s20, v2
	s_sub_i32 s4, s12, s8
	v_addc_co_u32_e32 v3, vcc, v1, v3, vcc
.LBB306_28:                             ; =>This Inner Loop Header: Depth=1
	global_load_dword v1, v[2:3], off
	s_add_i32 s4, s4, -1
	s_cmp_lg_u32 s4, 0
	s_waitcnt vmcnt(0)
	v_mul_f32_e32 v1, v0, v1
	global_store_dword v[2:3], v1, off
	v_add_co_u32_e32 v2, vcc, 4, v2
	v_addc_co_u32_e32 v3, vcc, 0, v3, vcc
	s_cbranch_scc1 .LBB306_28
.LBB306_29:
	s_endpgm
	.section	.rodata,"a",@progbits
	.p2align	6, 0x0
	.amdhsa_kernel _ZN4vllm3moe17topkGatingSoftmaxItLi32ELi512ELi2ELi64ELb1ELi8ELNS0_23SharedExpertScoringFuncE1EEEvPKT_PKbPfiPiS9_iiiiii
		.amdhsa_group_segment_fixed_size 0
		.amdhsa_private_segment_fixed_size 144
		.amdhsa_kernarg_size 72
		.amdhsa_user_sgpr_count 8
		.amdhsa_user_sgpr_private_segment_buffer 1
		.amdhsa_user_sgpr_dispatch_ptr 0
		.amdhsa_user_sgpr_queue_ptr 0
		.amdhsa_user_sgpr_kernarg_segment_ptr 1
		.amdhsa_user_sgpr_dispatch_id 0
		.amdhsa_user_sgpr_flat_scratch_init 1
		.amdhsa_user_sgpr_kernarg_preload_length 0
		.amdhsa_user_sgpr_kernarg_preload_offset 0
		.amdhsa_user_sgpr_private_segment_size 0
		.amdhsa_uses_dynamic_stack 0
		.amdhsa_system_sgpr_private_segment_wavefront_offset 1
		.amdhsa_system_sgpr_workgroup_id_x 1
		.amdhsa_system_sgpr_workgroup_id_y 0
		.amdhsa_system_sgpr_workgroup_id_z 0
		.amdhsa_system_sgpr_workgroup_info 0
		.amdhsa_system_vgpr_workitem_id 1
		.amdhsa_next_free_vgpr 61
		.amdhsa_next_free_sgpr 30
		.amdhsa_accum_offset 64
		.amdhsa_reserve_vcc 1
		.amdhsa_reserve_flat_scratch 0
		.amdhsa_float_round_mode_32 0
		.amdhsa_float_round_mode_16_64 0
		.amdhsa_float_denorm_mode_32 3
		.amdhsa_float_denorm_mode_16_64 3
		.amdhsa_dx10_clamp 1
		.amdhsa_ieee_mode 1
		.amdhsa_fp16_overflow 0
		.amdhsa_tg_split 0
		.amdhsa_exception_fp_ieee_invalid_op 0
		.amdhsa_exception_fp_denorm_src 0
		.amdhsa_exception_fp_ieee_div_zero 0
		.amdhsa_exception_fp_ieee_overflow 0
		.amdhsa_exception_fp_ieee_underflow 0
		.amdhsa_exception_fp_ieee_inexact 0
		.amdhsa_exception_int_div_zero 0
	.end_amdhsa_kernel
	.section	.text._ZN4vllm3moe17topkGatingSoftmaxItLi32ELi512ELi2ELi64ELb1ELi8ELNS0_23SharedExpertScoringFuncE1EEEvPKT_PKbPfiPiS9_iiiiii,"axG",@progbits,_ZN4vllm3moe17topkGatingSoftmaxItLi32ELi512ELi2ELi64ELb1ELi8ELNS0_23SharedExpertScoringFuncE1EEEvPKT_PKbPfiPiS9_iiiiii,comdat
.Lfunc_end306:
	.size	_ZN4vllm3moe17topkGatingSoftmaxItLi32ELi512ELi2ELi64ELb1ELi8ELNS0_23SharedExpertScoringFuncE1EEEvPKT_PKbPfiPiS9_iiiiii, .Lfunc_end306-_ZN4vllm3moe17topkGatingSoftmaxItLi32ELi512ELi2ELi64ELb1ELi8ELNS0_23SharedExpertScoringFuncE1EEEvPKT_PKbPfiPiS9_iiiiii
                                        ; -- End function
	.section	.AMDGPU.csdata,"",@progbits
; Kernel info:
; codeLenInByte = 4596
; NumSgprs: 34
; NumVgprs: 61
; NumAgprs: 0
; TotalNumVgprs: 61
; ScratchSize: 144
; MemoryBound: 0
; FloatMode: 240
; IeeeMode: 1
; LDSByteSize: 0 bytes/workgroup (compile time only)
; SGPRBlocks: 4
; VGPRBlocks: 7
; NumSGPRsForWavesPerEU: 34
; NumVGPRsForWavesPerEU: 61
; AccumOffset: 64
; Occupancy: 8
; WaveLimiterHint : 0
; COMPUTE_PGM_RSRC2:SCRATCH_EN: 1
; COMPUTE_PGM_RSRC2:USER_SGPR: 8
; COMPUTE_PGM_RSRC2:TRAP_HANDLER: 0
; COMPUTE_PGM_RSRC2:TGID_X_EN: 1
; COMPUTE_PGM_RSRC2:TGID_Y_EN: 0
; COMPUTE_PGM_RSRC2:TGID_Z_EN: 0
; COMPUTE_PGM_RSRC2:TIDIG_COMP_CNT: 1
; COMPUTE_PGM_RSRC3_GFX90A:ACCUM_OFFSET: 15
; COMPUTE_PGM_RSRC3_GFX90A:TG_SPLIT: 0
	.section	.text._ZN4vllm3moe17topkGatingSoftmaxItLi32ELi512ELi2ELi64ELb0ELi8ELNS0_23SharedExpertScoringFuncE1EEEvPKT_PKbPfiPiS9_iiiiii,"axG",@progbits,_ZN4vllm3moe17topkGatingSoftmaxItLi32ELi512ELi2ELi64ELb0ELi8ELNS0_23SharedExpertScoringFuncE1EEEvPKT_PKbPfiPiS9_iiiiii,comdat
	.protected	_ZN4vllm3moe17topkGatingSoftmaxItLi32ELi512ELi2ELi64ELb0ELi8ELNS0_23SharedExpertScoringFuncE1EEEvPKT_PKbPfiPiS9_iiiiii ; -- Begin function _ZN4vllm3moe17topkGatingSoftmaxItLi32ELi512ELi2ELi64ELb0ELi8ELNS0_23SharedExpertScoringFuncE1EEEvPKT_PKbPfiPiS9_iiiiii
	.globl	_ZN4vllm3moe17topkGatingSoftmaxItLi32ELi512ELi2ELi64ELb0ELi8ELNS0_23SharedExpertScoringFuncE1EEEvPKT_PKbPfiPiS9_iiiiii
	.p2align	8
	.type	_ZN4vllm3moe17topkGatingSoftmaxItLi32ELi512ELi2ELi64ELb0ELi8ELNS0_23SharedExpertScoringFuncE1EEEvPKT_PKbPfiPiS9_iiiiii,@function
_ZN4vllm3moe17topkGatingSoftmaxItLi32ELi512ELi2ELi64ELb0ELi8ELNS0_23SharedExpertScoringFuncE1EEEvPKT_PKbPfiPiS9_iiiiii: ; @_ZN4vllm3moe17topkGatingSoftmaxItLi32ELi512ELi2ELi64ELb0ELi8ELNS0_23SharedExpertScoringFuncE1EEEvPKT_PKbPfiPiS9_iiiiii
; %bb.0:
	s_load_dword s26, s[4:5], 0x18
	s_add_u32 s0, s0, s9
	v_bfe_u32 v1, v0, 10, 10
	v_and_b32_e32 v0, 0x3ff, v0
	s_addc_u32 s1, s1, 0
	s_lshl_b32 s27, s8, 3
	v_lshlrev_b32_e32 v42, 2, v1
	v_lshrrev_b32_e32 v43, 4, v0
	v_add3_u32 v6, s27, v42, v43
	s_waitcnt lgkmcnt(0)
	v_cmp_gt_i32_e32 vcc, s26, v6
	s_and_saveexec_b64 s[6:7], vcc
	s_cbranch_execz .LBB307_32
; %bb.1:
	s_load_dwordx4 s[8:11], s[4:5], 0x0
	s_load_dwordx2 s[20:21], s[4:5], 0x10
	s_waitcnt lgkmcnt(0)
	s_cmp_eq_u64 s[10:11], 0
	s_cbranch_scc1 .LBB307_3
; %bb.2:
	v_ashrrev_i32_e32 v1, 31, v6
	v_mov_b32_e32 v3, s11
	v_add_co_u32_e32 v2, vcc, s10, v6
	v_addc_co_u32_e32 v3, vcc, v3, v1, vcc
	global_load_ubyte v1, v[2:3], off
	s_waitcnt vmcnt(0)
	v_and_b32_e32 v1, 1, v1
	v_cmp_eq_u32_e32 vcc, 1, v1
	s_xor_b64 s[6:7], vcc, -1
	s_orn2_b64 s[22:23], s[6:7], exec
	s_branch .LBB307_4
.LBB307_3:
	s_mov_b64 s[22:23], -1
.LBB307_4:
	s_load_dwordx2 s[24:25], s[4:5], 0x40
	s_load_dwordx4 s[12:15], s[4:5], 0x30
	v_mov_b32_e32 v1, s9
	v_and_b32_e32 v7, 15, v0
	v_lshlrev_b32_e32 v0, 6, v7
	s_waitcnt lgkmcnt(0)
	v_mul_lo_u32 v2, v6, s25
	v_ashrrev_i32_e32 v3, 31, v2
	v_lshlrev_b64 v[2:3], 1, v[2:3]
	v_add_co_u32_e32 v11, vcc, s8, v2
	v_addc_co_u32_e32 v16, vcc, v1, v3, vcc
	v_add_co_u32_e32 v4, vcc, v11, v0
	v_addc_co_u32_e32 v5, vcc, 0, v16, vcc
	global_load_dwordx4 v[0:3], v[4:5], off
	global_load_dwordx4 v[24:27], v[4:5], off offset:16
	global_load_dwordx4 v[28:31], v[4:5], off offset:32
	;; [unrolled: 1-line block ×3, first 2 shown]
	v_mov_b32_e32 v8, 0
	v_lshlrev_b32_e32 v10, 5, v7
	v_cmp_gt_u32_e32 vcc, 8, v7
	s_waitcnt vmcnt(3)
	v_cvt_f32_u32_sdwa v12, v0 dst_sel:DWORD dst_unused:UNUSED_PAD src0_sel:WORD_1
	v_cvt_f32_u32_sdwa v15, v0 dst_sel:DWORD dst_unused:UNUSED_PAD src0_sel:WORD_0
	v_cvt_f32_u32_sdwa v14, v1 dst_sel:DWORD dst_unused:UNUSED_PAD src0_sel:WORD_1
	v_cvt_f32_u32_sdwa v13, v1 dst_sel:DWORD dst_unused:UNUSED_PAD src0_sel:WORD_0
	;; [unrolled: 2-line block ×4, first 2 shown]
	s_waitcnt vmcnt(2)
	v_cvt_f32_u32_sdwa v20, v24 dst_sel:DWORD dst_unused:UNUSED_PAD src0_sel:WORD_1
	v_cvt_f32_u32_sdwa v19, v24 dst_sel:DWORD dst_unused:UNUSED_PAD src0_sel:WORD_0
	v_cvt_f32_u32_sdwa v22, v25 dst_sel:DWORD dst_unused:UNUSED_PAD src0_sel:WORD_1
	v_cvt_f32_u32_sdwa v21, v25 dst_sel:DWORD dst_unused:UNUSED_PAD src0_sel:WORD_0
	;; [unrolled: 2-line block ×4, first 2 shown]
	s_waitcnt vmcnt(1)
	v_cvt_f32_u32_sdwa v5, v28 dst_sel:DWORD dst_unused:UNUSED_PAD src0_sel:WORD_1
	v_cvt_f32_u32_sdwa v9, v28 dst_sel:DWORD dst_unused:UNUSED_PAD src0_sel:WORD_0
	v_cvt_f32_u32_sdwa v3, v29 dst_sel:DWORD dst_unused:UNUSED_PAD src0_sel:WORD_1
	v_cvt_f32_u32_sdwa v4, v29 dst_sel:DWORD dst_unused:UNUSED_PAD src0_sel:WORD_0
	v_cvt_f32_u32_sdwa v2, v30 dst_sel:DWORD dst_unused:UNUSED_PAD src0_sel:WORD_0
	s_waitcnt vmcnt(0)
	v_cvt_f32_u32_sdwa v36, v35 dst_sel:DWORD dst_unused:UNUSED_PAD src0_sel:WORD_1
	v_cvt_f32_u32_sdwa v35, v35 dst_sel:DWORD dst_unused:UNUSED_PAD src0_sel:WORD_0
	v_cvt_f32_u32_sdwa v37, v34 dst_sel:DWORD dst_unused:UNUSED_PAD src0_sel:WORD_1
	v_cvt_f32_u32_sdwa v34, v34 dst_sel:DWORD dst_unused:UNUSED_PAD src0_sel:WORD_0
	;; [unrolled: 2-line block ×5, first 2 shown]
	v_cvt_f32_u32_sdwa v33, v33 dst_sel:DWORD dst_unused:UNUSED_PAD src0_sel:WORD_1
	buffer_store_dword v36, off, s[0:3], 0 offset:124
	buffer_store_dword v35, off, s[0:3], 0 offset:120
	;; [unrolled: 1-line block ×31, first 2 shown]
	buffer_store_dword v15, off, s[0:3], 0
	s_and_saveexec_b64 s[6:7], vcc
	s_cbranch_execz .LBB307_6
; %bb.5:
	v_lshlrev_b32_e32 v27, 1, v7
	v_add_co_u32_e32 v28, vcc, v11, v27
	v_addc_co_u32_e32 v29, vcc, 0, v16, vcc
	global_load_ushort v11, v[28:29], off offset:1024
	s_mov_b32 s8, 0xbfb8aa3b
	v_mul_lo_u32 v16, v6, s15
	s_mov_b32 s9, 0x42ce8ed0
	s_mov_b32 s10, 0xc2b17218
	v_mov_b32_e32 v27, 0x7f800000
	v_mov_b32_e32 v32, s21
	s_waitcnt vmcnt(0)
	v_cvt_f32_u32_e32 v11, v11
	v_mul_f32_e32 v28, 0xbfb8aa3b, v11
	v_fma_f32 v29, v11, s8, -v28
	v_rndne_f32_e32 v30, v28
	v_fmac_f32_e32 v29, 0xb2a5705f, v11
	v_sub_f32_e32 v28, v28, v30
	v_add_f32_e32 v28, v28, v29
	v_cvt_i32_f32_e32 v30, v30
	v_exp_f32_e32 v31, v28
	v_add3_u32 v28, v16, s12, v7
	v_cmp_nlt_f32_e32 vcc, s9, v11
	v_ashrrev_i32_e32 v29, 31, v28
	v_ldexp_f32 v16, v31, v30
	v_cndmask_b32_e32 v16, 0, v16, vcc
	v_cmp_ngt_f32_e32 vcc, s10, v11
	v_cndmask_b32_e32 v11, v27, v16, vcc
	v_add_f32_e32 v11, 1.0, v11
	v_div_scale_f32 v16, s[8:9], v11, v11, 1.0
	v_rcp_f32_e32 v27, v16
	v_div_scale_f32 v30, vcc, 1.0, v11, 1.0
	v_lshlrev_b64 v[28:29], 2, v[28:29]
	v_fma_f32 v31, -v16, v27, 1.0
	v_fmac_f32_e32 v27, v31, v27
	v_mul_f32_e32 v31, v30, v27
	v_fma_f32 v33, -v16, v31, v30
	v_fmac_f32_e32 v31, v33, v27
	v_fma_f32 v16, -v16, v31, v30
	v_div_fmas_f32 v16, v16, v27, v31
	v_add_co_u32_e32 v28, vcc, s20, v28
	v_div_fixup_f32 v11, v16, v11, 1.0
	v_addc_co_u32_e32 v29, vcc, v32, v29, vcc
	global_store_dword v[28:29], v11, off
.LBB307_6:
	s_or_b64 exec, exec, s[6:7]
	v_cmp_lt_f32_e32 vcc, v15, v12
	v_or_b32_e32 v11, 1, v10
	v_cndmask_b32_e32 v15, v15, v12, vcc
	v_cndmask_b32_e32 v16, v10, v11, vcc
	v_cmp_lt_f32_e32 vcc, v15, v13
	v_or_b32_e32 v12, 2, v10
	v_cndmask_b32_e32 v15, v15, v13, vcc
	buffer_load_dword v32, off, s[0:3], 0 offset:84
	buffer_load_dword v33, off, s[0:3], 0 offset:88
	v_cndmask_b32_e32 v16, v16, v12, vcc
	v_cmp_lt_f32_e32 vcc, v15, v14
	v_or_b32_e32 v13, 3, v10
	v_cndmask_b32_e32 v15, v15, v14, vcc
	v_cndmask_b32_e32 v16, v16, v13, vcc
	v_cmp_lt_f32_e32 vcc, v15, v1
	v_or_b32_e32 v14, 4, v10
	v_cndmask_b32_e32 v27, v15, v1, vcc
	buffer_load_dword v1, off, s[0:3], 0 offset:92
	v_cndmask_b32_e32 v16, v16, v14, vcc
	v_cmp_lt_f32_e32 vcc, v27, v0
	v_cndmask_b32_e32 v27, v27, v0, vcc
	buffer_load_dword v0, off, s[0:3], 0 offset:96
	buffer_load_dword v36, off, s[0:3], 0 offset:100
	;; [unrolled: 1-line block ×8, first 2 shown]
	v_or_b32_e32 v15, 5, v10
	v_cndmask_b32_e32 v28, v16, v15, vcc
	v_cmp_lt_f32_e32 vcc, v27, v17
	v_or_b32_e32 v16, 6, v10
	v_cndmask_b32_e32 v27, v27, v17, vcc
	v_cndmask_b32_e32 v28, v28, v16, vcc
	v_cmp_lt_f32_e32 vcc, v27, v18
	v_or_b32_e32 v17, 7, v10
	v_cndmask_b32_e32 v27, v27, v18, vcc
	;; [unrolled: 4-line block ×15, first 2 shown]
	v_cndmask_b32_e32 v4, v5, v30, vcc
	s_waitcnt vmcnt(10)
	v_cmp_lt_f32_e32 vcc, v2, v32
	v_or_b32_e32 v31, 21, v10
	v_cndmask_b32_e32 v2, v2, v32, vcc
	v_cndmask_b32_e32 v3, v4, v31, vcc
	s_waitcnt vmcnt(9)
	v_cmp_lt_f32_e32 vcc, v2, v33
	v_or_b32_e32 v32, 22, v10
	v_cndmask_b32_e32 v2, v2, v33, vcc
	;; [unrolled: 5-line block ×10, first 2 shown]
	v_cndmask_b32_e32 v3, v3, v40, vcc
	v_or_b32_e32 v41, 31, v10
	s_waitcnt vmcnt(0)
	v_cmp_lt_f32_e32 vcc, v2, v44
	v_cndmask_b32_e32 v3, v3, v41, vcc
	v_cndmask_b32_e32 v2, v2, v44, vcc
	s_nop 0
	v_mov_b32_dpp v4, v3 quad_perm:[1,0,3,2] row_mask:0xf bank_mask:0xf
	v_mov_b32_dpp v5, v2 quad_perm:[1,0,3,2] row_mask:0xf bank_mask:0xf
	v_cmp_eq_f32_e64 s[6:7], v2, v5
	v_cmp_lt_i32_e64 s[8:9], v4, v3
	v_cmp_lt_f32_e32 vcc, v2, v5
	s_and_b64 s[6:7], s[6:7], s[8:9]
	s_or_b64 vcc, vcc, s[6:7]
	v_cndmask_b32_e32 v2, v2, v5, vcc
	v_cndmask_b32_e32 v3, v3, v4, vcc
	s_nop 0
	v_mov_b32_dpp v5, v2 quad_perm:[2,3,0,1] row_mask:0xf bank_mask:0xf
	v_mov_b32_dpp v4, v3 quad_perm:[2,3,0,1] row_mask:0xf bank_mask:0xf
	v_cmp_eq_f32_e64 s[6:7], v2, v5
	v_cmp_lt_i32_e64 s[8:9], v4, v3
	v_cmp_lt_f32_e32 vcc, v2, v5
	s_and_b64 s[6:7], s[6:7], s[8:9]
	s_or_b64 vcc, vcc, s[6:7]
	v_cndmask_b32_e32 v2, v2, v5, vcc
	v_cndmask_b32_e32 v3, v3, v4, vcc
	s_nop 0
	v_mov_b32_dpp v5, v2 row_half_mirror row_mask:0xf bank_mask:0xf
	v_mov_b32_dpp v4, v3 row_half_mirror row_mask:0xf bank_mask:0xf
	v_cmp_eq_f32_e64 s[6:7], v2, v5
	v_cmp_lt_i32_e64 s[8:9], v4, v3
	v_cmp_lt_f32_e32 vcc, v2, v5
	s_and_b64 s[6:7], s[6:7], s[8:9]
	s_or_b64 vcc, vcc, s[6:7]
	v_cndmask_b32_e32 v5, v2, v5, vcc
	v_cndmask_b32_e32 v2, v3, v4, vcc
	s_nop 0
	v_mov_b32_dpp v4, v5 row_mirror row_mask:0xf bank_mask:0xf
	v_mov_b32_dpp v3, v2 row_mirror row_mask:0xf bank_mask:0xf
	v_cmp_eq_f32_e64 s[6:7], v5, v4
	v_cmp_lt_i32_e64 s[8:9], v3, v2
	v_cmp_lt_f32_e32 vcc, v5, v4
	s_and_b64 s[6:7], s[6:7], s[8:9]
	s_or_b64 s[6:7], vcc, s[6:7]
	s_cmp_gt_i32 s12, 0
	v_cndmask_b32_e64 v9, v5, v4, s[6:7]
	s_cselect_b64 s[10:11], -1, 0
	s_cmp_lt_i32 s12, 1
	v_cmp_eq_u32_e32 vcc, 0, v7
	s_cbranch_scc1 .LBB307_19
; %bb.7:
	s_load_dwordx4 s[16:19], s[4:5], 0x20
	v_cndmask_b32_e64 v44, v2, v3, s[6:7]
	v_mul_lo_u32 v4, v6, s15
	v_mul_lo_u32 v2, v6, s24
	;; [unrolled: 1-line block ×3, first 2 shown]
	v_mov_b32_e32 v8, 0
	s_and_saveexec_b64 s[8:9], vcc
	s_cbranch_execz .LBB307_9
; %bb.8:
	v_sub_f32_e32 v1, v9, v9
	v_mul_f32_e32 v3, 0x3fb8aa3b, v1
	s_mov_b32 s4, 0x3fb8aa3b
	v_rndne_f32_e32 v5, v3
	v_sub_f32_e32 v8, v3, v5
	v_fma_f32 v3, v1, s4, -v3
	v_fmac_f32_e32 v3, 0x32a5705f, v1
	v_add_f32_e32 v3, v8, v3
	v_exp_f32_e32 v3, v3
	v_cvt_i32_f32_e32 v5, v5
	v_cmp_le_i32_e64 s[4:5], s13, v44
	v_cmp_gt_i32_e64 s[6:7], s14, v44
	s_and_b64 s[6:7], s[4:5], s[6:7]
	s_mov_b32 s4, 0xc2ce8ed0
	v_ldexp_f32 v3, v3, v5
	v_cmp_ngt_f32_e64 s[4:5], s4, v1
	v_cndmask_b32_e64 v3, 0, v3, s[4:5]
	s_mov_b32 s4, 0x42b17218
	v_mov_b32_e32 v5, 0x7f800000
	v_cmp_nlt_f32_e64 s[4:5], s4, v1
	v_cndmask_b32_e64 v8, v5, v3, s[4:5]
	v_ashrrev_i32_e32 v5, 31, v4
	v_lshlrev_b64 v[46:47], 2, v[4:5]
	v_mov_b32_e32 v1, s21
	v_add_co_u32_e64 v46, s[4:5], s20, v46
	v_addc_co_u32_e64 v47, s[4:5], v1, v47, s[4:5]
	v_subrev_u32_e32 v1, s13, v44
	v_mov_b32_e32 v3, 0x200
	s_and_b64 s[4:5], s[22:23], s[6:7]
	v_cndmask_b32_e64 v1, v3, v1, s[4:5]
	v_ashrrev_i32_e32 v3, 31, v2
	global_store_dword v[46:47], v8, off
	v_lshlrev_b64 v[46:47], 2, v[2:3]
	s_waitcnt lgkmcnt(0)
	v_mov_b32_e32 v3, s17
	v_add_co_u32_e64 v46, s[4:5], s16, v46
	v_addc_co_u32_e64 v47, s[4:5], v3, v47, s[4:5]
	global_store_dword v[46:47], v1, off
	v_ashrrev_i32_e32 v1, 31, v0
	v_lshlrev_b64 v[46:47], 2, v[0:1]
	v_mov_b32_e32 v1, s19
	v_add_co_u32_e64 v46, s[4:5], s18, v46
	v_addc_co_u32_e64 v47, s[4:5], v1, v47, s[4:5]
	global_store_dword v[46:47], v6, off
.LBB307_9:
	s_or_b64 exec, exec, s[8:9]
	v_ashrrev_i32_e32 v3, 31, v44
	v_lshrrev_b32_e32 v1, 27, v3
	v_add_u32_e32 v1, v44, v1
	v_ashrrev_i32_e32 v1, 5, v1
	v_lshrrev_b32_e32 v5, 28, v1
	v_add_u32_e32 v5, v1, v5
	v_and_b32_e32 v5, -16, v5
	v_sub_u32_e32 v5, v1, v5
	v_cmp_eq_u32_e64 s[4:5], v7, v5
	s_and_saveexec_b64 s[6:7], s[4:5]
	s_cbranch_execz .LBB307_11
; %bb.10:
	v_lshrrev_b32_e32 v3, 23, v3
	v_add_u32_e32 v3, v44, v3
	v_lshlrev_b32_e32 v1, 5, v1
	v_ashrrev_i32_e32 v3, 9, v3
	v_sub_u32_e32 v1, v44, v1
	v_lshl_add_u32 v1, v3, 5, v1
	v_mov_b32_e32 v3, 0
	v_lshl_add_u32 v1, v1, 2, v3
	v_mov_b32_e32 v3, 0xff800000
	buffer_store_dword v3, v1, s[0:3], 0 offen
.LBB307_11:
	s_or_b64 exec, exec, s[6:7]
	s_cmp_eq_u32 s12, 1
	s_cbranch_scc1 .LBB307_18
; %bb.12:
	s_add_i32 s27, s27, s26
	s_add_i32 s24, s12, -1
	v_add3_u32 v42, s27, v43, v42
	v_add_u32_e32 v0, 1, v0
	v_add_u32_e32 v2, 1, v2
	;; [unrolled: 1-line block ×3, first 2 shown]
	s_mov_b32 s25, 0x3fb8aa3b
	s_mov_b32 s27, 0xc2ce8ed0
	;; [unrolled: 1-line block ×3, first 2 shown]
	v_mov_b32_e32 v43, 0
	v_mov_b32_e32 v44, 0xff800000
	;; [unrolled: 1-line block ×4, first 2 shown]
	s_branch .LBB307_14
.LBB307_13:                             ;   in Loop: Header=BB307_14 Depth=1
	s_or_b64 exec, exec, s[6:7]
	s_add_i32 s24, s24, -1
	v_add_u32_e32 v42, s26, v42
	v_add_u32_e32 v0, 1, v0
	;; [unrolled: 1-line block ×3, first 2 shown]
	s_cmp_eq_u32 s24, 0
	v_add_u32_e32 v4, 1, v4
	s_cbranch_scc1 .LBB307_18
.LBB307_14:                             ; =>This Inner Loop Header: Depth=1
	buffer_load_dword v1, off, s[0:3], 0
	buffer_load_dword v3, off, s[0:3], 0 offset:4
	buffer_load_dword v5, off, s[0:3], 0 offset:8
	buffer_load_dword v47, off, s[0:3], 0 offset:12
	buffer_load_dword v48, off, s[0:3], 0 offset:16
	buffer_load_dword v49, off, s[0:3], 0 offset:20
	buffer_load_dword v50, off, s[0:3], 0 offset:24
	buffer_load_dword v51, off, s[0:3], 0 offset:28
	buffer_load_dword v52, off, s[0:3], 0 offset:32
	buffer_load_dword v53, off, s[0:3], 0 offset:36
	buffer_load_dword v54, off, s[0:3], 0 offset:40
	buffer_load_dword v55, off, s[0:3], 0 offset:44
	buffer_load_dword v56, off, s[0:3], 0 offset:48
	buffer_load_dword v57, off, s[0:3], 0 offset:52
	buffer_load_dword v58, off, s[0:3], 0 offset:56
	buffer_load_dword v59, off, s[0:3], 0 offset:60
	s_waitcnt vmcnt(14)
	v_cmp_gt_f32_e64 s[4:5], v3, v1
	v_cndmask_b32_e64 v1, v1, v3, s[4:5]
	v_cndmask_b32_e64 v60, v10, v11, s[4:5]
	s_waitcnt vmcnt(13)
	v_cmp_gt_f32_e64 s[4:5], v5, v1
	v_cndmask_b32_e64 v1, v1, v5, s[4:5]
	buffer_load_dword v5, off, s[0:3], 0 offset:64
	v_cndmask_b32_e64 v3, v60, v12, s[4:5]
	s_waitcnt vmcnt(13)
	v_cmp_gt_f32_e64 s[4:5], v47, v1
	v_cndmask_b32_e64 v1, v1, v47, s[4:5]
	v_cndmask_b32_e64 v3, v3, v13, s[4:5]
	s_waitcnt vmcnt(12)
	v_cmp_gt_f32_e64 s[4:5], v48, v1
	v_cndmask_b32_e64 v1, v1, v48, s[4:5]
	;; [unrolled: 4-line block ×14, first 2 shown]
	buffer_load_dword v5, off, s[0:3], 0 offset:68
	v_cndmask_b32_e64 v3, v3, v26, s[4:5]
	s_waitcnt vmcnt(0)
	v_cmp_gt_f32_e64 s[4:5], v5, v1
	v_cndmask_b32_e64 v1, v1, v5, s[4:5]
	buffer_load_dword v5, off, s[0:3], 0 offset:72
	v_cndmask_b32_e64 v3, v3, v27, s[4:5]
	s_waitcnt vmcnt(0)
	v_cmp_gt_f32_e64 s[4:5], v5, v1
	v_cndmask_b32_e64 v1, v1, v5, s[4:5]
	;; [unrolled: 5-line block ×15, first 2 shown]
	v_cndmask_b32_e64 v1, v1, v5, s[4:5]
	s_nop 0
	v_mov_b32_dpp v5, v3 quad_perm:[1,0,3,2] row_mask:0xf bank_mask:0xf
	v_mov_b32_dpp v47, v1 quad_perm:[1,0,3,2] row_mask:0xf bank_mask:0xf
	v_cmp_eq_f32_e64 s[6:7], v1, v47
	v_cmp_lt_i32_e64 s[8:9], v5, v3
	v_cmp_lt_f32_e64 s[4:5], v1, v47
	s_and_b64 s[6:7], s[6:7], s[8:9]
	s_or_b64 s[4:5], s[4:5], s[6:7]
	v_cndmask_b32_e64 v1, v1, v47, s[4:5]
	v_cndmask_b32_e64 v3, v3, v5, s[4:5]
	s_nop 0
	v_mov_b32_dpp v47, v1 quad_perm:[2,3,0,1] row_mask:0xf bank_mask:0xf
	v_mov_b32_dpp v5, v3 quad_perm:[2,3,0,1] row_mask:0xf bank_mask:0xf
	v_cmp_eq_f32_e64 s[6:7], v1, v47
	v_cmp_lt_i32_e64 s[8:9], v5, v3
	v_cmp_lt_f32_e64 s[4:5], v1, v47
	s_and_b64 s[6:7], s[6:7], s[8:9]
	s_or_b64 s[4:5], s[4:5], s[6:7]
	v_cndmask_b32_e64 v1, v1, v47, s[4:5]
	v_cndmask_b32_e64 v3, v3, v5, s[4:5]
	s_nop 0
	v_mov_b32_dpp v47, v1 row_half_mirror row_mask:0xf bank_mask:0xf
	v_mov_b32_dpp v5, v3 row_half_mirror row_mask:0xf bank_mask:0xf
	v_cmp_eq_f32_e64 s[6:7], v1, v47
	v_cmp_lt_i32_e64 s[8:9], v5, v3
	v_cmp_lt_f32_e64 s[4:5], v1, v47
	s_and_b64 s[6:7], s[6:7], s[8:9]
	s_or_b64 s[4:5], s[4:5], s[6:7]
	v_cndmask_b32_e64 v1, v1, v47, s[4:5]
	v_cndmask_b32_e64 v5, v3, v5, s[4:5]
	s_nop 0
	v_mov_b32_dpp v3, v1 row_mirror row_mask:0xf bank_mask:0xf
	v_mov_b32_dpp v47, v5 row_mirror row_mask:0xf bank_mask:0xf
	v_cmp_eq_f32_e64 s[6:7], v1, v3
	v_cmp_lt_i32_e64 s[8:9], v47, v5
	v_cmp_lt_f32_e64 s[4:5], v1, v3
	s_and_b64 s[6:7], s[6:7], s[8:9]
	s_or_b64 s[4:5], s[4:5], s[6:7]
	v_cndmask_b32_e64 v47, v5, v47, s[4:5]
	s_and_saveexec_b64 s[8:9], vcc
	s_cbranch_execz .LBB307_16
; %bb.15:                               ;   in Loop: Header=BB307_14 Depth=1
	v_cndmask_b32_e64 v1, v1, v3, s[4:5]
	v_sub_f32_e32 v1, v1, v9
	v_mul_f32_e32 v3, 0x3fb8aa3b, v1
	v_fma_f32 v5, v1, s25, -v3
	v_rndne_f32_e32 v48, v3
	v_fmac_f32_e32 v5, 0x32a5705f, v1
	v_sub_f32_e32 v3, v3, v48
	v_add_f32_e32 v3, v3, v5
	v_exp_f32_e32 v3, v3
	v_cvt_i32_f32_e32 v5, v48
	v_cmp_le_i32_e64 s[4:5], s13, v47
	v_cmp_gt_i32_e64 s[6:7], s14, v47
	s_and_b64 s[6:7], s[4:5], s[6:7]
	v_ldexp_f32 v3, v3, v5
	v_cmp_ngt_f32_e64 s[4:5], s27, v1
	v_ashrrev_i32_e32 v5, 31, v4
	v_cndmask_b32_e64 v3, 0, v3, s[4:5]
	v_cmp_nlt_f32_e64 s[4:5], s28, v1
	v_lshlrev_b64 v[48:49], 2, v[4:5]
	v_cndmask_b32_e64 v50, v45, v3, s[4:5]
	v_mov_b32_e32 v1, s21
	v_add_co_u32_e64 v48, s[4:5], s20, v48
	v_addc_co_u32_e64 v49, s[4:5], v1, v49, s[4:5]
	v_ashrrev_i32_e32 v3, 31, v2
	global_store_dword v[48:49], v50, off
	v_subrev_u32_e32 v1, s13, v47
	s_and_b64 s[4:5], s[22:23], s[6:7]
	v_lshlrev_b64 v[48:49], 2, v[2:3]
	v_cndmask_b32_e64 v1, v46, v1, s[4:5]
	s_waitcnt lgkmcnt(0)
	v_mov_b32_e32 v3, s17
	v_add_co_u32_e64 v48, s[4:5], s16, v48
	v_addc_co_u32_e64 v49, s[4:5], v3, v49, s[4:5]
	global_store_dword v[48:49], v1, off
	v_ashrrev_i32_e32 v1, 31, v0
	v_lshlrev_b64 v[48:49], 2, v[0:1]
	v_mov_b32_e32 v1, s19
	v_add_co_u32_e64 v48, s[4:5], s18, v48
	v_addc_co_u32_e64 v49, s[4:5], v1, v49, s[4:5]
	v_add_f32_e32 v8, v8, v50
	global_store_dword v[48:49], v42, off
.LBB307_16:                             ;   in Loop: Header=BB307_14 Depth=1
	s_or_b64 exec, exec, s[8:9]
	v_ashrrev_i32_e32 v3, 31, v47
	v_lshrrev_b32_e32 v1, 27, v3
	v_add_u32_e32 v1, v47, v1
	v_ashrrev_i32_e32 v1, 5, v1
	v_lshrrev_b32_e32 v5, 28, v1
	v_add_u32_e32 v5, v1, v5
	v_and_b32_e32 v5, -16, v5
	v_sub_u32_e32 v5, v1, v5
	v_cmp_eq_u32_e64 s[4:5], v7, v5
	s_and_saveexec_b64 s[6:7], s[4:5]
	s_cbranch_execz .LBB307_13
; %bb.17:                               ;   in Loop: Header=BB307_14 Depth=1
	v_lshrrev_b32_e32 v3, 23, v3
	v_add_u32_e32 v3, v47, v3
	v_lshlrev_b32_e32 v1, 5, v1
	v_ashrrev_i32_e32 v3, 9, v3
	v_sub_u32_e32 v1, v47, v1
	v_lshl_add_u32 v1, v3, 5, v1
	v_lshl_add_u32 v1, v1, 2, v43
	buffer_store_dword v44, v1, s[0:3], 0 offen
	s_branch .LBB307_13
.LBB307_18:
	buffer_load_dword v1, off, s[0:3], 0 offset:92
	buffer_load_dword v0, off, s[0:3], 0 offset:96
.LBB307_19:
	buffer_load_dword v3, off, s[0:3], 0
	buffer_load_dword v4, off, s[0:3], 0 offset:4
	buffer_load_dword v5, off, s[0:3], 0 offset:8
	buffer_load_dword v10, off, s[0:3], 0 offset:12
	buffer_load_dword v11, off, s[0:3], 0 offset:16
	buffer_load_dword v12, off, s[0:3], 0 offset:20
	buffer_load_dword v13, off, s[0:3], 0 offset:24
	buffer_load_dword v14, off, s[0:3], 0 offset:28
	buffer_load_dword v15, off, s[0:3], 0 offset:32
	buffer_load_dword v16, off, s[0:3], 0 offset:36
	buffer_load_dword v17, off, s[0:3], 0 offset:40
	buffer_load_dword v18, off, s[0:3], 0 offset:44
	buffer_load_dword v19, off, s[0:3], 0 offset:48
	buffer_load_dword v20, off, s[0:3], 0 offset:52
	buffer_load_dword v21, off, s[0:3], 0 offset:56
	buffer_load_dword v22, off, s[0:3], 0 offset:60
	s_mov_b32 s5, 0x3fb8aa3b
	s_mov_b32 s4, 0xc2ce8ed0
	;; [unrolled: 1-line block ×3, first 2 shown]
	v_mov_b32_e32 v2, 0x7f800000
	s_waitcnt vmcnt(17)
	v_sub_f32_e32 v1, v1, v9
	s_waitcnt vmcnt(16)
	v_sub_f32_e32 v0, v0, v9
	;; [unrolled: 2-line block ×4, first 2 shown]
	v_mul_f32_e32 v23, 0x3fb8aa3b, v3
	s_waitcnt vmcnt(13)
	v_sub_f32_e32 v5, v5, v9
	v_mul_f32_e32 v24, 0x3fb8aa3b, v4
	v_fma_f32 v29, v3, s5, -v23
	v_rndne_f32_e32 v30, v23
	s_waitcnt vmcnt(12)
	v_sub_f32_e32 v10, v10, v9
	v_mul_f32_e32 v25, 0x3fb8aa3b, v5
	v_fma_f32 v31, v4, s5, -v24
	v_rndne_f32_e32 v32, v24
	v_fmac_f32_e32 v29, 0x32a5705f, v3
	v_sub_f32_e32 v23, v23, v30
	s_waitcnt vmcnt(11)
	v_sub_f32_e32 v11, v11, v9
	v_mul_f32_e32 v26, 0x3fb8aa3b, v10
	v_fma_f32 v33, v5, s5, -v25
	v_rndne_f32_e32 v34, v25
	v_fmac_f32_e32 v31, 0x32a5705f, v4
	v_sub_f32_e32 v24, v24, v32
	v_add_f32_e32 v23, v23, v29
	v_mul_f32_e32 v27, 0x3fb8aa3b, v11
	v_fma_f32 v35, v10, s5, -v26
	v_rndne_f32_e32 v36, v26
	v_cvt_i32_f32_e32 v30, v30
	v_fmac_f32_e32 v33, 0x32a5705f, v5
	v_sub_f32_e32 v25, v25, v34
	v_add_f32_e32 v24, v24, v31
	v_exp_f32_e32 v23, v23
	v_fma_f32 v37, v11, s5, -v27
	v_rndne_f32_e32 v38, v27
	v_cvt_i32_f32_e32 v32, v32
	v_fmac_f32_e32 v35, 0x32a5705f, v10
	v_sub_f32_e32 v26, v26, v36
	v_add_f32_e32 v25, v25, v33
	v_exp_f32_e32 v24, v24
	v_cvt_i32_f32_e32 v34, v34
	v_fmac_f32_e32 v37, 0x32a5705f, v11
	v_sub_f32_e32 v27, v27, v38
	v_add_f32_e32 v26, v26, v35
	v_exp_f32_e32 v25, v25
	v_cvt_i32_f32_e32 v36, v36
	v_add_f32_e32 v27, v27, v37
	v_exp_f32_e32 v26, v26
	v_cvt_i32_f32_e32 v38, v38
	v_exp_f32_e32 v27, v27
	v_ldexp_f32 v23, v23, v30
	v_cmp_ngt_f32_e32 vcc, s4, v3
	v_ldexp_f32 v24, v24, v32
	v_cndmask_b32_e32 v23, 0, v23, vcc
	v_cmp_ngt_f32_e32 vcc, s4, v4
	v_ldexp_f32 v25, v25, v34
	v_cndmask_b32_e32 v24, 0, v24, vcc
	;; [unrolled: 3-line block ×4, first 2 shown]
	v_cmp_ngt_f32_e32 vcc, s4, v11
	v_cndmask_b32_e32 v27, 0, v27, vcc
	v_cmp_nlt_f32_e32 vcc, s6, v3
	s_waitcnt vmcnt(10)
	v_sub_f32_e32 v12, v12, v9
	v_cndmask_b32_e32 v3, v2, v23, vcc
	v_cmp_nlt_f32_e32 vcc, s6, v4
	v_mul_f32_e32 v28, 0x3fb8aa3b, v12
	v_cndmask_b32_e32 v4, v2, v24, vcc
	v_cmp_nlt_f32_e32 vcc, s6, v5
	v_fma_f32 v39, v12, s5, -v28
	v_cndmask_b32_e32 v5, v2, v25, vcc
	v_add_f32_e32 v3, v3, v4
	v_rndne_f32_e32 v4, v28
	v_fmac_f32_e32 v39, 0x32a5705f, v12
	v_add_f32_e32 v3, v3, v5
	v_sub_f32_e32 v5, v28, v4
	v_add_f32_e32 v5, v5, v39
	v_exp_f32_e32 v5, v5
	v_cvt_i32_f32_e32 v4, v4
	v_cmp_nlt_f32_e32 vcc, s6, v10
	v_cndmask_b32_e32 v10, v2, v26, vcc
	v_cmp_nlt_f32_e32 vcc, s6, v11
	v_add_f32_e32 v3, v3, v10
	v_cndmask_b32_e32 v10, v2, v27, vcc
	v_ldexp_f32 v4, v5, v4
	s_waitcnt vmcnt(9)
	v_sub_f32_e32 v5, v13, v9
	v_add_f32_e32 v3, v3, v10
	v_mul_f32_e32 v10, 0x3fb8aa3b, v5
	v_fma_f32 v11, v5, s5, -v10
	v_rndne_f32_e32 v13, v10
	v_fmac_f32_e32 v11, 0x32a5705f, v5
	v_sub_f32_e32 v10, v10, v13
	v_add_f32_e32 v10, v10, v11
	v_exp_f32_e32 v10, v10
	v_cvt_i32_f32_e32 v11, v13
	v_cmp_ngt_f32_e32 vcc, s4, v12
	v_cndmask_b32_e32 v4, 0, v4, vcc
	v_cmp_nlt_f32_e32 vcc, s6, v12
	v_cndmask_b32_e32 v4, v2, v4, vcc
	v_add_f32_e32 v3, v3, v4
	v_ldexp_f32 v4, v10, v11
	s_waitcnt vmcnt(8)
	v_sub_f32_e32 v10, v14, v9
	v_mul_f32_e32 v11, 0x3fb8aa3b, v10
	v_fma_f32 v12, v10, s5, -v11
	v_rndne_f32_e32 v13, v11
	v_fmac_f32_e32 v12, 0x32a5705f, v10
	v_sub_f32_e32 v11, v11, v13
	v_add_f32_e32 v11, v11, v12
	v_exp_f32_e32 v11, v11
	v_cvt_i32_f32_e32 v12, v13
	v_cmp_ngt_f32_e32 vcc, s4, v5
	v_cndmask_b32_e32 v4, 0, v4, vcc
	v_cmp_nlt_f32_e32 vcc, s6, v5
	v_cndmask_b32_e32 v4, v2, v4, vcc
	s_waitcnt vmcnt(7)
	v_sub_f32_e32 v5, v15, v9
	v_add_f32_e32 v3, v3, v4
	v_ldexp_f32 v4, v11, v12
	v_mul_f32_e32 v11, 0x3fb8aa3b, v5
	v_fma_f32 v12, v5, s5, -v11
	v_rndne_f32_e32 v13, v11
	v_fmac_f32_e32 v12, 0x32a5705f, v5
	v_sub_f32_e32 v11, v11, v13
	v_add_f32_e32 v11, v11, v12
	v_exp_f32_e32 v11, v11
	v_cvt_i32_f32_e32 v12, v13
	v_cmp_ngt_f32_e32 vcc, s4, v10
	v_cndmask_b32_e32 v4, 0, v4, vcc
	v_cmp_nlt_f32_e32 vcc, s6, v10
	v_cndmask_b32_e32 v4, v2, v4, vcc
	s_waitcnt vmcnt(6)
	v_sub_f32_e32 v10, v16, v9
	v_add_f32_e32 v3, v3, v4
	v_ldexp_f32 v4, v11, v12
	v_mul_f32_e32 v11, 0x3fb8aa3b, v10
	v_fma_f32 v12, v10, s5, -v11
	v_rndne_f32_e32 v13, v11
	v_fmac_f32_e32 v12, 0x32a5705f, v10
	v_sub_f32_e32 v11, v11, v13
	v_add_f32_e32 v11, v11, v12
	v_exp_f32_e32 v11, v11
	v_cvt_i32_f32_e32 v12, v13
	v_cmp_ngt_f32_e32 vcc, s4, v5
	v_cndmask_b32_e32 v4, 0, v4, vcc
	v_cmp_nlt_f32_e32 vcc, s6, v5
	v_cndmask_b32_e32 v4, v2, v4, vcc
	s_waitcnt vmcnt(5)
	v_sub_f32_e32 v5, v17, v9
	v_add_f32_e32 v3, v3, v4
	v_ldexp_f32 v4, v11, v12
	v_mul_f32_e32 v11, 0x3fb8aa3b, v5
	v_fma_f32 v12, v5, s5, -v11
	v_rndne_f32_e32 v13, v11
	v_fmac_f32_e32 v12, 0x32a5705f, v5
	v_sub_f32_e32 v11, v11, v13
	v_add_f32_e32 v11, v11, v12
	v_exp_f32_e32 v11, v11
	v_cvt_i32_f32_e32 v12, v13
	v_cmp_ngt_f32_e32 vcc, s4, v10
	v_cndmask_b32_e32 v4, 0, v4, vcc
	v_cmp_nlt_f32_e32 vcc, s6, v10
	v_cndmask_b32_e32 v4, v2, v4, vcc
	s_waitcnt vmcnt(4)
	v_sub_f32_e32 v10, v18, v9
	v_add_f32_e32 v3, v3, v4
	v_ldexp_f32 v4, v11, v12
	v_mul_f32_e32 v11, 0x3fb8aa3b, v10
	v_fma_f32 v12, v10, s5, -v11
	v_rndne_f32_e32 v14, v11
	buffer_load_dword v13, off, s[0:3], 0 offset:64
	v_fmac_f32_e32 v12, 0x32a5705f, v10
	v_sub_f32_e32 v11, v11, v14
	v_add_f32_e32 v11, v11, v12
	v_exp_f32_e32 v11, v11
	v_cvt_i32_f32_e32 v12, v14
	v_cmp_ngt_f32_e32 vcc, s4, v5
	v_cndmask_b32_e32 v4, 0, v4, vcc
	v_cmp_nlt_f32_e32 vcc, s6, v5
	v_cndmask_b32_e32 v4, v2, v4, vcc
	s_waitcnt vmcnt(4)
	v_sub_f32_e32 v5, v19, v9
	v_add_f32_e32 v3, v3, v4
	v_ldexp_f32 v4, v11, v12
	buffer_load_dword v12, off, s[0:3], 0 offset:68
	v_mul_f32_e32 v11, 0x3fb8aa3b, v5
	v_fma_f32 v14, v5, s5, -v11
	v_rndne_f32_e32 v15, v11
	v_fmac_f32_e32 v14, 0x32a5705f, v5
	v_sub_f32_e32 v11, v11, v15
	v_add_f32_e32 v11, v11, v14
	v_exp_f32_e32 v11, v11
	v_cvt_i32_f32_e32 v14, v15
	v_cmp_ngt_f32_e32 vcc, s4, v10
	v_cndmask_b32_e32 v4, 0, v4, vcc
	v_cmp_nlt_f32_e32 vcc, s6, v10
	v_cndmask_b32_e32 v4, v2, v4, vcc
	v_add_f32_e32 v3, v3, v4
	v_ldexp_f32 v4, v11, v14
	buffer_load_dword v11, off, s[0:3], 0 offset:72
	s_waitcnt vmcnt(5)
	v_sub_f32_e32 v10, v20, v9
	v_mul_f32_e32 v14, 0x3fb8aa3b, v10
	v_cmp_ngt_f32_e32 vcc, s4, v5
	v_fma_f32 v15, v10, s5, -v14
	v_rndne_f32_e32 v16, v14
	v_cndmask_b32_e32 v4, 0, v4, vcc
	v_fmac_f32_e32 v15, 0x32a5705f, v10
	v_sub_f32_e32 v14, v14, v16
	v_cmp_nlt_f32_e32 vcc, s6, v5
	buffer_load_dword v5, off, s[0:3], 0 offset:76
	v_add_f32_e32 v14, v14, v15
	v_exp_f32_e32 v14, v14
	v_cvt_i32_f32_e32 v15, v16
	v_cndmask_b32_e32 v4, v2, v4, vcc
	v_add_f32_e32 v3, v3, v4
	v_cmp_ngt_f32_e32 vcc, s4, v10
	v_ldexp_f32 v4, v14, v15
	s_waitcnt vmcnt(5)
	v_sub_f32_e32 v14, v21, v9
	v_cndmask_b32_e32 v4, 0, v4, vcc
	v_mul_f32_e32 v15, 0x3fb8aa3b, v14
	v_cmp_nlt_f32_e32 vcc, s6, v10
	buffer_load_dword v10, off, s[0:3], 0 offset:80
	v_fma_f32 v16, v14, s5, -v15
	v_rndne_f32_e32 v17, v15
	v_fmac_f32_e32 v16, 0x32a5705f, v14
	v_sub_f32_e32 v15, v15, v17
	v_add_f32_e32 v15, v15, v16
	v_exp_f32_e32 v15, v15
	v_cvt_i32_f32_e32 v16, v17
	v_cndmask_b32_e32 v4, v2, v4, vcc
	v_add_f32_e32 v3, v3, v4
	v_cmp_ngt_f32_e32 vcc, s4, v14
	v_ldexp_f32 v4, v15, v16
	v_cndmask_b32_e32 v4, 0, v4, vcc
	v_cmp_nlt_f32_e32 vcc, s6, v14
	buffer_load_dword v14, off, s[0:3], 0 offset:84
	s_waitcnt vmcnt(6)
	v_sub_f32_e32 v15, v22, v9
	v_mul_f32_e32 v16, 0x3fb8aa3b, v15
	v_fma_f32 v17, v15, s5, -v16
	v_rndne_f32_e32 v18, v16
	v_fmac_f32_e32 v17, 0x32a5705f, v15
	v_sub_f32_e32 v16, v16, v18
	v_add_f32_e32 v16, v16, v17
	v_exp_f32_e32 v16, v16
	v_cvt_i32_f32_e32 v17, v18
	v_cndmask_b32_e32 v4, v2, v4, vcc
	v_add_f32_e32 v3, v3, v4
	v_cmp_ngt_f32_e32 vcc, s4, v15
	v_ldexp_f32 v4, v16, v17
	buffer_load_dword v16, off, s[0:3], 0 offset:88
	buffer_load_dword v17, off, s[0:3], 0 offset:100
	v_cndmask_b32_e32 v4, 0, v4, vcc
	s_waitcnt vmcnt(7)
	v_sub_f32_e32 v13, v13, v9
	v_mul_f32_e32 v18, 0x3fb8aa3b, v13
	v_fma_f32 v19, v13, s5, -v18
	v_rndne_f32_e32 v20, v18
	v_fmac_f32_e32 v19, 0x32a5705f, v13
	v_sub_f32_e32 v18, v18, v20
	v_add_f32_e32 v18, v18, v19
	v_exp_f32_e32 v18, v18
	v_cvt_i32_f32_e32 v19, v20
	v_cmp_nlt_f32_e32 vcc, s6, v15
	v_cndmask_b32_e32 v4, v2, v4, vcc
	v_add_f32_e32 v3, v3, v4
	v_ldexp_f32 v4, v18, v19
	s_waitcnt vmcnt(6)
	v_sub_f32_e32 v12, v12, v9
	v_mul_f32_e32 v15, 0x3fb8aa3b, v12
	v_fma_f32 v18, v12, s5, -v15
	v_rndne_f32_e32 v19, v15
	v_fmac_f32_e32 v18, 0x32a5705f, v12
	v_sub_f32_e32 v15, v15, v19
	v_add_f32_e32 v15, v15, v18
	v_exp_f32_e32 v15, v15
	v_cvt_i32_f32_e32 v18, v19
	v_cmp_ngt_f32_e32 vcc, s4, v13
	v_cndmask_b32_e32 v4, 0, v4, vcc
	v_cmp_nlt_f32_e32 vcc, s6, v13
	v_cndmask_b32_e32 v4, v2, v4, vcc
	v_add_f32_e32 v3, v3, v4
	v_ldexp_f32 v4, v15, v18
	s_waitcnt vmcnt(5)
	v_sub_f32_e32 v11, v11, v9
	v_mul_f32_e32 v13, 0x3fb8aa3b, v11
	v_fma_f32 v15, v11, s5, -v13
	v_rndne_f32_e32 v18, v13
	v_fmac_f32_e32 v15, 0x32a5705f, v11
	v_sub_f32_e32 v13, v13, v18
	v_add_f32_e32 v13, v13, v15
	v_exp_f32_e32 v13, v13
	v_cvt_i32_f32_e32 v15, v18
	v_cmp_ngt_f32_e32 vcc, s4, v12
	v_cndmask_b32_e32 v4, 0, v4, vcc
	v_cmp_nlt_f32_e32 vcc, s6, v12
	s_waitcnt vmcnt(4)
	v_sub_f32_e32 v5, v5, v9
	v_cndmask_b32_e32 v4, v2, v4, vcc
	v_mul_f32_e32 v12, 0x3fb8aa3b, v5
	v_add_f32_e32 v3, v3, v4
	v_ldexp_f32 v4, v13, v15
	v_fma_f32 v13, v5, s5, -v12
	v_rndne_f32_e32 v15, v12
	v_fmac_f32_e32 v13, 0x32a5705f, v5
	v_sub_f32_e32 v12, v12, v15
	v_add_f32_e32 v12, v12, v13
	v_exp_f32_e32 v12, v12
	v_cvt_i32_f32_e32 v13, v15
	v_cmp_ngt_f32_e32 vcc, s4, v11
	v_cndmask_b32_e32 v4, 0, v4, vcc
	v_cmp_nlt_f32_e32 vcc, s6, v11
	s_waitcnt vmcnt(3)
	v_sub_f32_e32 v10, v10, v9
	v_cndmask_b32_e32 v4, v2, v4, vcc
	v_mul_f32_e32 v11, 0x3fb8aa3b, v10
	v_add_f32_e32 v3, v3, v4
	v_ldexp_f32 v4, v12, v13
	v_fma_f32 v12, v10, s5, -v11
	v_rndne_f32_e32 v13, v11
	v_fmac_f32_e32 v12, 0x32a5705f, v10
	v_sub_f32_e32 v11, v11, v13
	v_add_f32_e32 v11, v11, v12
	v_exp_f32_e32 v11, v11
	v_cvt_i32_f32_e32 v12, v13
	v_cmp_ngt_f32_e32 vcc, s4, v5
	v_cndmask_b32_e32 v4, 0, v4, vcc
	v_cmp_nlt_f32_e32 vcc, s6, v5
	v_cndmask_b32_e32 v4, v2, v4, vcc
	v_add_f32_e32 v3, v3, v4
	v_ldexp_f32 v4, v11, v12
	s_waitcnt vmcnt(2)
	v_sub_f32_e32 v5, v14, v9
	buffer_load_dword v11, off, s[0:3], 0 offset:104
	v_mul_f32_e32 v12, 0x3fb8aa3b, v5
	v_fma_f32 v13, v5, s5, -v12
	v_rndne_f32_e32 v14, v12
	v_fmac_f32_e32 v13, 0x32a5705f, v5
	v_sub_f32_e32 v12, v12, v14
	v_add_f32_e32 v12, v12, v13
	v_exp_f32_e32 v12, v12
	v_cvt_i32_f32_e32 v13, v14
	v_cmp_ngt_f32_e32 vcc, s4, v10
	v_cndmask_b32_e32 v4, 0, v4, vcc
	v_cmp_nlt_f32_e32 vcc, s6, v10
	buffer_load_dword v10, off, s[0:3], 0 offset:108
	v_cndmask_b32_e32 v4, v2, v4, vcc
	v_add_f32_e32 v3, v3, v4
	v_ldexp_f32 v4, v12, v13
	s_waitcnt vmcnt(3)
	v_sub_f32_e32 v12, v16, v9
	v_mul_f32_e32 v13, 0x3fb8aa3b, v12
	v_fma_f32 v14, v12, s5, -v13
	v_rndne_f32_e32 v15, v13
	v_fmac_f32_e32 v14, 0x32a5705f, v12
	v_sub_f32_e32 v13, v13, v15
	v_cmp_ngt_f32_e32 vcc, s4, v5
	v_add_f32_e32 v13, v13, v14
	v_cndmask_b32_e32 v4, 0, v4, vcc
	v_exp_f32_e32 v13, v13
	v_cvt_i32_f32_e32 v14, v15
	v_cmp_nlt_f32_e32 vcc, s6, v5
	buffer_load_dword v5, off, s[0:3], 0 offset:112
	v_cndmask_b32_e32 v4, v2, v4, vcc
	v_add_f32_e32 v3, v3, v4
	v_ldexp_f32 v4, v13, v14
	v_mul_f32_e32 v13, 0x3fb8aa3b, v1
	v_fma_f32 v14, v1, s5, -v13
	v_rndne_f32_e32 v15, v13
	v_fmac_f32_e32 v14, 0x32a5705f, v1
	v_sub_f32_e32 v13, v13, v15
	v_cmp_ngt_f32_e32 vcc, s4, v12
	v_add_f32_e32 v13, v13, v14
	v_cndmask_b32_e32 v4, 0, v4, vcc
	v_exp_f32_e32 v13, v13
	v_cvt_i32_f32_e32 v14, v15
	v_cmp_nlt_f32_e32 vcc, s6, v12
	buffer_load_dword v12, off, s[0:3], 0 offset:116
	v_cndmask_b32_e32 v4, v2, v4, vcc
	v_add_f32_e32 v3, v3, v4
	v_ldexp_f32 v4, v13, v14
	v_cmp_ngt_f32_e32 vcc, s4, v1
	v_cndmask_b32_e32 v4, 0, v4, vcc
	v_mul_f32_e32 v13, 0x3fb8aa3b, v0
	v_cmp_nlt_f32_e32 vcc, s6, v1
	v_fma_f32 v14, v0, s5, -v13
	v_rndne_f32_e32 v15, v13
	v_cndmask_b32_e32 v1, v2, v4, vcc
	v_fmac_f32_e32 v14, 0x32a5705f, v0
	v_sub_f32_e32 v13, v13, v15
	v_add_f32_e32 v1, v3, v1
	buffer_load_dword v3, off, s[0:3], 0 offset:120
	v_add_f32_e32 v13, v13, v14
	v_exp_f32_e32 v13, v13
	v_cvt_i32_f32_e32 v14, v15
	v_cmp_ngt_f32_e32 vcc, s4, v0
	v_ldexp_f32 v4, v13, v14
	v_cndmask_b32_e32 v4, 0, v4, vcc
	v_cmp_nlt_f32_e32 vcc, s6, v0
	v_cndmask_b32_e32 v0, v2, v4, vcc
	buffer_load_dword v4, off, s[0:3], 0 offset:124
	s_waitcnt vmcnt(6)
	v_sub_f32_e32 v13, v17, v9
	v_mul_f32_e32 v14, 0x3fb8aa3b, v13
	v_fma_f32 v15, v13, s5, -v14
	v_rndne_f32_e32 v16, v14
	v_fmac_f32_e32 v15, 0x32a5705f, v13
	v_sub_f32_e32 v14, v14, v16
	v_add_f32_e32 v14, v14, v15
	v_exp_f32_e32 v14, v14
	v_cvt_i32_f32_e32 v15, v16
	v_add_f32_e32 v0, v1, v0
	v_cmp_ngt_f32_e32 vcc, s4, v13
	s_waitcnt vmcnt(5)
	v_sub_f32_e32 v11, v11, v9
	v_ldexp_f32 v1, v14, v15
	v_mul_f32_e32 v14, 0x3fb8aa3b, v11
	v_fma_f32 v15, v11, s5, -v14
	v_rndne_f32_e32 v16, v14
	v_fmac_f32_e32 v15, 0x32a5705f, v11
	v_sub_f32_e32 v14, v14, v16
	v_add_f32_e32 v14, v14, v15
	v_exp_f32_e32 v14, v14
	v_cvt_i32_f32_e32 v15, v16
	v_cndmask_b32_e32 v1, 0, v1, vcc
	v_cmp_nlt_f32_e32 vcc, s6, v13
	s_waitcnt vmcnt(4)
	v_sub_f32_e32 v10, v10, v9
	v_cndmask_b32_e32 v1, v2, v1, vcc
	v_mul_f32_e32 v13, 0x3fb8aa3b, v10
	v_add_f32_e32 v0, v0, v1
	v_ldexp_f32 v1, v14, v15
	v_fma_f32 v14, v10, s5, -v13
	v_rndne_f32_e32 v15, v13
	v_fmac_f32_e32 v14, 0x32a5705f, v10
	v_sub_f32_e32 v13, v13, v15
	v_add_f32_e32 v13, v13, v14
	v_exp_f32_e32 v13, v13
	v_cvt_i32_f32_e32 v14, v15
	v_cmp_ngt_f32_e32 vcc, s4, v11
	v_cndmask_b32_e32 v1, 0, v1, vcc
	v_cmp_nlt_f32_e32 vcc, s6, v11
	v_cndmask_b32_e32 v1, v2, v1, vcc
	s_waitcnt vmcnt(3)
	v_sub_f32_e32 v5, v5, v9
	v_mul_f32_e32 v11, 0x3fb8aa3b, v5
	v_add_f32_e32 v0, v0, v1
	v_ldexp_f32 v1, v13, v14
	v_fma_f32 v13, v5, s5, -v11
	v_rndne_f32_e32 v14, v11
	v_fmac_f32_e32 v13, 0x32a5705f, v5
	v_sub_f32_e32 v11, v11, v14
	v_add_f32_e32 v11, v11, v13
	v_exp_f32_e32 v11, v11
	v_cvt_i32_f32_e32 v13, v14
	v_cmp_ngt_f32_e32 vcc, s4, v10
	v_cndmask_b32_e32 v1, 0, v1, vcc
	v_cmp_nlt_f32_e32 vcc, s6, v10
	v_cndmask_b32_e32 v1, v2, v1, vcc
	s_waitcnt vmcnt(2)
	v_sub_f32_e32 v10, v12, v9
	v_add_f32_e32 v0, v0, v1
	v_ldexp_f32 v1, v11, v13
	v_mul_f32_e32 v11, 0x3fb8aa3b, v10
	v_fma_f32 v12, v10, s5, -v11
	v_rndne_f32_e32 v13, v11
	v_fmac_f32_e32 v12, 0x32a5705f, v10
	v_sub_f32_e32 v11, v11, v13
	v_add_f32_e32 v11, v11, v12
	v_exp_f32_e32 v11, v11
	v_cvt_i32_f32_e32 v12, v13
	v_cmp_ngt_f32_e32 vcc, s4, v5
	v_cndmask_b32_e32 v1, 0, v1, vcc
	v_cmp_nlt_f32_e32 vcc, s6, v5
	s_waitcnt vmcnt(1)
	v_sub_f32_e32 v3, v3, v9
	v_cndmask_b32_e32 v1, v2, v1, vcc
	v_mul_f32_e32 v5, 0x3fb8aa3b, v3
	v_add_f32_e32 v0, v0, v1
	v_ldexp_f32 v1, v11, v12
	v_fma_f32 v11, v3, s5, -v5
	v_rndne_f32_e32 v12, v5
	v_fmac_f32_e32 v11, 0x32a5705f, v3
	v_sub_f32_e32 v5, v5, v12
	v_add_f32_e32 v5, v5, v11
	v_exp_f32_e32 v5, v5
	v_cvt_i32_f32_e32 v11, v12
	v_cmp_ngt_f32_e32 vcc, s4, v10
	v_cndmask_b32_e32 v1, 0, v1, vcc
	v_cmp_nlt_f32_e32 vcc, s6, v10
	v_cndmask_b32_e32 v1, v2, v1, vcc
	s_waitcnt vmcnt(0)
	v_sub_f32_e32 v4, v4, v9
	v_add_f32_e32 v0, v0, v1
	v_ldexp_f32 v1, v5, v11
	v_mul_f32_e32 v5, 0x3fb8aa3b, v4
	v_fma_f32 v9, v4, s5, -v5
	v_rndne_f32_e32 v10, v5
	v_fmac_f32_e32 v9, 0x32a5705f, v4
	v_sub_f32_e32 v5, v5, v10
	v_add_f32_e32 v5, v5, v9
	v_exp_f32_e32 v5, v5
	v_cvt_i32_f32_e32 v9, v10
	v_cmp_ngt_f32_e32 vcc, s4, v3
	v_cndmask_b32_e32 v1, 0, v1, vcc
	v_cmp_nlt_f32_e32 vcc, s6, v3
	v_cndmask_b32_e32 v1, v2, v1, vcc
	v_add_f32_e32 v0, v0, v1
	v_ldexp_f32 v1, v5, v9
	v_cmp_ngt_f32_e32 vcc, s4, v4
	v_cndmask_b32_e32 v1, 0, v1, vcc
	v_cmp_nlt_f32_e32 vcc, s6, v4
	v_cndmask_b32_e32 v1, v2, v1, vcc
	v_add_f32_e32 v0, v0, v1
	v_cmp_eq_u32_e32 vcc, 0, v7
	s_nop 0
	v_mov_b32_dpp v1, v0 quad_perm:[1,0,3,2] row_mask:0xf bank_mask:0xf
	v_add_f32_e32 v0, v0, v1
	s_nop 1
	v_mov_b32_dpp v1, v0 quad_perm:[2,3,0,1] row_mask:0xf bank_mask:0xf
	v_add_f32_e32 v0, v0, v1
	s_nop 1
	v_mov_b32_dpp v1, v0 row_half_mirror row_mask:0xf bank_mask:0xf
	v_add_f32_e32 v0, v0, v1
	s_nop 1
	v_mov_b32_dpp v1, v0 row_mirror row_mask:0xf bank_mask:0xf
	s_and_b64 exec, exec, vcc
	s_cbranch_execz .LBB307_32
; %bb.20:
	v_add_f32_e32 v0, v0, v1
	v_add_f32_e32 v0, v8, v0
	v_cmp_neq_f32_e32 vcc, 0, v0
	s_and_b64 exec, exec, vcc
	s_cbranch_execz .LBB307_32
; %bb.21:
	s_andn2_b64 vcc, exec, s[10:11]
	s_cbranch_vccnz .LBB307_32
; %bb.22:
	v_div_scale_f32 v1, s[4:5], v0, v0, 1.0
	v_rcp_f32_e32 v2, v1
	v_div_scale_f32 v3, vcc, 1.0, v0, 1.0
	s_cmp_gt_u32 s12, 3
	v_fma_f32 v4, -v1, v2, 1.0
	v_fmac_f32_e32 v2, v4, v2
	v_mul_f32_e32 v4, v3, v2
	v_fma_f32 v5, -v1, v4, v3
	v_fmac_f32_e32 v4, v5, v2
	v_fma_f32 v1, -v1, v4, v3
	v_div_fmas_f32 v1, v1, v2, v4
	v_mul_lo_u32 v2, v6, s15
	v_div_fixup_f32 v0, v1, v0, 1.0
	v_ashrrev_i32_e32 v3, 31, v2
	s_cbranch_scc0 .LBB307_26
; %bb.23:
	v_lshlrev_b64 v[4:5], 2, v[2:3]
	v_mov_b32_e32 v6, s21
	v_add_co_u32_e32 v4, vcc, s20, v4
	v_addc_co_u32_e32 v5, vcc, v5, v6, vcc
	s_and_b32 s8, s12, 0x7ffffffc
	v_add_co_u32_e32 v4, vcc, 8, v4
	v_mov_b32_e32 v1, v0
	v_addc_co_u32_e32 v5, vcc, 0, v5, vcc
	s_mov_b32 s4, s8
.LBB307_24:                             ; =>This Inner Loop Header: Depth=1
	global_load_dwordx4 v[6:9], v[4:5], off offset:-8
	s_add_i32 s4, s4, -4
	s_cmp_lg_u32 s4, 0
	s_waitcnt vmcnt(0)
	v_pk_mul_f32 v[6:7], v[0:1], v[6:7]
	v_pk_mul_f32 v[8:9], v[0:1], v[8:9]
	global_store_dwordx4 v[4:5], v[6:9], off offset:-8
	v_add_co_u32_e32 v4, vcc, 16, v4
	v_addc_co_u32_e32 v5, vcc, 0, v5, vcc
	s_cbranch_scc1 .LBB307_24
; %bb.25:
	s_cmp_lg_u32 s8, s12
	s_mov_b64 s[6:7], 0
	s_cselect_b64 s[4:5], -1, 0
	s_branch .LBB307_27
.LBB307_26:
	s_mov_b64 s[6:7], -1
	s_mov_b64 s[4:5], 0
                                        ; implicit-def: $sgpr8
.LBB307_27:
	s_and_b64 vcc, exec, s[6:7]
	s_cbranch_vccz .LBB307_29
; %bb.28:
	s_mov_b64 s[4:5], -1
	s_mov_b32 s8, 0
.LBB307_29:
	s_andn2_b64 vcc, exec, s[4:5]
	s_cbranch_vccnz .LBB307_32
; %bb.30:
	v_add_co_u32_e32 v2, vcc, s8, v2
	v_addc_co_u32_e32 v3, vcc, 0, v3, vcc
	v_lshlrev_b64 v[2:3], 2, v[2:3]
	v_mov_b32_e32 v1, s21
	v_add_co_u32_e32 v2, vcc, s20, v2
	s_sub_i32 s4, s12, s8
	v_addc_co_u32_e32 v3, vcc, v1, v3, vcc
.LBB307_31:                             ; =>This Inner Loop Header: Depth=1
	global_load_dword v1, v[2:3], off
	s_add_i32 s4, s4, -1
	s_cmp_lg_u32 s4, 0
	s_waitcnt vmcnt(0)
	v_mul_f32_e32 v1, v0, v1
	global_store_dword v[2:3], v1, off
	v_add_co_u32_e32 v2, vcc, 4, v2
	v_addc_co_u32_e32 v3, vcc, 0, v3, vcc
	s_cbranch_scc1 .LBB307_31
.LBB307_32:
	s_endpgm
	.section	.rodata,"a",@progbits
	.p2align	6, 0x0
	.amdhsa_kernel _ZN4vllm3moe17topkGatingSoftmaxItLi32ELi512ELi2ELi64ELb0ELi8ELNS0_23SharedExpertScoringFuncE1EEEvPKT_PKbPfiPiS9_iiiiii
		.amdhsa_group_segment_fixed_size 0
		.amdhsa_private_segment_fixed_size 144
		.amdhsa_kernarg_size 72
		.amdhsa_user_sgpr_count 8
		.amdhsa_user_sgpr_private_segment_buffer 1
		.amdhsa_user_sgpr_dispatch_ptr 0
		.amdhsa_user_sgpr_queue_ptr 0
		.amdhsa_user_sgpr_kernarg_segment_ptr 1
		.amdhsa_user_sgpr_dispatch_id 0
		.amdhsa_user_sgpr_flat_scratch_init 1
		.amdhsa_user_sgpr_kernarg_preload_length 0
		.amdhsa_user_sgpr_kernarg_preload_offset 0
		.amdhsa_user_sgpr_private_segment_size 0
		.amdhsa_uses_dynamic_stack 0
		.amdhsa_system_sgpr_private_segment_wavefront_offset 1
		.amdhsa_system_sgpr_workgroup_id_x 1
		.amdhsa_system_sgpr_workgroup_id_y 0
		.amdhsa_system_sgpr_workgroup_id_z 0
		.amdhsa_system_sgpr_workgroup_info 0
		.amdhsa_system_vgpr_workitem_id 1
		.amdhsa_next_free_vgpr 61
		.amdhsa_next_free_sgpr 29
		.amdhsa_accum_offset 64
		.amdhsa_reserve_vcc 1
		.amdhsa_reserve_flat_scratch 0
		.amdhsa_float_round_mode_32 0
		.amdhsa_float_round_mode_16_64 0
		.amdhsa_float_denorm_mode_32 3
		.amdhsa_float_denorm_mode_16_64 3
		.amdhsa_dx10_clamp 1
		.amdhsa_ieee_mode 1
		.amdhsa_fp16_overflow 0
		.amdhsa_tg_split 0
		.amdhsa_exception_fp_ieee_invalid_op 0
		.amdhsa_exception_fp_denorm_src 0
		.amdhsa_exception_fp_ieee_div_zero 0
		.amdhsa_exception_fp_ieee_overflow 0
		.amdhsa_exception_fp_ieee_underflow 0
		.amdhsa_exception_fp_ieee_inexact 0
		.amdhsa_exception_int_div_zero 0
	.end_amdhsa_kernel
	.section	.text._ZN4vllm3moe17topkGatingSoftmaxItLi32ELi512ELi2ELi64ELb0ELi8ELNS0_23SharedExpertScoringFuncE1EEEvPKT_PKbPfiPiS9_iiiiii,"axG",@progbits,_ZN4vllm3moe17topkGatingSoftmaxItLi32ELi512ELi2ELi64ELb0ELi8ELNS0_23SharedExpertScoringFuncE1EEEvPKT_PKbPfiPiS9_iiiiii,comdat
.Lfunc_end307:
	.size	_ZN4vllm3moe17topkGatingSoftmaxItLi32ELi512ELi2ELi64ELb0ELi8ELNS0_23SharedExpertScoringFuncE1EEEvPKT_PKbPfiPiS9_iiiiii, .Lfunc_end307-_ZN4vllm3moe17topkGatingSoftmaxItLi32ELi512ELi2ELi64ELb0ELi8ELNS0_23SharedExpertScoringFuncE1EEEvPKT_PKbPfiPiS9_iiiiii
                                        ; -- End function
	.section	.AMDGPU.csdata,"",@progbits
; Kernel info:
; codeLenInByte = 7520
; NumSgprs: 33
; NumVgprs: 61
; NumAgprs: 0
; TotalNumVgprs: 61
; ScratchSize: 144
; MemoryBound: 0
; FloatMode: 240
; IeeeMode: 1
; LDSByteSize: 0 bytes/workgroup (compile time only)
; SGPRBlocks: 4
; VGPRBlocks: 7
; NumSGPRsForWavesPerEU: 33
; NumVGPRsForWavesPerEU: 61
; AccumOffset: 64
; Occupancy: 8
; WaveLimiterHint : 0
; COMPUTE_PGM_RSRC2:SCRATCH_EN: 1
; COMPUTE_PGM_RSRC2:USER_SGPR: 8
; COMPUTE_PGM_RSRC2:TRAP_HANDLER: 0
; COMPUTE_PGM_RSRC2:TGID_X_EN: 1
; COMPUTE_PGM_RSRC2:TGID_Y_EN: 0
; COMPUTE_PGM_RSRC2:TGID_Z_EN: 0
; COMPUTE_PGM_RSRC2:TIDIG_COMP_CNT: 1
; COMPUTE_PGM_RSRC3_GFX90A:ACCUM_OFFSET: 15
; COMPUTE_PGM_RSRC3_GFX90A:TG_SPLIT: 0
	.section	.text._ZN4vllm3moe10moeSoftmaxItLi256EEEvPKT_PKbPfi,"axG",@progbits,_ZN4vllm3moe10moeSoftmaxItLi256EEEvPKT_PKbPfi,comdat
	.protected	_ZN4vllm3moe10moeSoftmaxItLi256EEEvPKT_PKbPfi ; -- Begin function _ZN4vllm3moe10moeSoftmaxItLi256EEEvPKT_PKbPfi
	.globl	_ZN4vllm3moe10moeSoftmaxItLi256EEEvPKT_PKbPfi
	.p2align	8
	.type	_ZN4vllm3moe10moeSoftmaxItLi256EEEvPKT_PKbPfi,@function
_ZN4vllm3moe10moeSoftmaxItLi256EEEvPKT_PKbPfi: ; @_ZN4vllm3moe10moeSoftmaxItLi256EEEvPKT_PKbPfi
; %bb.0:
	s_load_dwordx4 s[8:11], s[4:5], 0x0
	s_waitcnt lgkmcnt(0)
	s_cmp_eq_u64 s[10:11], 0
	s_cselect_b64 s[0:1], -1, 0
	s_and_b64 vcc, exec, s[0:1]
	s_cbranch_vccnz .LBB308_2
; %bb.1:
	v_mov_b32_e32 v1, s6
	global_load_ubyte v1, v1, s[10:11]
	s_waitcnt vmcnt(0)
	v_and_b32_e32 v1, 1, v1
	v_cmp_eq_u32_e32 vcc, 1, v1
	s_xor_b64 s[0:1], vcc, -1
.LBB308_2:
	s_andn2_b64 vcc, exec, s[0:1]
	s_cbranch_vccnz .LBB308_31
; %bb.3:
	s_load_dword s16, s[4:5], 0x18
	s_load_dwordx2 s[10:11], s[4:5], 0x10
	v_mov_b32_e32 v6, 0xff7fffff
	s_waitcnt lgkmcnt(0)
	s_mul_i32 s17, s6, s16
	v_add_u32_e32 v2, s17, v0
	v_cmp_gt_i32_e64 s[0:1], s16, v0
	v_ashrrev_i32_e32 v3, 31, v2
	s_and_saveexec_b64 s[2:3], s[0:1]
	s_cbranch_execz .LBB308_7
; %bb.4:
	v_lshlrev_b64 v[4:5], 1, v[2:3]
	v_mov_b32_e32 v1, s9
	v_add_co_u32_e32 v4, vcc, s8, v4
	v_addc_co_u32_e32 v5, vcc, v1, v5, vcc
	s_mov_b64 s[4:5], 0
	v_mov_b32_e32 v6, 0xff7fffff
	v_mov_b32_e32 v1, v0
.LBB308_5:                              ; =>This Inner Loop Header: Depth=1
	global_load_ushort v7, v[4:5], off
	v_add_co_u32_e32 v4, vcc, 0x200, v4
	v_add_u32_e32 v1, 0x100, v1
	v_addc_co_u32_e32 v5, vcc, 0, v5, vcc
	v_max_f32_e32 v6, v6, v6
	v_cmp_le_i32_e32 vcc, s16, v1
	s_or_b64 s[4:5], vcc, s[4:5]
	s_waitcnt vmcnt(0)
	v_cvt_f32_u32_e32 v7, v7
	v_max_f32_e32 v6, v7, v6
	s_andn2_b64 exec, exec, s[4:5]
	s_cbranch_execnz .LBB308_5
; %bb.6:
	s_or_b64 exec, exec, s[4:5]
.LBB308_7:
	s_or_b64 exec, exec, s[2:3]
	v_mov_b32_dpp v4, v6 quad_perm:[1,0,3,2] row_mask:0xf bank_mask:0xf
	v_cmp_gt_f32_e32 vcc, v6, v4
	v_cndmask_b32_e32 v4, v4, v6, vcc
	v_mbcnt_lo_u32_b32 v1, -1, 0
	v_mbcnt_hi_u32_b32 v1, -1, v1
	v_mov_b32_dpp v5, v4 quad_perm:[2,3,0,1] row_mask:0xf bank_mask:0xf
	v_cmp_gt_f32_e32 vcc, v4, v5
	v_cndmask_b32_e32 v4, v5, v4, vcc
	v_cmp_eq_u32_e64 s[2:3], 0, v1
	s_nop 0
	v_mov_b32_dpp v5, v4 row_ror:4 row_mask:0xf bank_mask:0xf
	v_cmp_gt_f32_e32 vcc, v4, v5
	v_cndmask_b32_e32 v4, v5, v4, vcc
	s_nop 1
	v_mov_b32_dpp v5, v4 row_ror:8 row_mask:0xf bank_mask:0xf
	v_cmp_gt_f32_e32 vcc, v4, v5
	v_cndmask_b32_e32 v4, v5, v4, vcc
	s_nop 1
	v_mov_b32_dpp v5, v4 row_bcast:15 row_mask:0xf bank_mask:0xf
	v_cmp_gt_f32_e32 vcc, v4, v5
	v_cndmask_b32_e32 v4, v5, v4, vcc
	s_nop 1
	v_mov_b32_dpp v5, v4 row_bcast:31 row_mask:0xf bank_mask:0xf
	v_cmp_gt_f32_e32 vcc, v4, v5
	v_cndmask_b32_e32 v4, v5, v4, vcc
	v_bfrev_b32_e32 v5, 0.5
	v_lshl_or_b32 v6, v1, 2, v5
	ds_bpermute_b32 v7, v6, v4
	v_lshrrev_b32_e32 v5, 4, v0
	s_and_saveexec_b64 s[4:5], s[2:3]
	s_cbranch_execz .LBB308_9
; %bb.8:
	v_and_b32_e32 v4, 12, v5
	s_waitcnt lgkmcnt(0)
	ds_write_b32 v4, v7
.LBB308_9:
	s_or_b64 exec, exec, s[4:5]
	v_cmp_gt_u32_e64 s[4:5], 64, v0
	v_and_b32_e32 v4, 3, v1
	s_waitcnt lgkmcnt(0)
	s_barrier
	s_and_saveexec_b64 s[6:7], s[4:5]
	s_cbranch_execz .LBB308_11
; %bb.10:
	v_lshlrev_b32_e32 v7, 2, v4
	ds_read_b32 v7, v7
	v_cmp_ne_u32_e32 vcc, 3, v4
	v_addc_co_u32_e32 v8, vcc, 0, v1, vcc
	v_lshlrev_b32_e32 v8, 2, v8
	s_waitcnt lgkmcnt(0)
	ds_bpermute_b32 v8, v8, v7
	v_cmp_gt_u32_e32 vcc, 2, v4
	v_cndmask_b32_e64 v9, 0, 1, vcc
	v_lshlrev_b32_e32 v9, 1, v9
	s_waitcnt lgkmcnt(0)
	v_cmp_lt_f32_e32 vcc, v7, v8
	v_cndmask_b32_e32 v7, v7, v8, vcc
	v_add_lshl_u32 v8, v9, v1, 2
	ds_bpermute_b32 v8, v8, v7
	s_waitcnt lgkmcnt(0)
	v_cmp_lt_f32_e32 vcc, v7, v8
	v_cndmask_b32_e32 v7, v7, v8, vcc
.LBB308_11:
	s_or_b64 exec, exec, s[6:7]
	v_cmp_eq_u32_e64 s[6:7], 0, v0
	s_and_saveexec_b64 s[12:13], s[6:7]
	s_cbranch_execz .LBB308_13
; %bb.12:
	v_mov_b32_e32 v8, 0
	ds_write_b32 v8, v7 offset:20
.LBB308_13:
	s_or_b64 exec, exec, s[12:13]
	v_mov_b32_e32 v7, 0
	s_waitcnt lgkmcnt(0)
	s_barrier
	s_and_saveexec_b64 s[12:13], s[0:1]
	s_cbranch_execz .LBB308_17
; %bb.14:
	v_mov_b32_e32 v7, 0
	ds_read_b32 v8, v7 offset:20
	v_lshlrev_b64 v[2:3], 1, v[2:3]
	v_mov_b32_e32 v9, s9
	v_add_co_u32_e32 v2, vcc, s8, v2
	v_addc_co_u32_e32 v3, vcc, v9, v3, vcc
	s_mov_b64 s[14:15], 0
	s_mov_b32 s18, 0x3fb8aa3b
	s_mov_b32 s19, 0xc2ce8ed0
	;; [unrolled: 1-line block ×3, first 2 shown]
	v_mov_b32_e32 v9, 0x7f800000
	v_mov_b32_e32 v10, v0
.LBB308_15:                             ; =>This Inner Loop Header: Depth=1
	global_load_ushort v11, v[2:3], off
	v_add_co_u32_e32 v2, vcc, 0x200, v2
	v_add_u32_e32 v10, 0x100, v10
	v_addc_co_u32_e32 v3, vcc, 0, v3, vcc
	v_cmp_le_i32_e32 vcc, s16, v10
	s_or_b64 s[14:15], vcc, s[14:15]
	s_waitcnt vmcnt(0)
	v_cvt_f32_u32_e32 v11, v11
	s_waitcnt lgkmcnt(0)
	v_sub_f32_e32 v11, v11, v8
	v_mul_f32_e32 v12, 0x3fb8aa3b, v11
	v_fma_f32 v13, v11, s18, -v12
	v_rndne_f32_e32 v14, v12
	v_fmac_f32_e32 v13, 0x32a5705f, v11
	v_sub_f32_e32 v12, v12, v14
	v_add_f32_e32 v12, v12, v13
	v_cvt_i32_f32_e32 v14, v14
	v_exp_f32_e32 v12, v12
	v_cmp_ngt_f32_e32 vcc, s19, v11
	v_ldexp_f32 v12, v12, v14
	v_cndmask_b32_e32 v12, 0, v12, vcc
	v_cmp_nlt_f32_e32 vcc, s20, v11
	v_cndmask_b32_e32 v11, v9, v12, vcc
	v_add_f32_e32 v7, v7, v11
	s_andn2_b64 exec, exec, s[14:15]
	s_cbranch_execnz .LBB308_15
; %bb.16:
	s_or_b64 exec, exec, s[14:15]
.LBB308_17:
	s_or_b64 exec, exec, s[12:13]
	v_mov_b32_dpp v2, v7 quad_perm:[1,0,3,2] row_mask:0xf bank_mask:0xf
	v_add_f32_e32 v2, v7, v2
	s_nop 1
	v_mov_b32_dpp v3, v2 quad_perm:[2,3,0,1] row_mask:0xf bank_mask:0xf
	v_add_f32_e32 v2, v2, v3
	s_nop 1
	v_mov_b32_dpp v3, v2 row_ror:4 row_mask:0xf bank_mask:0xf
	v_add_f32_e32 v2, v2, v3
	s_nop 1
	v_mov_b32_dpp v3, v2 row_ror:8 row_mask:0xf bank_mask:0xf
	v_add_f32_e32 v2, v2, v3
	s_nop 1
	v_mov_b32_dpp v3, v2 row_bcast:15 row_mask:0xf bank_mask:0xf
	v_add_f32_e32 v2, v2, v3
	s_nop 1
	v_mov_b32_dpp v3, v2 row_bcast:31 row_mask:0xf bank_mask:0xf
	v_add_f32_e32 v2, v2, v3
	ds_bpermute_b32 v2, v6, v2
	s_and_saveexec_b64 s[12:13], s[2:3]
	s_cbranch_execz .LBB308_19
; %bb.18:
	v_and_b32_e32 v3, 12, v5
	s_waitcnt lgkmcnt(0)
	ds_write_b32 v3, v2
.LBB308_19:
	s_or_b64 exec, exec, s[12:13]
	s_waitcnt lgkmcnt(0)
	s_barrier
	s_and_saveexec_b64 s[2:3], s[4:5]
	s_cbranch_execz .LBB308_21
; %bb.20:
	v_lshlrev_b32_e32 v2, 2, v4
	ds_read_b32 v2, v2
	v_cmp_ne_u32_e32 vcc, 3, v4
	v_addc_co_u32_e32 v3, vcc, 0, v1, vcc
	v_lshlrev_b32_e32 v3, 2, v3
	s_waitcnt lgkmcnt(0)
	ds_bpermute_b32 v3, v3, v2
	v_cmp_gt_u32_e32 vcc, 2, v4
	v_cndmask_b32_e64 v4, 0, 1, vcc
	v_lshlrev_b32_e32 v4, 1, v4
	v_add_lshl_u32 v1, v4, v1, 2
	s_waitcnt lgkmcnt(0)
	v_add_f32_e32 v2, v2, v3
	ds_bpermute_b32 v1, v1, v2
	s_waitcnt lgkmcnt(0)
	v_add_f32_e32 v2, v2, v1
.LBB308_21:
	s_or_b64 exec, exec, s[2:3]
	s_and_saveexec_b64 s[2:3], s[6:7]
	s_cbranch_execz .LBB308_23
; %bb.22:
	v_div_scale_f32 v1, s[4:5], v2, v2, 1.0
	v_rcp_f32_e32 v3, v1
	v_div_scale_f32 v4, vcc, 1.0, v2, 1.0
	v_fma_f32 v5, -v1, v3, 1.0
	v_fmac_f32_e32 v3, v5, v3
	v_mul_f32_e32 v5, v4, v3
	v_fma_f32 v6, -v1, v5, v4
	v_fmac_f32_e32 v5, v6, v3
	v_fma_f32 v1, -v1, v5, v4
	v_div_fmas_f32 v1, v1, v3, v5
	v_div_fixup_f32 v1, v1, v2, 1.0
	v_mov_b32_e32 v2, 0
	ds_write_b32 v2, v1 offset:16
.LBB308_23:
	s_or_b64 exec, exec, s[2:3]
	s_waitcnt lgkmcnt(0)
	s_barrier
	s_and_saveexec_b64 s[2:3], s[0:1]
	s_cbranch_execz .LBB308_31
; %bb.24:
	v_mov_b32_e32 v1, 0
	ds_read_b64 v[2:3], v1 offset:16
	v_xad_u32 v1, v0, -1, s16
	s_movk_i32 s0, 0xff
	v_cmp_lt_u32_e32 vcc, s0, v1
	s_mov_b64 s[0:1], -1
	s_and_saveexec_b64 s[2:3], vcc
	s_cbranch_execz .LBB308_28
; %bb.25:
	v_lshrrev_b32_e32 v1, 8, v1
	v_add_u32_e32 v10, 1, v1
	v_and_b32_e32 v11, 0x1fffffe, v10
	v_or_b32_e32 v1, 0x100, v0
	s_mov_b32 s6, s17
	s_waitcnt lgkmcnt(0)
	v_mov_b32_e32 v4, v3
	v_mov_b32_e32 v5, v3
	;; [unrolled: 1-line block ×4, first 2 shown]
	s_mov_b64 s[4:5], 0
	v_mov_b32_e32 v12, s9
	s_mov_b32 s7, 0x3fb8aa3b
	s_mov_b32 s12, 0xc2ce8ed0
	;; [unrolled: 1-line block ×3, first 2 shown]
	v_mov_b32_e32 v13, 0x7f800000
	v_mov_b32_e32 v14, s11
	;; [unrolled: 1-line block ×3, first 2 shown]
	v_pk_mov_b32 v[8:9], v[0:1], v[0:1] op_sel:[0,1]
.LBB308_26:                             ; =>This Inner Loop Header: Depth=1
	v_add_u32_e32 v16, s17, v8
	v_ashrrev_i32_e32 v17, 31, v16
	v_add_u32_e32 v18, s6, v9
	v_lshlrev_b64 v[20:21], 1, v[16:17]
	v_ashrrev_i32_e32 v19, 31, v18
	v_add_co_u32_e32 v20, vcc, s8, v20
	v_lshlrev_b64 v[22:23], 1, v[18:19]
	v_addc_co_u32_e32 v21, vcc, v12, v21, vcc
	v_add_co_u32_e32 v22, vcc, s8, v22
	v_addc_co_u32_e32 v23, vcc, v12, v23, vcc
	global_load_ushort v1, v[22:23], off
	global_load_ushort v24, v[20:21], off
	v_add_u32_e32 v15, -2, v15
	v_cmp_eq_u32_e32 vcc, 0, v15
	v_lshlrev_b64 v[16:17], 2, v[16:17]
	s_or_b64 s[4:5], vcc, s[4:5]
	v_add_co_u32_e32 v16, vcc, s10, v16
	v_lshlrev_b64 v[18:19], 2, v[18:19]
	v_addc_co_u32_e32 v17, vcc, v14, v17, vcc
	v_add_co_u32_e32 v18, vcc, s10, v18
	v_addc_co_u32_e32 v19, vcc, v14, v19, vcc
	v_add_u32_e32 v9, 0x200, v9
	v_add_u32_e32 v8, 0x200, v8
	s_waitcnt vmcnt(1)
	v_cvt_f32_u32_e32 v21, v1
	s_waitcnt vmcnt(0)
	v_cvt_f32_u32_e32 v20, v24
	v_pk_add_f32 v[20:21], v[20:21], v[4:5] neg_lo:[0,1] neg_hi:[0,1]
	v_mul_f32_e32 v1, 0x3fb8aa3b, v21
	v_mul_f32_e32 v22, 0x3fb8aa3b, v20
	v_fma_f32 v23, v21, s7, -v1
	v_rndne_f32_e32 v24, v1
	v_fma_f32 v25, v20, s7, -v22
	v_rndne_f32_e32 v26, v22
	v_fmac_f32_e32 v23, 0x32a5705f, v21
	v_sub_f32_e32 v1, v1, v24
	v_fmac_f32_e32 v25, 0x32a5705f, v20
	v_sub_f32_e32 v22, v22, v26
	v_add_f32_e32 v1, v1, v23
	v_add_f32_e32 v22, v22, v25
	v_cvt_i32_f32_e32 v24, v24
	v_cvt_i32_f32_e32 v26, v26
	v_exp_f32_e32 v1, v1
	v_exp_f32_e32 v22, v22
	v_cmp_ngt_f32_e32 vcc, s12, v20
	v_cmp_ngt_f32_e64 s[0:1], s12, v21
	v_ldexp_f32 v1, v1, v24
	v_ldexp_f32 v22, v22, v26
	v_cndmask_b32_e64 v1, 0, v1, s[0:1]
	v_cndmask_b32_e32 v22, 0, v22, vcc
	v_cmp_nlt_f32_e32 vcc, s13, v20
	v_cmp_nlt_f32_e64 s[0:1], s13, v21
	v_cndmask_b32_e64 v21, v13, v1, s[0:1]
	v_cndmask_b32_e32 v20, v13, v22, vcc
	v_pk_mul_f32 v[20:21], v[6:7], v[20:21]
	global_store_dword v[16:17], v20, off
	global_store_dword v[18:19], v21, off
	s_andn2_b64 exec, exec, s[4:5]
	s_cbranch_execnz .LBB308_26
; %bb.27:
	s_or_b64 exec, exec, s[4:5]
	v_cmp_ne_u32_e32 vcc, v10, v11
	v_lshl_or_b32 v0, v11, 8, v0
	s_orn2_b64 s[0:1], vcc, exec
.LBB308_28:
	s_or_b64 exec, exec, s[2:3]
	s_and_b64 exec, exec, s[0:1]
	s_cbranch_execz .LBB308_31
; %bb.29:
	s_ashr_i32 s0, s17, 31
	v_ashrrev_i32_e32 v1, 31, v0
	v_mov_b32_e32 v4, s0
	v_add_co_u32_e32 v6, vcc, s17, v0
	v_addc_co_u32_e32 v7, vcc, v1, v4, vcc
	v_lshlrev_b64 v[4:5], 1, v[6:7]
	v_mov_b32_e32 v1, s9
	v_add_co_u32_e32 v4, vcc, s8, v4
	v_addc_co_u32_e32 v5, vcc, v1, v5, vcc
	v_lshlrev_b64 v[6:7], 2, v[6:7]
	v_mov_b32_e32 v1, s11
	v_add_co_u32_e32 v6, vcc, s10, v6
	v_addc_co_u32_e32 v7, vcc, v1, v7, vcc
	s_mov_b64 s[0:1], 0
	s_mov_b32 s2, 0x3fb8aa3b
	s_mov_b32 s3, 0xc2ce8ed0
	;; [unrolled: 1-line block ×3, first 2 shown]
	v_mov_b32_e32 v1, 0x7f800000
.LBB308_30:                             ; =>This Inner Loop Header: Depth=1
	global_load_ushort v8, v[4:5], off
	v_add_co_u32_e32 v4, vcc, 0x200, v4
	v_add_u32_e32 v0, 0x100, v0
	v_addc_co_u32_e32 v5, vcc, 0, v5, vcc
	v_cmp_le_i32_e32 vcc, s16, v0
	s_or_b64 s[0:1], vcc, s[0:1]
	s_waitcnt vmcnt(0)
	v_cvt_f32_u32_e32 v8, v8
	s_waitcnt lgkmcnt(0)
	v_sub_f32_e32 v8, v8, v3
	v_mul_f32_e32 v9, 0x3fb8aa3b, v8
	v_fma_f32 v10, v8, s2, -v9
	v_rndne_f32_e32 v11, v9
	v_fmac_f32_e32 v10, 0x32a5705f, v8
	v_sub_f32_e32 v9, v9, v11
	v_add_f32_e32 v9, v9, v10
	v_cvt_i32_f32_e32 v11, v11
	v_exp_f32_e32 v9, v9
	v_cmp_ngt_f32_e32 vcc, s3, v8
	v_ldexp_f32 v9, v9, v11
	v_cndmask_b32_e32 v9, 0, v9, vcc
	v_cmp_nlt_f32_e32 vcc, s4, v8
	v_cndmask_b32_e32 v8, v1, v9, vcc
	v_mul_f32_e32 v8, v2, v8
	global_store_dword v[6:7], v8, off
	v_add_co_u32_e32 v6, vcc, 0x400, v6
	v_addc_co_u32_e32 v7, vcc, 0, v7, vcc
	s_andn2_b64 exec, exec, s[0:1]
	s_cbranch_execnz .LBB308_30
.LBB308_31:
	s_endpgm
	.section	.rodata,"a",@progbits
	.p2align	6, 0x0
	.amdhsa_kernel _ZN4vllm3moe10moeSoftmaxItLi256EEEvPKT_PKbPfi
		.amdhsa_group_segment_fixed_size 24
		.amdhsa_private_segment_fixed_size 0
		.amdhsa_kernarg_size 28
		.amdhsa_user_sgpr_count 6
		.amdhsa_user_sgpr_private_segment_buffer 1
		.amdhsa_user_sgpr_dispatch_ptr 0
		.amdhsa_user_sgpr_queue_ptr 0
		.amdhsa_user_sgpr_kernarg_segment_ptr 1
		.amdhsa_user_sgpr_dispatch_id 0
		.amdhsa_user_sgpr_flat_scratch_init 0
		.amdhsa_user_sgpr_kernarg_preload_length 0
		.amdhsa_user_sgpr_kernarg_preload_offset 0
		.amdhsa_user_sgpr_private_segment_size 0
		.amdhsa_uses_dynamic_stack 0
		.amdhsa_system_sgpr_private_segment_wavefront_offset 0
		.amdhsa_system_sgpr_workgroup_id_x 1
		.amdhsa_system_sgpr_workgroup_id_y 0
		.amdhsa_system_sgpr_workgroup_id_z 0
		.amdhsa_system_sgpr_workgroup_info 0
		.amdhsa_system_vgpr_workitem_id 0
		.amdhsa_next_free_vgpr 27
		.amdhsa_next_free_sgpr 21
		.amdhsa_accum_offset 28
		.amdhsa_reserve_vcc 1
		.amdhsa_reserve_flat_scratch 0
		.amdhsa_float_round_mode_32 0
		.amdhsa_float_round_mode_16_64 0
		.amdhsa_float_denorm_mode_32 3
		.amdhsa_float_denorm_mode_16_64 3
		.amdhsa_dx10_clamp 1
		.amdhsa_ieee_mode 1
		.amdhsa_fp16_overflow 0
		.amdhsa_tg_split 0
		.amdhsa_exception_fp_ieee_invalid_op 0
		.amdhsa_exception_fp_denorm_src 0
		.amdhsa_exception_fp_ieee_div_zero 0
		.amdhsa_exception_fp_ieee_overflow 0
		.amdhsa_exception_fp_ieee_underflow 0
		.amdhsa_exception_fp_ieee_inexact 0
		.amdhsa_exception_int_div_zero 0
	.end_amdhsa_kernel
	.section	.text._ZN4vllm3moe10moeSoftmaxItLi256EEEvPKT_PKbPfi,"axG",@progbits,_ZN4vllm3moe10moeSoftmaxItLi256EEEvPKT_PKbPfi,comdat
.Lfunc_end308:
	.size	_ZN4vllm3moe10moeSoftmaxItLi256EEEvPKT_PKbPfi, .Lfunc_end308-_ZN4vllm3moe10moeSoftmaxItLi256EEEvPKT_PKbPfi
                                        ; -- End function
	.section	.AMDGPU.csdata,"",@progbits
; Kernel info:
; codeLenInByte = 1904
; NumSgprs: 25
; NumVgprs: 27
; NumAgprs: 0
; TotalNumVgprs: 27
; ScratchSize: 0
; MemoryBound: 0
; FloatMode: 240
; IeeeMode: 1
; LDSByteSize: 24 bytes/workgroup (compile time only)
; SGPRBlocks: 3
; VGPRBlocks: 3
; NumSGPRsForWavesPerEU: 25
; NumVGPRsForWavesPerEU: 27
; AccumOffset: 28
; Occupancy: 8
; WaveLimiterHint : 0
; COMPUTE_PGM_RSRC2:SCRATCH_EN: 0
; COMPUTE_PGM_RSRC2:USER_SGPR: 6
; COMPUTE_PGM_RSRC2:TRAP_HANDLER: 0
; COMPUTE_PGM_RSRC2:TGID_X_EN: 1
; COMPUTE_PGM_RSRC2:TGID_Y_EN: 0
; COMPUTE_PGM_RSRC2:TGID_Z_EN: 0
; COMPUTE_PGM_RSRC2:TIDIG_COMP_CNT: 0
; COMPUTE_PGM_RSRC3_GFX90A:ACCUM_OFFSET: 6
; COMPUTE_PGM_RSRC3_GFX90A:TG_SPLIT: 0
	.section	.text._ZN4vllm3moe24applySharedExpertSigmoidItLi256EEEvPKT_Pfiiiii,"axG",@progbits,_ZN4vllm3moe24applySharedExpertSigmoidItLi256EEEvPKT_Pfiiiii,comdat
	.protected	_ZN4vllm3moe24applySharedExpertSigmoidItLi256EEEvPKT_Pfiiiii ; -- Begin function _ZN4vllm3moe24applySharedExpertSigmoidItLi256EEEvPKT_Pfiiiii
	.globl	_ZN4vllm3moe24applySharedExpertSigmoidItLi256EEEvPKT_Pfiiiii
	.p2align	8
	.type	_ZN4vllm3moe24applySharedExpertSigmoidItLi256EEEvPKT_Pfiiiii,@function
_ZN4vllm3moe24applySharedExpertSigmoidItLi256EEEvPKT_Pfiiiii: ; @_ZN4vllm3moe24applySharedExpertSigmoidItLi256EEEvPKT_Pfiiiii
; %bb.0:
	s_load_dwordx4 s[8:11], s[4:5], 0x10
	s_waitcnt lgkmcnt(0)
	s_cmp_ge_i32 s6, s8
	s_cbranch_scc1 .LBB309_11
; %bb.1:
	s_load_dword s0, s[4:5], 0x20
	v_cmp_gt_i32_e32 vcc, s9, v0
	s_and_saveexec_b64 s[2:3], vcc
	s_cbranch_execz .LBB309_11
; %bb.2:
	s_load_dwordx4 s[12:15], s[4:5], 0x0
	s_mul_i32 s1, s6, s10
	s_waitcnt lgkmcnt(0)
	s_add_i32 s8, s1, s0
	v_xad_u32 v1, v0, -1, s9
	s_movk_i32 s0, 0x900
	v_cmp_gt_u32_e64 s[2:3], s0, v1
	s_movk_i32 s0, 0x8ff
	s_mul_i32 s16, s6, s11
	v_cmp_lt_u32_e32 vcc, s0, v1
	s_and_saveexec_b64 s[4:5], vcc
	s_cbranch_execz .LBB309_8
; %bb.3:
	v_and_b32_e32 v2, 0xffffff00, v1
	v_add_u32_e32 v3, s8, v0
	v_add_u32_e32 v2, v3, v2
	v_cmp_ge_i32_e32 vcc, v2, v3
	s_mov_b64 s[0:1], -1
	s_and_saveexec_b64 s[6:7], vcc
	s_cbranch_execz .LBB309_7
; %bb.4:
	v_lshrrev_b32_e32 v1, 8, v1
	v_add_u32_e32 v4, 1, v1
	v_and_b32_e32 v5, 0x1fffffe, v4
	v_or_b32_e32 v1, 0x100, v0
	s_mov_b32 s17, s8
	s_mov_b32 s18, s16
	s_mov_b64 s[10:11], 0
	v_mov_b32_e32 v6, s13
	s_mov_b32 s19, 0xbfb8aa3b
	s_mov_b32 s20, 0x42ce8ed0
	;; [unrolled: 1-line block ×3, first 2 shown]
	v_mov_b32_e32 v7, 0x7f800000
	v_mov_b32_e32 v8, s15
	;; [unrolled: 1-line block ×3, first 2 shown]
	v_pk_mov_b32 v[2:3], v[0:1], v[0:1] op_sel:[0,1]
.LBB309_5:                              ; =>This Inner Loop Header: Depth=1
	v_add_u32_e32 v10, s8, v2
	v_ashrrev_i32_e32 v11, 31, v10
	v_add_u32_e32 v12, s17, v3
	v_lshlrev_b64 v[10:11], 1, v[10:11]
	v_ashrrev_i32_e32 v13, 31, v12
	v_add_co_u32_e32 v10, vcc, s12, v10
	v_lshlrev_b64 v[12:13], 1, v[12:13]
	v_addc_co_u32_e32 v11, vcc, v6, v11, vcc
	v_add_co_u32_e32 v12, vcc, s12, v12
	v_addc_co_u32_e32 v13, vcc, v6, v13, vcc
	global_load_ushort v1, v[12:13], off
	global_load_ushort v14, v[10:11], off
	v_add_u32_e32 v10, s16, v2
	v_add_u32_e32 v9, -2, v9
	v_ashrrev_i32_e32 v11, 31, v10
	v_add_u32_e32 v12, s18, v3
	v_cmp_eq_u32_e32 vcc, 0, v9
	v_lshlrev_b64 v[10:11], 2, v[10:11]
	v_ashrrev_i32_e32 v13, 31, v12
	s_or_b64 s[10:11], vcc, s[10:11]
	v_add_co_u32_e32 v10, vcc, s14, v10
	v_lshlrev_b64 v[12:13], 2, v[12:13]
	v_addc_co_u32_e32 v11, vcc, v8, v11, vcc
	v_add_co_u32_e32 v12, vcc, s14, v12
	v_addc_co_u32_e32 v13, vcc, v8, v13, vcc
	v_add_u32_e32 v3, 0x200, v3
	v_add_u32_e32 v2, 0x200, v2
	s_waitcnt vmcnt(1)
	v_cvt_f32_u32_e32 v1, v1
	s_waitcnt vmcnt(0)
	v_cvt_f32_u32_e32 v14, v14
	v_mul_f32_e32 v15, 0xbfb8aa3b, v1
	v_mul_f32_e32 v16, 0xbfb8aa3b, v14
	v_fma_f32 v17, v1, s19, -v15
	v_rndne_f32_e32 v18, v15
	v_fma_f32 v19, v14, s19, -v16
	v_rndne_f32_e32 v20, v16
	v_fmac_f32_e32 v17, 0xb2a5705f, v1
	v_sub_f32_e32 v15, v15, v18
	v_fmac_f32_e32 v19, 0xb2a5705f, v14
	v_sub_f32_e32 v16, v16, v20
	v_add_f32_e32 v15, v15, v17
	v_add_f32_e32 v16, v16, v19
	v_cvt_i32_f32_e32 v18, v18
	v_cvt_i32_f32_e32 v20, v20
	v_exp_f32_e32 v15, v15
	v_exp_f32_e32 v16, v16
	v_cmp_nlt_f32_e32 vcc, s20, v14
	v_cmp_nlt_f32_e64 s[0:1], s20, v1
	v_ldexp_f32 v15, v15, v18
	v_ldexp_f32 v16, v16, v20
	v_cndmask_b32_e64 v15, 0, v15, s[0:1]
	v_cndmask_b32_e32 v16, 0, v16, vcc
	v_cmp_ngt_f32_e32 vcc, s21, v14
	v_cmp_ngt_f32_e64 s[0:1], s21, v1
	v_cndmask_b32_e64 v15, v7, v15, s[0:1]
	v_cndmask_b32_e32 v14, v7, v16, vcc
	v_pk_add_f32 v[14:15], v[14:15], 1.0 op_sel_hi:[1,0]
	v_div_scale_f32 v1, s[0:1], v15, v15, 1.0
	v_div_scale_f32 v17, s[0:1], v14, v14, 1.0
	v_rcp_f32_e32 v19, v1
	v_rcp_f32_e32 v20, v17
	v_div_scale_f32 v16, vcc, 1.0, v15, 1.0
	v_fma_f32 v21, -v1, v19, 1.0
	v_fma_f32 v22, -v17, v20, 1.0
	v_fmac_f32_e32 v19, v21, v19
	v_div_scale_f32 v18, s[0:1], 1.0, v14, 1.0
	v_fmac_f32_e32 v20, v22, v20
	v_mul_f32_e32 v21, v16, v19
	v_mul_f32_e32 v22, v18, v20
	v_fma_f32 v23, -v1, v21, v16
	v_fma_f32 v24, -v17, v22, v18
	v_fmac_f32_e32 v21, v23, v19
	v_fmac_f32_e32 v22, v24, v20
	v_fma_f32 v1, -v1, v21, v16
	v_fma_f32 v16, -v17, v22, v18
	v_div_fmas_f32 v1, v1, v19, v21
	s_mov_b64 vcc, s[0:1]
	v_div_fixup_f32 v1, v1, v15, 1.0
	v_div_fmas_f32 v15, v16, v20, v22
	v_div_fixup_f32 v14, v15, v14, 1.0
	global_store_dword v[10:11], v14, off
	global_store_dword v[12:13], v1, off
	s_andn2_b64 exec, exec, s[10:11]
	s_cbranch_execnz .LBB309_5
; %bb.6:
	s_or_b64 exec, exec, s[10:11]
	v_cmp_ne_u32_e32 vcc, v4, v5
	v_lshl_or_b32 v0, v5, 8, v0
	s_orn2_b64 s[0:1], vcc, exec
.LBB309_7:
	s_or_b64 exec, exec, s[6:7]
	s_andn2_b64 s[2:3], s[2:3], exec
	s_and_b64 s[0:1], s[0:1], exec
	s_or_b64 s[2:3], s[2:3], s[0:1]
.LBB309_8:
	s_or_b64 exec, exec, s[4:5]
	s_and_b64 exec, exec, s[2:3]
	s_cbranch_execz .LBB309_11
; %bb.9:
	s_ashr_i32 s0, s16, 31
	v_ashrrev_i32_e32 v1, 31, v0
	v_mov_b32_e32 v3, s0
	v_add_co_u32_e32 v2, vcc, s16, v0
	v_addc_co_u32_e32 v3, vcc, v1, v3, vcc
	v_lshlrev_b64 v[2:3], 2, v[2:3]
	v_mov_b32_e32 v1, s15
	v_add_co_u32_e32 v2, vcc, s14, v2
	v_addc_co_u32_e32 v3, vcc, v1, v3, vcc
	s_mov_b64 s[0:1], 0
	v_mov_b32_e32 v1, s13
	s_mov_b32 s2, 0xbfb8aa3b
	s_mov_b32 s3, 0x42ce8ed0
	;; [unrolled: 1-line block ×3, first 2 shown]
	v_mov_b32_e32 v4, 0x7f800000
.LBB309_10:                             ; =>This Inner Loop Header: Depth=1
	v_add_u32_e32 v6, s8, v0
	v_ashrrev_i32_e32 v7, 31, v6
	v_lshlrev_b64 v[6:7], 1, v[6:7]
	v_add_co_u32_e32 v6, vcc, s12, v6
	v_addc_co_u32_e32 v7, vcc, v1, v7, vcc
	global_load_ushort v5, v[6:7], off
	v_add_u32_e32 v0, 0x100, v0
	v_cmp_le_i32_e32 vcc, s9, v0
	s_or_b64 s[0:1], vcc, s[0:1]
	s_waitcnt vmcnt(0)
	v_cvt_f32_u32_e32 v5, v5
	v_mul_f32_e32 v6, 0xbfb8aa3b, v5
	v_fma_f32 v7, v5, s2, -v6
	v_rndne_f32_e32 v8, v6
	v_fmac_f32_e32 v7, 0xb2a5705f, v5
	v_sub_f32_e32 v6, v6, v8
	v_add_f32_e32 v6, v6, v7
	v_cvt_i32_f32_e32 v8, v8
	v_exp_f32_e32 v6, v6
	v_cmp_nlt_f32_e32 vcc, s3, v5
	v_ldexp_f32 v6, v6, v8
	v_cndmask_b32_e32 v6, 0, v6, vcc
	v_cmp_ngt_f32_e32 vcc, s4, v5
	v_cndmask_b32_e32 v5, v4, v6, vcc
	v_add_f32_e32 v5, 1.0, v5
	v_div_scale_f32 v6, s[6:7], v5, v5, 1.0
	v_rcp_f32_e32 v8, v6
	v_div_scale_f32 v7, vcc, 1.0, v5, 1.0
	v_fma_f32 v9, -v6, v8, 1.0
	v_fmac_f32_e32 v8, v9, v8
	v_mul_f32_e32 v9, v7, v8
	v_fma_f32 v10, -v6, v9, v7
	v_fmac_f32_e32 v9, v10, v8
	v_fma_f32 v6, -v6, v9, v7
	v_div_fmas_f32 v6, v6, v8, v9
	v_div_fixup_f32 v5, v6, v5, 1.0
	global_store_dword v[2:3], v5, off
	v_add_co_u32_e32 v2, vcc, 0x400, v2
	v_addc_co_u32_e32 v3, vcc, 0, v3, vcc
	s_andn2_b64 exec, exec, s[0:1]
	s_cbranch_execnz .LBB309_10
.LBB309_11:
	s_endpgm
	.section	.rodata,"a",@progbits
	.p2align	6, 0x0
	.amdhsa_kernel _ZN4vllm3moe24applySharedExpertSigmoidItLi256EEEvPKT_Pfiiiii
		.amdhsa_group_segment_fixed_size 0
		.amdhsa_private_segment_fixed_size 0
		.amdhsa_kernarg_size 36
		.amdhsa_user_sgpr_count 6
		.amdhsa_user_sgpr_private_segment_buffer 1
		.amdhsa_user_sgpr_dispatch_ptr 0
		.amdhsa_user_sgpr_queue_ptr 0
		.amdhsa_user_sgpr_kernarg_segment_ptr 1
		.amdhsa_user_sgpr_dispatch_id 0
		.amdhsa_user_sgpr_flat_scratch_init 0
		.amdhsa_user_sgpr_kernarg_preload_length 0
		.amdhsa_user_sgpr_kernarg_preload_offset 0
		.amdhsa_user_sgpr_private_segment_size 0
		.amdhsa_uses_dynamic_stack 0
		.amdhsa_system_sgpr_private_segment_wavefront_offset 0
		.amdhsa_system_sgpr_workgroup_id_x 1
		.amdhsa_system_sgpr_workgroup_id_y 0
		.amdhsa_system_sgpr_workgroup_id_z 0
		.amdhsa_system_sgpr_workgroup_info 0
		.amdhsa_system_vgpr_workitem_id 0
		.amdhsa_next_free_vgpr 25
		.amdhsa_next_free_sgpr 22
		.amdhsa_accum_offset 28
		.amdhsa_reserve_vcc 1
		.amdhsa_reserve_flat_scratch 0
		.amdhsa_float_round_mode_32 0
		.amdhsa_float_round_mode_16_64 0
		.amdhsa_float_denorm_mode_32 3
		.amdhsa_float_denorm_mode_16_64 3
		.amdhsa_dx10_clamp 1
		.amdhsa_ieee_mode 1
		.amdhsa_fp16_overflow 0
		.amdhsa_tg_split 0
		.amdhsa_exception_fp_ieee_invalid_op 0
		.amdhsa_exception_fp_denorm_src 0
		.amdhsa_exception_fp_ieee_div_zero 0
		.amdhsa_exception_fp_ieee_overflow 0
		.amdhsa_exception_fp_ieee_underflow 0
		.amdhsa_exception_fp_ieee_inexact 0
		.amdhsa_exception_int_div_zero 0
	.end_amdhsa_kernel
	.section	.text._ZN4vllm3moe24applySharedExpertSigmoidItLi256EEEvPKT_Pfiiiii,"axG",@progbits,_ZN4vllm3moe24applySharedExpertSigmoidItLi256EEEvPKT_Pfiiiii,comdat
.Lfunc_end309:
	.size	_ZN4vllm3moe24applySharedExpertSigmoidItLi256EEEvPKT_Pfiiiii, .Lfunc_end309-_ZN4vllm3moe24applySharedExpertSigmoidItLi256EEEvPKT_Pfiiiii
                                        ; -- End function
	.section	.AMDGPU.csdata,"",@progbits
; Kernel info:
; codeLenInByte = 1068
; NumSgprs: 26
; NumVgprs: 25
; NumAgprs: 0
; TotalNumVgprs: 25
; ScratchSize: 0
; MemoryBound: 0
; FloatMode: 240
; IeeeMode: 1
; LDSByteSize: 0 bytes/workgroup (compile time only)
; SGPRBlocks: 3
; VGPRBlocks: 3
; NumSGPRsForWavesPerEU: 26
; NumVGPRsForWavesPerEU: 25
; AccumOffset: 28
; Occupancy: 8
; WaveLimiterHint : 0
; COMPUTE_PGM_RSRC2:SCRATCH_EN: 0
; COMPUTE_PGM_RSRC2:USER_SGPR: 6
; COMPUTE_PGM_RSRC2:TRAP_HANDLER: 0
; COMPUTE_PGM_RSRC2:TGID_X_EN: 1
; COMPUTE_PGM_RSRC2:TGID_Y_EN: 0
; COMPUTE_PGM_RSRC2:TGID_Z_EN: 0
; COMPUTE_PGM_RSRC2:TIDIG_COMP_CNT: 0
; COMPUTE_PGM_RSRC3_GFX90A:ACCUM_OFFSET: 6
; COMPUTE_PGM_RSRC3_GFX90A:TG_SPLIT: 0
	.section	.text._ZN4vllm3moe14moe_sum_kernelIfLi2EEEvPT_PKS2_i,"axG",@progbits,_ZN4vllm3moe14moe_sum_kernelIfLi2EEEvPT_PKS2_i,comdat
	.protected	_ZN4vllm3moe14moe_sum_kernelIfLi2EEEvPT_PKS2_i ; -- Begin function _ZN4vllm3moe14moe_sum_kernelIfLi2EEEvPT_PKS2_i
	.globl	_ZN4vllm3moe14moe_sum_kernelIfLi2EEEvPT_PKS2_i
	.p2align	8
	.type	_ZN4vllm3moe14moe_sum_kernelIfLi2EEEvPT_PKS2_i,@function
_ZN4vllm3moe14moe_sum_kernelIfLi2EEEvPT_PKS2_i: ; @_ZN4vllm3moe14moe_sum_kernelIfLi2EEEvPT_PKS2_i
; %bb.0:
	s_load_dword s2, s[4:5], 0x10
	s_waitcnt lgkmcnt(0)
	v_cmp_gt_i32_e32 vcc, s2, v0
	s_and_saveexec_b64 s[0:1], vcc
	s_cbranch_execz .LBB310_14
; %bb.1:
	s_load_dword s0, s[4:5], 0x24
	s_load_dwordx2 s[8:9], s[4:5], 0x8
	s_ashr_i32 s3, s2, 31
	v_mov_b32_e32 v2, s3
	v_mov_b32_e32 v1, 0
	s_waitcnt lgkmcnt(0)
	s_and_b32 s16, s0, 0xffff
	v_add_co_u32_e32 v4, vcc, s16, v0
	v_addc_co_u32_e64 v5, s[0:1], 0, 0, vcc
	v_cmp_lt_i64_e32 vcc, s[2:3], v[4:5]
	v_cndmask_b32_e32 v6, v2, v5, vcc
	v_mov_b32_e32 v2, s2
	v_cndmask_b32_e32 v3, v2, v4, vcc
	v_cmp_gt_i64_e32 vcc, s[2:3], v[4:5]
	v_cndmask_b32_e64 v2, 0, 1, vcc
	v_add_co_u32_e32 v4, vcc, v4, v2
	v_addc_co_u32_e32 v5, vcc, 0, v5, vcc
	v_sub_co_u32_e32 v3, vcc, v3, v4
	v_subb_co_u32_e32 v5, vcc, v6, v5, vcc
	v_mov_b32_e32 v4, v1
	s_mov_b32 s17, 0
	v_cmp_ne_u64_e32 vcc, 0, v[4:5]
                                        ; implicit-def: $vgpr6_vgpr7
	s_and_saveexec_b64 s[0:1], vcc
	s_xor_b64 s[10:11], exec, s[0:1]
	s_cbranch_execz .LBB310_3
; %bb.2:
	v_cvt_f32_u32_e32 v4, s16
	v_mov_b32_e32 v6, 0x4f800000
	s_sub_u32 s0, 0, s16
	s_subb_u32 s1, 0, 0
	v_mac_f32_e32 v4, 0, v6
	v_rcp_f32_e32 v4, v4
	v_mul_f32_e32 v4, 0x5f7ffffc, v4
	v_mul_f32_e32 v6, 0x2f800000, v4
	v_trunc_f32_e32 v6, v6
	v_madmk_f32 v4, v6, 0xcf800000, v4
	v_cvt_u32_f32_e32 v6, v6
	v_cvt_u32_f32_e32 v4, v4
	v_mul_lo_u32 v7, s0, v6
	v_mul_hi_u32 v9, s0, v4
	v_mul_lo_u32 v8, s1, v4
	v_add_u32_e32 v7, v9, v7
	v_mul_lo_u32 v10, s0, v4
	v_add_u32_e32 v7, v7, v8
	v_mul_hi_u32 v9, v4, v10
	v_mul_lo_u32 v11, v4, v7
	v_mul_hi_u32 v8, v4, v7
	v_add_co_u32_e32 v9, vcc, v9, v11
	v_addc_co_u32_e32 v8, vcc, 0, v8, vcc
	v_mul_hi_u32 v12, v6, v10
	v_mul_lo_u32 v10, v6, v10
	v_add_co_u32_e32 v9, vcc, v9, v10
	v_mul_hi_u32 v11, v6, v7
	v_addc_co_u32_e32 v8, vcc, v8, v12, vcc
	v_addc_co_u32_e32 v9, vcc, 0, v11, vcc
	v_mul_lo_u32 v7, v6, v7
	v_add_co_u32_e32 v7, vcc, v8, v7
	v_addc_co_u32_e32 v8, vcc, 0, v9, vcc
	v_add_co_u32_e32 v4, vcc, v4, v7
	v_addc_co_u32_e32 v6, vcc, v6, v8, vcc
	v_mul_lo_u32 v7, s0, v6
	v_mul_hi_u32 v8, s0, v4
	v_add_u32_e32 v7, v8, v7
	v_mul_lo_u32 v8, s1, v4
	v_add_u32_e32 v7, v7, v8
	v_mul_lo_u32 v9, s0, v4
	v_mul_hi_u32 v10, v6, v9
	v_mul_lo_u32 v11, v6, v9
	v_mul_lo_u32 v13, v4, v7
	v_mul_hi_u32 v9, v4, v9
	v_mul_hi_u32 v12, v4, v7
	v_add_co_u32_e32 v9, vcc, v9, v13
	v_addc_co_u32_e32 v12, vcc, 0, v12, vcc
	v_add_co_u32_e32 v9, vcc, v9, v11
	v_mul_hi_u32 v8, v6, v7
	v_addc_co_u32_e32 v9, vcc, v12, v10, vcc
	v_addc_co_u32_e32 v8, vcc, 0, v8, vcc
	v_mul_lo_u32 v7, v6, v7
	v_add_co_u32_e32 v7, vcc, v9, v7
	v_addc_co_u32_e32 v8, vcc, 0, v8, vcc
	v_add_co_u32_e32 v4, vcc, v4, v7
	v_addc_co_u32_e32 v8, vcc, v6, v8, vcc
	v_mad_u64_u32 v[6:7], s[0:1], v3, v8, 0
	v_mul_hi_u32 v9, v3, v4
	v_add_co_u32_e32 v10, vcc, v9, v6
	v_addc_co_u32_e32 v11, vcc, 0, v7, vcc
	v_mad_u64_u32 v[6:7], s[0:1], v5, v8, 0
	v_mad_u64_u32 v[8:9], s[0:1], v5, v4, 0
	v_add_co_u32_e32 v4, vcc, v10, v8
	v_addc_co_u32_e32 v4, vcc, v11, v9, vcc
	v_addc_co_u32_e32 v7, vcc, 0, v7, vcc
	v_add_co_u32_e32 v10, vcc, v4, v6
	v_addc_co_u32_e32 v11, vcc, 0, v7, vcc
	v_mad_u64_u32 v[6:7], s[0:1], s16, v10, 0
	v_mov_b32_e32 v4, v7
	v_mad_u64_u32 v[8:9], s[0:1], s16, v11, v[4:5]
	v_sub_co_u32_e32 v3, vcc, v3, v6
	v_subb_co_u32_e32 v4, vcc, v5, v8, vcc
	v_subrev_co_u32_e32 v5, vcc, s16, v3
	v_subbrev_co_u32_e32 v6, vcc, 0, v4, vcc
	v_cmp_le_u32_e32 vcc, s16, v5
	v_cndmask_b32_e64 v5, 0, -1, vcc
	v_cmp_eq_u32_e32 vcc, 0, v6
	v_cndmask_b32_e32 v5, -1, v5, vcc
	v_add_co_u32_e32 v6, vcc, 2, v10
	v_addc_co_u32_e32 v7, vcc, 0, v11, vcc
	v_add_co_u32_e32 v8, vcc, 1, v10
	v_cmp_le_u32_e64 s[0:1], s16, v3
	v_addc_co_u32_e32 v9, vcc, 0, v11, vcc
	v_cndmask_b32_e64 v3, 0, -1, s[0:1]
	v_cmp_eq_u32_e64 s[0:1], 0, v4
	v_cmp_ne_u32_e32 vcc, 0, v5
	v_cndmask_b32_e64 v3, -1, v3, s[0:1]
	v_cndmask_b32_e32 v5, v9, v7, vcc
	v_cmp_ne_u32_e64 s[0:1], 0, v3
	v_cndmask_b32_e32 v3, v8, v6, vcc
	v_cndmask_b32_e64 v7, v11, v5, s[0:1]
	v_cndmask_b32_e64 v6, v10, v3, s[0:1]
                                        ; implicit-def: $vgpr3
.LBB310_3:
	s_andn2_saveexec_b64 s[0:1], s[10:11]
	s_cbranch_execz .LBB310_5
; %bb.4:
	v_cvt_f32_u32_e32 v4, s16
	s_sub_i32 s7, 0, s16
	v_mov_b32_e32 v7, 0
	v_rcp_iflag_f32_e32 v4, v4
	v_mul_f32_e32 v4, 0x4f7ffffe, v4
	v_cvt_u32_f32_e32 v4, v4
	v_mul_lo_u32 v5, s7, v4
	v_mul_hi_u32 v5, v4, v5
	v_add_u32_e32 v4, v4, v5
	v_mul_hi_u32 v4, v3, v4
	v_mul_lo_u32 v5, v4, s16
	v_sub_u32_e32 v3, v3, v5
	v_add_u32_e32 v6, 1, v4
	v_subrev_u32_e32 v5, s16, v3
	v_cmp_le_u32_e32 vcc, s16, v3
	v_cndmask_b32_e32 v3, v3, v5, vcc
	v_cndmask_b32_e32 v4, v4, v6, vcc
	v_add_u32_e32 v5, 1, v4
	v_cmp_le_u32_e32 vcc, s16, v3
	v_cndmask_b32_e32 v6, v4, v5, vcc
.LBB310_5:
	s_or_b64 exec, exec, s[0:1]
	s_load_dwordx2 s[0:1], s[4:5], 0x0
	s_mul_i32 s4, s6, s3
	s_mul_hi_u32 s5, s6, s2
	v_add_co_u32_e32 v2, vcc, v6, v2
	s_add_i32 s5, s5, s4
	s_mul_i32 s4, s6, s2
	v_addc_co_u32_e32 v3, vcc, 0, v7, vcc
	s_lshl_b64 s[10:11], s[4:5], 3
	v_add_co_u32_e32 v2, vcc, 1, v2
	s_add_u32 s18, s8, s10
	v_addc_co_u32_e32 v3, vcc, 0, v3, vcc
	s_addc_u32 s19, s9, s11
	v_cmp_gt_u64_e32 vcc, 4, v[2:3]
	v_cmp_ne_u16_e64 s[10:11], s16, 1
                                        ; kill: def $vgpr4_vgpr5 killed $sgpr0_sgpr1 killed $exec
	s_mov_b32 s7, 0
	s_or_b64 s[12:13], vcc, s[10:11]
	s_mov_b64 s[10:11], 0
	v_mov_b32_e32 v5, v3
                                        ; implicit-def: $sgpr14_sgpr15
	s_and_saveexec_b64 s[20:21], s[12:13]
	s_xor_b64 s[12:13], exec, s[20:21]
	s_cbranch_execnz .LBB310_8
; %bb.6:
	s_or_saveexec_b64 s[12:13], s[12:13]
	v_pk_mov_b32 v[6:7], s[14:15], s[14:15] op_sel:[0,1]
	s_xor_b64 exec, exec, s[12:13]
	s_cbranch_execnz .LBB310_9
.LBB310_7:
	s_or_b64 exec, exec, s[12:13]
	s_and_b64 exec, exec, s[10:11]
	s_cbranch_execnz .LBB310_12
	s_branch .LBB310_14
.LBB310_8:
	s_lshl_b64 s[14:15], s[6:7], 3
	s_or_b32 s14, s14, 4
	s_mul_i32 s20, s14, s3
	s_mul_hi_u32 s21, s14, s2
	s_add_i32 s20, s21, s20
	s_mul_i32 s15, s15, s2
	s_mov_b64 s[10:11], exec
	s_add_i32 s15, s20, s15
	s_mul_i32 s14, s14, s2
                                        ; implicit-def: $vgpr2_vgpr3
                                        ; implicit-def: $vgpr5
	s_or_saveexec_b64 s[12:13], s[12:13]
	v_pk_mov_b32 v[6:7], s[14:15], s[14:15] op_sel:[0,1]
	s_xor_b64 exec, exec, s[12:13]
	s_cbranch_execz .LBB310_7
.LBB310_9:
	s_lshl_b32 s20, s16, 4
	s_lshl_b64 s[14:15], s[4:5], 2
	s_waitcnt lgkmcnt(0)
	s_add_u32 s14, s14, s0
	s_addc_u32 s15, s15, s1
	s_add_u32 s21, s14, 8
	s_addc_u32 s24, s15, 0
	s_lshl_b64 s[6:7], s[6:7], 3
	s_or_b32 s6, s6, 4
	s_mul_i32 s14, s6, s3
	s_mul_hi_u32 s15, s6, s2
	s_add_i32 s14, s15, s14
	s_mul_i32 s7, s7, s2
	s_add_i32 s7, s14, s7
	s_mul_i32 s6, s6, s2
	s_add_u32 s22, s8, s6
	v_and_b32_e32 v4, -4, v2
	s_mov_b32 s23, 0
	s_addc_u32 s25, s9, s7
	v_lshlrev_b32_e32 v6, 2, v0
	v_mov_b32_e32 v7, 0
	s_mov_b64 s[14:15], 0
	v_mov_b32_e32 v10, s19
	v_mov_b32_e32 v11, s25
	;; [unrolled: 1-line block ×4, first 2 shown]
	v_pk_mov_b32 v[8:9], v[4:5], v[4:5] op_sel:[0,1]
.LBB310_10:                             ; =>This Inner Loop Header: Depth=1
	v_add_co_u32_e32 v22, vcc, s18, v6
	v_addc_co_u32_e32 v23, vcc, v10, v7, vcc
	v_add_co_u32_e32 v24, vcc, s22, v6
	v_addc_co_u32_e32 v25, vcc, v11, v7, vcc
	global_load_dwordx4 v[14:17], v[22:23], off
	global_load_dwordx4 v[18:21], v[24:25], off
	v_add_co_u32_e32 v22, vcc, s21, v6
	v_addc_co_u32_e32 v23, vcc, v12, v7, vcc
	v_add_co_u32_e32 v8, vcc, -4, v8
	v_addc_co_u32_e32 v9, vcc, -1, v9, vcc
	v_add_co_u32_e32 v6, vcc, s20, v6
	v_addc_co_u32_e32 v7, vcc, v7, v13, vcc
	v_cmp_eq_u64_e32 vcc, 0, v[8:9]
	s_or_b64 s[14:15], vcc, s[14:15]
	s_waitcnt vmcnt(1)
	v_pk_add_f32 v[14:15], v[14:15], 0 op_sel_hi:[1,0]
	v_pk_add_f32 v[16:17], v[16:17], 0 op_sel_hi:[1,0]
	s_waitcnt vmcnt(0)
	v_pk_add_f32 v[14:15], v[14:15], v[18:19]
	v_pk_add_f32 v[16:17], v[16:17], v[20:21]
	global_store_dwordx4 v[22:23], v[14:17], off offset:-8
	s_andn2_b64 exec, exec, s[14:15]
	s_cbranch_execnz .LBB310_10
; %bb.11:
	s_or_b64 exec, exec, s[14:15]
	v_mad_u64_u32 v[0:1], s[14:15], v4, s16, v[0:1]
	v_mov_b32_e32 v6, v1
	v_mad_u64_u32 v[6:7], s[14:15], v5, s16, v[6:7]
	v_cmp_ne_u64_e32 vcc, v[2:3], v[4:5]
	v_mov_b32_e32 v1, v6
	v_pk_mov_b32 v[6:7], s[6:7], s[6:7] op_sel:[0,1]
	s_andn2_b64 s[6:7], s[10:11], exec
	s_and_b64 s[10:11], vcc, exec
	s_or_b64 s[10:11], s[6:7], s[10:11]
	s_or_b64 exec, exec, s[12:13]
	s_and_b64 exec, exec, s[10:11]
	s_cbranch_execz .LBB310_14
.LBB310_12:
	s_lshl_b64 s[4:5], s[4:5], 2
	s_waitcnt lgkmcnt(0)
	s_add_u32 s4, s0, s4
	s_addc_u32 s6, s1, s5
	s_mov_b32 s7, 0
	v_mov_b32_e32 v5, s9
	v_add_co_u32_e32 v4, vcc, s8, v6
	v_lshlrev_b64 v[2:3], 2, v[0:1]
	s_lshl_b32 s5, s16, 2
	v_addc_co_u32_e32 v5, vcc, v5, v7, vcc
	s_mov_b64 s[0:1], 0
	v_mov_b32_e32 v6, s19
	v_mov_b32_e32 v7, s6
	;; [unrolled: 1-line block ×4, first 2 shown]
.LBB310_13:                             ; =>This Inner Loop Header: Depth=1
	v_add_co_u32_e32 v10, vcc, s18, v2
	v_addc_co_u32_e32 v11, vcc, v6, v3, vcc
	v_add_co_u32_e32 v12, vcc, v4, v2
	v_addc_co_u32_e32 v13, vcc, v5, v3, vcc
	global_load_dword v14, v[10:11], off
	global_load_dword v15, v[12:13], off
	v_add_co_u32_e32 v10, vcc, s4, v2
	v_addc_co_u32_e32 v11, vcc, v7, v3, vcc
	v_add_co_u32_e32 v0, vcc, s16, v0
	v_addc_co_u32_e32 v1, vcc, v1, v8, vcc
	;; [unrolled: 2-line block ×3, first 2 shown]
	v_cmp_le_i64_e32 vcc, s[2:3], v[0:1]
	s_or_b64 s[0:1], vcc, s[0:1]
	s_waitcnt vmcnt(1)
	v_add_f32_e32 v12, 0, v14
	s_waitcnt vmcnt(0)
	v_add_f32_e32 v12, v12, v15
	global_store_dword v[10:11], v12, off
	s_andn2_b64 exec, exec, s[0:1]
	s_cbranch_execnz .LBB310_13
.LBB310_14:
	s_endpgm
	.section	.rodata,"a",@progbits
	.p2align	6, 0x0
	.amdhsa_kernel _ZN4vllm3moe14moe_sum_kernelIfLi2EEEvPT_PKS2_i
		.amdhsa_group_segment_fixed_size 0
		.amdhsa_private_segment_fixed_size 0
		.amdhsa_kernarg_size 280
		.amdhsa_user_sgpr_count 6
		.amdhsa_user_sgpr_private_segment_buffer 1
		.amdhsa_user_sgpr_dispatch_ptr 0
		.amdhsa_user_sgpr_queue_ptr 0
		.amdhsa_user_sgpr_kernarg_segment_ptr 1
		.amdhsa_user_sgpr_dispatch_id 0
		.amdhsa_user_sgpr_flat_scratch_init 0
		.amdhsa_user_sgpr_kernarg_preload_length 0
		.amdhsa_user_sgpr_kernarg_preload_offset 0
		.amdhsa_user_sgpr_private_segment_size 0
		.amdhsa_uses_dynamic_stack 0
		.amdhsa_system_sgpr_private_segment_wavefront_offset 0
		.amdhsa_system_sgpr_workgroup_id_x 1
		.amdhsa_system_sgpr_workgroup_id_y 0
		.amdhsa_system_sgpr_workgroup_id_z 0
		.amdhsa_system_sgpr_workgroup_info 0
		.amdhsa_system_vgpr_workitem_id 0
		.amdhsa_next_free_vgpr 26
		.amdhsa_next_free_sgpr 26
		.amdhsa_accum_offset 28
		.amdhsa_reserve_vcc 1
		.amdhsa_reserve_flat_scratch 0
		.amdhsa_float_round_mode_32 0
		.amdhsa_float_round_mode_16_64 0
		.amdhsa_float_denorm_mode_32 3
		.amdhsa_float_denorm_mode_16_64 3
		.amdhsa_dx10_clamp 1
		.amdhsa_ieee_mode 1
		.amdhsa_fp16_overflow 0
		.amdhsa_tg_split 0
		.amdhsa_exception_fp_ieee_invalid_op 0
		.amdhsa_exception_fp_denorm_src 0
		.amdhsa_exception_fp_ieee_div_zero 0
		.amdhsa_exception_fp_ieee_overflow 0
		.amdhsa_exception_fp_ieee_underflow 0
		.amdhsa_exception_fp_ieee_inexact 0
		.amdhsa_exception_int_div_zero 0
	.end_amdhsa_kernel
	.section	.text._ZN4vllm3moe14moe_sum_kernelIfLi2EEEvPT_PKS2_i,"axG",@progbits,_ZN4vllm3moe14moe_sum_kernelIfLi2EEEvPT_PKS2_i,comdat
.Lfunc_end310:
	.size	_ZN4vllm3moe14moe_sum_kernelIfLi2EEEvPT_PKS2_i, .Lfunc_end310-_ZN4vllm3moe14moe_sum_kernelIfLi2EEEvPT_PKS2_i
                                        ; -- End function
	.section	.AMDGPU.csdata,"",@progbits
; Kernel info:
; codeLenInByte = 1432
; NumSgprs: 30
; NumVgprs: 26
; NumAgprs: 0
; TotalNumVgprs: 26
; ScratchSize: 0
; MemoryBound: 0
; FloatMode: 240
; IeeeMode: 1
; LDSByteSize: 0 bytes/workgroup (compile time only)
; SGPRBlocks: 3
; VGPRBlocks: 3
; NumSGPRsForWavesPerEU: 30
; NumVGPRsForWavesPerEU: 26
; AccumOffset: 28
; Occupancy: 8
; WaveLimiterHint : 0
; COMPUTE_PGM_RSRC2:SCRATCH_EN: 0
; COMPUTE_PGM_RSRC2:USER_SGPR: 6
; COMPUTE_PGM_RSRC2:TRAP_HANDLER: 0
; COMPUTE_PGM_RSRC2:TGID_X_EN: 1
; COMPUTE_PGM_RSRC2:TGID_Y_EN: 0
; COMPUTE_PGM_RSRC2:TGID_Z_EN: 0
; COMPUTE_PGM_RSRC2:TIDIG_COMP_CNT: 0
; COMPUTE_PGM_RSRC3_GFX90A:ACCUM_OFFSET: 6
; COMPUTE_PGM_RSRC3_GFX90A:TG_SPLIT: 0
	.section	.text._ZN4vllm3moe14moe_sum_kernelIN3c104HalfELi2EEEvPT_PKS4_i,"axG",@progbits,_ZN4vllm3moe14moe_sum_kernelIN3c104HalfELi2EEEvPT_PKS4_i,comdat
	.protected	_ZN4vllm3moe14moe_sum_kernelIN3c104HalfELi2EEEvPT_PKS4_i ; -- Begin function _ZN4vllm3moe14moe_sum_kernelIN3c104HalfELi2EEEvPT_PKS4_i
	.globl	_ZN4vllm3moe14moe_sum_kernelIN3c104HalfELi2EEEvPT_PKS4_i
	.p2align	8
	.type	_ZN4vllm3moe14moe_sum_kernelIN3c104HalfELi2EEEvPT_PKS4_i,@function
_ZN4vllm3moe14moe_sum_kernelIN3c104HalfELi2EEEvPT_PKS4_i: ; @_ZN4vllm3moe14moe_sum_kernelIN3c104HalfELi2EEEvPT_PKS4_i
; %bb.0:
	s_load_dword s2, s[4:5], 0x10
	s_waitcnt lgkmcnt(0)
	v_cmp_gt_i32_e32 vcc, s2, v0
	s_and_saveexec_b64 s[0:1], vcc
	s_cbranch_execz .LBB311_14
; %bb.1:
	s_load_dword s0, s[4:5], 0x24
	s_load_dwordx2 s[8:9], s[4:5], 0x8
	s_ashr_i32 s3, s2, 31
	v_mov_b32_e32 v2, s3
	v_mov_b32_e32 v1, 0
	s_waitcnt lgkmcnt(0)
	s_and_b32 s16, s0, 0xffff
	v_add_co_u32_e32 v4, vcc, s16, v0
	v_addc_co_u32_e64 v5, s[0:1], 0, 0, vcc
	v_cmp_lt_i64_e32 vcc, s[2:3], v[4:5]
	v_cndmask_b32_e32 v6, v2, v5, vcc
	v_mov_b32_e32 v2, s2
	v_cndmask_b32_e32 v3, v2, v4, vcc
	v_cmp_gt_i64_e32 vcc, s[2:3], v[4:5]
	v_cndmask_b32_e64 v2, 0, 1, vcc
	v_add_co_u32_e32 v4, vcc, v4, v2
	v_addc_co_u32_e32 v5, vcc, 0, v5, vcc
	v_sub_co_u32_e32 v3, vcc, v3, v4
	v_subb_co_u32_e32 v5, vcc, v6, v5, vcc
	v_mov_b32_e32 v4, v1
	s_mov_b32 s17, 0
	v_cmp_ne_u64_e32 vcc, 0, v[4:5]
                                        ; implicit-def: $vgpr6_vgpr7
	s_and_saveexec_b64 s[0:1], vcc
	s_xor_b64 s[10:11], exec, s[0:1]
	s_cbranch_execz .LBB311_3
; %bb.2:
	v_cvt_f32_u32_e32 v4, s16
	v_mov_b32_e32 v6, 0x4f800000
	s_sub_u32 s0, 0, s16
	s_subb_u32 s1, 0, 0
	v_mac_f32_e32 v4, 0, v6
	v_rcp_f32_e32 v4, v4
	v_mul_f32_e32 v4, 0x5f7ffffc, v4
	v_mul_f32_e32 v6, 0x2f800000, v4
	v_trunc_f32_e32 v6, v6
	v_madmk_f32 v4, v6, 0xcf800000, v4
	v_cvt_u32_f32_e32 v6, v6
	v_cvt_u32_f32_e32 v4, v4
	v_mul_lo_u32 v7, s0, v6
	v_mul_hi_u32 v9, s0, v4
	v_mul_lo_u32 v8, s1, v4
	v_add_u32_e32 v7, v9, v7
	v_mul_lo_u32 v10, s0, v4
	v_add_u32_e32 v7, v7, v8
	v_mul_hi_u32 v9, v4, v10
	v_mul_lo_u32 v11, v4, v7
	v_mul_hi_u32 v8, v4, v7
	v_add_co_u32_e32 v9, vcc, v9, v11
	v_addc_co_u32_e32 v8, vcc, 0, v8, vcc
	v_mul_hi_u32 v12, v6, v10
	v_mul_lo_u32 v10, v6, v10
	v_add_co_u32_e32 v9, vcc, v9, v10
	v_mul_hi_u32 v11, v6, v7
	v_addc_co_u32_e32 v8, vcc, v8, v12, vcc
	v_addc_co_u32_e32 v9, vcc, 0, v11, vcc
	v_mul_lo_u32 v7, v6, v7
	v_add_co_u32_e32 v7, vcc, v8, v7
	v_addc_co_u32_e32 v8, vcc, 0, v9, vcc
	v_add_co_u32_e32 v4, vcc, v4, v7
	v_addc_co_u32_e32 v6, vcc, v6, v8, vcc
	v_mul_lo_u32 v7, s0, v6
	v_mul_hi_u32 v8, s0, v4
	v_add_u32_e32 v7, v8, v7
	v_mul_lo_u32 v8, s1, v4
	v_add_u32_e32 v7, v7, v8
	v_mul_lo_u32 v9, s0, v4
	v_mul_hi_u32 v10, v6, v9
	v_mul_lo_u32 v11, v6, v9
	v_mul_lo_u32 v13, v4, v7
	v_mul_hi_u32 v9, v4, v9
	v_mul_hi_u32 v12, v4, v7
	v_add_co_u32_e32 v9, vcc, v9, v13
	v_addc_co_u32_e32 v12, vcc, 0, v12, vcc
	v_add_co_u32_e32 v9, vcc, v9, v11
	v_mul_hi_u32 v8, v6, v7
	v_addc_co_u32_e32 v9, vcc, v12, v10, vcc
	v_addc_co_u32_e32 v8, vcc, 0, v8, vcc
	v_mul_lo_u32 v7, v6, v7
	v_add_co_u32_e32 v7, vcc, v9, v7
	v_addc_co_u32_e32 v8, vcc, 0, v8, vcc
	v_add_co_u32_e32 v4, vcc, v4, v7
	v_addc_co_u32_e32 v8, vcc, v6, v8, vcc
	v_mad_u64_u32 v[6:7], s[0:1], v3, v8, 0
	v_mul_hi_u32 v9, v3, v4
	v_add_co_u32_e32 v10, vcc, v9, v6
	v_addc_co_u32_e32 v11, vcc, 0, v7, vcc
	v_mad_u64_u32 v[6:7], s[0:1], v5, v8, 0
	v_mad_u64_u32 v[8:9], s[0:1], v5, v4, 0
	v_add_co_u32_e32 v4, vcc, v10, v8
	v_addc_co_u32_e32 v4, vcc, v11, v9, vcc
	v_addc_co_u32_e32 v7, vcc, 0, v7, vcc
	v_add_co_u32_e32 v10, vcc, v4, v6
	v_addc_co_u32_e32 v11, vcc, 0, v7, vcc
	v_mad_u64_u32 v[6:7], s[0:1], s16, v10, 0
	v_mov_b32_e32 v4, v7
	v_mad_u64_u32 v[8:9], s[0:1], s16, v11, v[4:5]
	v_sub_co_u32_e32 v3, vcc, v3, v6
	v_subb_co_u32_e32 v4, vcc, v5, v8, vcc
	v_subrev_co_u32_e32 v5, vcc, s16, v3
	v_subbrev_co_u32_e32 v6, vcc, 0, v4, vcc
	v_cmp_le_u32_e32 vcc, s16, v5
	v_cndmask_b32_e64 v5, 0, -1, vcc
	v_cmp_eq_u32_e32 vcc, 0, v6
	v_cndmask_b32_e32 v5, -1, v5, vcc
	v_add_co_u32_e32 v6, vcc, 2, v10
	v_addc_co_u32_e32 v7, vcc, 0, v11, vcc
	v_add_co_u32_e32 v8, vcc, 1, v10
	v_cmp_le_u32_e64 s[0:1], s16, v3
	v_addc_co_u32_e32 v9, vcc, 0, v11, vcc
	v_cndmask_b32_e64 v3, 0, -1, s[0:1]
	v_cmp_eq_u32_e64 s[0:1], 0, v4
	v_cmp_ne_u32_e32 vcc, 0, v5
	v_cndmask_b32_e64 v3, -1, v3, s[0:1]
	v_cndmask_b32_e32 v5, v9, v7, vcc
	v_cmp_ne_u32_e64 s[0:1], 0, v3
	v_cndmask_b32_e32 v3, v8, v6, vcc
	v_cndmask_b32_e64 v7, v11, v5, s[0:1]
	v_cndmask_b32_e64 v6, v10, v3, s[0:1]
                                        ; implicit-def: $vgpr3
.LBB311_3:
	s_andn2_saveexec_b64 s[0:1], s[10:11]
	s_cbranch_execz .LBB311_5
; %bb.4:
	v_cvt_f32_u32_e32 v4, s16
	s_sub_i32 s7, 0, s16
	v_mov_b32_e32 v7, 0
	v_rcp_iflag_f32_e32 v4, v4
	v_mul_f32_e32 v4, 0x4f7ffffe, v4
	v_cvt_u32_f32_e32 v4, v4
	v_mul_lo_u32 v5, s7, v4
	v_mul_hi_u32 v5, v4, v5
	v_add_u32_e32 v4, v4, v5
	v_mul_hi_u32 v4, v3, v4
	v_mul_lo_u32 v5, v4, s16
	v_sub_u32_e32 v3, v3, v5
	v_add_u32_e32 v6, 1, v4
	v_subrev_u32_e32 v5, s16, v3
	v_cmp_le_u32_e32 vcc, s16, v3
	v_cndmask_b32_e32 v3, v3, v5, vcc
	v_cndmask_b32_e32 v4, v4, v6, vcc
	v_add_u32_e32 v5, 1, v4
	v_cmp_le_u32_e32 vcc, s16, v3
	v_cndmask_b32_e32 v6, v4, v5, vcc
.LBB311_5:
	s_or_b64 exec, exec, s[0:1]
	s_load_dwordx2 s[0:1], s[4:5], 0x0
	s_mul_i32 s4, s6, s3
	s_mul_hi_u32 s5, s6, s2
	v_add_co_u32_e32 v2, vcc, v6, v2
	s_add_i32 s5, s5, s4
	s_mul_i32 s4, s6, s2
	v_addc_co_u32_e32 v3, vcc, 0, v7, vcc
	s_lshl_b64 s[10:11], s[4:5], 2
	v_add_co_u32_e32 v2, vcc, 1, v2
	s_add_u32 s18, s8, s10
	v_addc_co_u32_e32 v3, vcc, 0, v3, vcc
	s_addc_u32 s19, s9, s11
	v_cmp_gt_u64_e32 vcc, 8, v[2:3]
	v_cmp_ne_u16_e64 s[10:11], s16, 1
                                        ; kill: def $vgpr4_vgpr5 killed $sgpr0_sgpr1 killed $exec
	s_mov_b32 s7, 0
	s_or_b64 s[12:13], vcc, s[10:11]
	s_mov_b64 s[10:11], 0
	v_mov_b32_e32 v5, v3
                                        ; implicit-def: $sgpr14_sgpr15
	s_and_saveexec_b64 s[20:21], s[12:13]
	s_xor_b64 s[12:13], exec, s[20:21]
	s_cbranch_execnz .LBB311_8
; %bb.6:
	s_or_saveexec_b64 s[12:13], s[12:13]
	v_pk_mov_b32 v[6:7], s[14:15], s[14:15] op_sel:[0,1]
	s_xor_b64 exec, exec, s[12:13]
	s_cbranch_execnz .LBB311_9
.LBB311_7:
	s_or_b64 exec, exec, s[12:13]
	s_and_b64 exec, exec, s[10:11]
	s_cbranch_execnz .LBB311_12
	s_branch .LBB311_14
.LBB311_8:
	s_lshl_b64 s[14:15], s[6:7], 2
	s_or_b32 s14, s14, 2
	s_mul_i32 s20, s14, s3
	s_mul_hi_u32 s21, s14, s2
	s_add_i32 s20, s21, s20
	s_mul_i32 s15, s15, s2
	s_mov_b64 s[10:11], exec
	s_add_i32 s15, s20, s15
	s_mul_i32 s14, s14, s2
                                        ; implicit-def: $vgpr2_vgpr3
                                        ; implicit-def: $vgpr5
	s_or_saveexec_b64 s[12:13], s[12:13]
	v_pk_mov_b32 v[6:7], s[14:15], s[14:15] op_sel:[0,1]
	s_xor_b64 exec, exec, s[12:13]
	s_cbranch_execz .LBB311_7
.LBB311_9:
	s_lshl_b32 s20, s16, 4
	s_lshl_b64 s[14:15], s[4:5], 1
	s_waitcnt lgkmcnt(0)
	s_add_u32 s14, s14, s0
	s_addc_u32 s15, s15, s1
	s_add_u32 s21, s14, 8
	s_addc_u32 s24, s15, 0
	s_lshl_b64 s[6:7], s[6:7], 2
	s_or_b32 s6, s6, 2
	s_mul_i32 s14, s6, s3
	s_mul_hi_u32 s15, s6, s2
	s_add_i32 s14, s15, s14
	s_mul_i32 s7, s7, s2
	s_add_i32 s7, s14, s7
	s_mul_i32 s6, s6, s2
	s_add_u32 s22, s8, s6
	v_and_b32_e32 v4, -8, v2
	s_mov_b32 s23, 0
	s_addc_u32 s25, s9, s7
	v_lshlrev_b32_e32 v6, 1, v0
	v_mov_b32_e32 v7, 0
	s_mov_b64 s[14:15], 0
	v_mov_b32_e32 v10, s19
	v_mov_b32_e32 v11, s25
	;; [unrolled: 1-line block ×4, first 2 shown]
	v_pk_mov_b32 v[8:9], v[4:5], v[4:5] op_sel:[0,1]
.LBB311_10:                             ; =>This Inner Loop Header: Depth=1
	v_add_co_u32_e32 v22, vcc, s18, v6
	v_addc_co_u32_e32 v23, vcc, v10, v7, vcc
	v_add_co_u32_e32 v24, vcc, s22, v6
	v_addc_co_u32_e32 v25, vcc, v11, v7, vcc
	global_load_dwordx4 v[14:17], v[22:23], off
	global_load_dwordx4 v[18:21], v[24:25], off
	v_add_co_u32_e32 v22, vcc, s21, v6
	v_addc_co_u32_e32 v23, vcc, v12, v7, vcc
	v_add_co_u32_e32 v8, vcc, -8, v8
	v_addc_co_u32_e32 v9, vcc, -1, v9, vcc
	v_add_co_u32_e32 v6, vcc, s20, v6
	v_addc_co_u32_e32 v7, vcc, v7, v13, vcc
	v_cmp_eq_u64_e32 vcc, 0, v[8:9]
	s_or_b64 s[14:15], vcc, s[14:15]
	s_waitcnt vmcnt(1)
	v_pk_add_f16 v14, v14, 0
	v_pk_add_f16 v15, v15, 0
	;; [unrolled: 1-line block ×4, first 2 shown]
	s_waitcnt vmcnt(0)
	v_pk_add_f16 v15, v15, v19
	v_pk_add_f16 v14, v14, v18
	;; [unrolled: 1-line block ×4, first 2 shown]
	global_store_dwordx4 v[22:23], v[14:17], off offset:-8
	s_andn2_b64 exec, exec, s[14:15]
	s_cbranch_execnz .LBB311_10
; %bb.11:
	s_or_b64 exec, exec, s[14:15]
	v_mad_u64_u32 v[0:1], s[14:15], v4, s16, v[0:1]
	v_mov_b32_e32 v6, v1
	v_mad_u64_u32 v[6:7], s[14:15], v5, s16, v[6:7]
	v_cmp_ne_u64_e32 vcc, v[2:3], v[4:5]
	v_mov_b32_e32 v1, v6
	v_pk_mov_b32 v[6:7], s[6:7], s[6:7] op_sel:[0,1]
	s_andn2_b64 s[6:7], s[10:11], exec
	s_and_b64 s[10:11], vcc, exec
	s_or_b64 s[10:11], s[6:7], s[10:11]
	s_or_b64 exec, exec, s[12:13]
	s_and_b64 exec, exec, s[10:11]
	s_cbranch_execz .LBB311_14
.LBB311_12:
	s_lshl_b64 s[4:5], s[4:5], 1
	s_waitcnt lgkmcnt(0)
	s_add_u32 s4, s0, s4
	s_addc_u32 s6, s1, s5
	s_mov_b32 s7, 0
	v_mov_b32_e32 v5, s9
	v_add_co_u32_e32 v4, vcc, s8, v6
	v_lshlrev_b64 v[2:3], 1, v[0:1]
	s_lshl_b32 s5, s16, 1
	v_addc_co_u32_e32 v5, vcc, v5, v7, vcc
	s_mov_b64 s[0:1], 0
	v_mov_b32_e32 v6, s19
	v_mov_b32_e32 v7, s6
	;; [unrolled: 1-line block ×4, first 2 shown]
.LBB311_13:                             ; =>This Inner Loop Header: Depth=1
	v_add_co_u32_e32 v10, vcc, s18, v2
	v_addc_co_u32_e32 v11, vcc, v6, v3, vcc
	v_add_co_u32_e32 v12, vcc, v4, v2
	v_addc_co_u32_e32 v13, vcc, v5, v3, vcc
	global_load_ushort v14, v[10:11], off
	global_load_ushort v15, v[12:13], off
	v_add_co_u32_e32 v10, vcc, s4, v2
	v_addc_co_u32_e32 v11, vcc, v7, v3, vcc
	v_add_co_u32_e32 v0, vcc, s16, v0
	v_addc_co_u32_e32 v1, vcc, v1, v8, vcc
	;; [unrolled: 2-line block ×3, first 2 shown]
	v_cmp_le_i64_e32 vcc, s[2:3], v[0:1]
	s_or_b64 s[0:1], vcc, s[0:1]
	s_waitcnt vmcnt(1)
	v_add_f16_e32 v12, 0, v14
	s_waitcnt vmcnt(0)
	v_add_f16_e32 v12, v12, v15
	global_store_short v[10:11], v12, off
	s_andn2_b64 exec, exec, s[0:1]
	s_cbranch_execnz .LBB311_13
.LBB311_14:
	s_endpgm
	.section	.rodata,"a",@progbits
	.p2align	6, 0x0
	.amdhsa_kernel _ZN4vllm3moe14moe_sum_kernelIN3c104HalfELi2EEEvPT_PKS4_i
		.amdhsa_group_segment_fixed_size 0
		.amdhsa_private_segment_fixed_size 0
		.amdhsa_kernarg_size 280
		.amdhsa_user_sgpr_count 6
		.amdhsa_user_sgpr_private_segment_buffer 1
		.amdhsa_user_sgpr_dispatch_ptr 0
		.amdhsa_user_sgpr_queue_ptr 0
		.amdhsa_user_sgpr_kernarg_segment_ptr 1
		.amdhsa_user_sgpr_dispatch_id 0
		.amdhsa_user_sgpr_flat_scratch_init 0
		.amdhsa_user_sgpr_kernarg_preload_length 0
		.amdhsa_user_sgpr_kernarg_preload_offset 0
		.amdhsa_user_sgpr_private_segment_size 0
		.amdhsa_uses_dynamic_stack 0
		.amdhsa_system_sgpr_private_segment_wavefront_offset 0
		.amdhsa_system_sgpr_workgroup_id_x 1
		.amdhsa_system_sgpr_workgroup_id_y 0
		.amdhsa_system_sgpr_workgroup_id_z 0
		.amdhsa_system_sgpr_workgroup_info 0
		.amdhsa_system_vgpr_workitem_id 0
		.amdhsa_next_free_vgpr 26
		.amdhsa_next_free_sgpr 26
		.amdhsa_accum_offset 28
		.amdhsa_reserve_vcc 1
		.amdhsa_reserve_flat_scratch 0
		.amdhsa_float_round_mode_32 0
		.amdhsa_float_round_mode_16_64 0
		.amdhsa_float_denorm_mode_32 3
		.amdhsa_float_denorm_mode_16_64 3
		.amdhsa_dx10_clamp 1
		.amdhsa_ieee_mode 1
		.amdhsa_fp16_overflow 0
		.amdhsa_tg_split 0
		.amdhsa_exception_fp_ieee_invalid_op 0
		.amdhsa_exception_fp_denorm_src 0
		.amdhsa_exception_fp_ieee_div_zero 0
		.amdhsa_exception_fp_ieee_overflow 0
		.amdhsa_exception_fp_ieee_underflow 0
		.amdhsa_exception_fp_ieee_inexact 0
		.amdhsa_exception_int_div_zero 0
	.end_amdhsa_kernel
	.section	.text._ZN4vllm3moe14moe_sum_kernelIN3c104HalfELi2EEEvPT_PKS4_i,"axG",@progbits,_ZN4vllm3moe14moe_sum_kernelIN3c104HalfELi2EEEvPT_PKS4_i,comdat
.Lfunc_end311:
	.size	_ZN4vllm3moe14moe_sum_kernelIN3c104HalfELi2EEEvPT_PKS4_i, .Lfunc_end311-_ZN4vllm3moe14moe_sum_kernelIN3c104HalfELi2EEEvPT_PKS4_i
                                        ; -- End function
	.section	.AMDGPU.csdata,"",@progbits
; Kernel info:
; codeLenInByte = 1464
; NumSgprs: 30
; NumVgprs: 26
; NumAgprs: 0
; TotalNumVgprs: 26
; ScratchSize: 0
; MemoryBound: 0
; FloatMode: 240
; IeeeMode: 1
; LDSByteSize: 0 bytes/workgroup (compile time only)
; SGPRBlocks: 3
; VGPRBlocks: 3
; NumSGPRsForWavesPerEU: 30
; NumVGPRsForWavesPerEU: 26
; AccumOffset: 28
; Occupancy: 8
; WaveLimiterHint : 0
; COMPUTE_PGM_RSRC2:SCRATCH_EN: 0
; COMPUTE_PGM_RSRC2:USER_SGPR: 6
; COMPUTE_PGM_RSRC2:TRAP_HANDLER: 0
; COMPUTE_PGM_RSRC2:TGID_X_EN: 1
; COMPUTE_PGM_RSRC2:TGID_Y_EN: 0
; COMPUTE_PGM_RSRC2:TGID_Z_EN: 0
; COMPUTE_PGM_RSRC2:TIDIG_COMP_CNT: 0
; COMPUTE_PGM_RSRC3_GFX90A:ACCUM_OFFSET: 6
; COMPUTE_PGM_RSRC3_GFX90A:TG_SPLIT: 0
	.section	.text._ZN4vllm3moe14moe_sum_kernelIN3c108BFloat16ELi2EEEvPT_PKS4_i,"axG",@progbits,_ZN4vllm3moe14moe_sum_kernelIN3c108BFloat16ELi2EEEvPT_PKS4_i,comdat
	.protected	_ZN4vllm3moe14moe_sum_kernelIN3c108BFloat16ELi2EEEvPT_PKS4_i ; -- Begin function _ZN4vllm3moe14moe_sum_kernelIN3c108BFloat16ELi2EEEvPT_PKS4_i
	.globl	_ZN4vllm3moe14moe_sum_kernelIN3c108BFloat16ELi2EEEvPT_PKS4_i
	.p2align	8
	.type	_ZN4vllm3moe14moe_sum_kernelIN3c108BFloat16ELi2EEEvPT_PKS4_i,@function
_ZN4vllm3moe14moe_sum_kernelIN3c108BFloat16ELi2EEEvPT_PKS4_i: ; @_ZN4vllm3moe14moe_sum_kernelIN3c108BFloat16ELi2EEEvPT_PKS4_i
; %bb.0:
	s_load_dword s12, s[4:5], 0x10
	s_waitcnt lgkmcnt(0)
	v_cmp_gt_i32_e32 vcc, s12, v0
	s_and_saveexec_b64 s[0:1], vcc
	s_cbranch_execz .LBB312_14
; %bb.1:
	s_load_dword s0, s[4:5], 0x24
	s_load_dwordx4 s[8:11], s[4:5], 0x0
	s_ashr_i32 s13, s12, 31
	v_mov_b32_e32 v2, s13
	v_mov_b32_e32 v1, 0
	s_waitcnt lgkmcnt(0)
	s_and_b32 s18, s0, 0xffff
	v_add_co_u32_e32 v4, vcc, s18, v0
	v_addc_co_u32_e64 v5, s[0:1], 0, 0, vcc
	v_cmp_lt_i64_e32 vcc, s[12:13], v[4:5]
	v_cndmask_b32_e32 v6, v2, v5, vcc
	v_mov_b32_e32 v2, s12
	v_cndmask_b32_e32 v3, v2, v4, vcc
	v_cmp_gt_i64_e32 vcc, s[12:13], v[4:5]
	v_cndmask_b32_e64 v2, 0, 1, vcc
	v_add_co_u32_e32 v4, vcc, v4, v2
	v_addc_co_u32_e32 v5, vcc, 0, v5, vcc
	v_sub_co_u32_e32 v3, vcc, v3, v4
	v_subb_co_u32_e32 v5, vcc, v6, v5, vcc
	v_mov_b32_e32 v4, v1
	s_mov_b32 s19, 0
	v_cmp_ne_u64_e32 vcc, 0, v[4:5]
                                        ; implicit-def: $vgpr6_vgpr7
	s_and_saveexec_b64 s[0:1], vcc
	s_xor_b64 s[2:3], exec, s[0:1]
	s_cbranch_execz .LBB312_3
; %bb.2:
	v_cvt_f32_u32_e32 v4, s18
	v_mov_b32_e32 v6, 0x4f800000
	s_sub_u32 s0, 0, s18
	s_subb_u32 s1, 0, 0
	v_mac_f32_e32 v4, 0, v6
	v_rcp_f32_e32 v4, v4
	v_mul_f32_e32 v4, 0x5f7ffffc, v4
	v_mul_f32_e32 v6, 0x2f800000, v4
	v_trunc_f32_e32 v6, v6
	v_madmk_f32 v4, v6, 0xcf800000, v4
	v_cvt_u32_f32_e32 v6, v6
	v_cvt_u32_f32_e32 v4, v4
	v_mul_lo_u32 v7, s0, v6
	v_mul_hi_u32 v9, s0, v4
	v_mul_lo_u32 v8, s1, v4
	v_add_u32_e32 v7, v9, v7
	v_mul_lo_u32 v10, s0, v4
	v_add_u32_e32 v7, v7, v8
	v_mul_hi_u32 v9, v4, v10
	v_mul_lo_u32 v11, v4, v7
	v_mul_hi_u32 v8, v4, v7
	v_add_co_u32_e32 v9, vcc, v9, v11
	v_addc_co_u32_e32 v8, vcc, 0, v8, vcc
	v_mul_hi_u32 v12, v6, v10
	v_mul_lo_u32 v10, v6, v10
	v_add_co_u32_e32 v9, vcc, v9, v10
	v_mul_hi_u32 v11, v6, v7
	v_addc_co_u32_e32 v8, vcc, v8, v12, vcc
	v_addc_co_u32_e32 v9, vcc, 0, v11, vcc
	v_mul_lo_u32 v7, v6, v7
	v_add_co_u32_e32 v7, vcc, v8, v7
	v_addc_co_u32_e32 v8, vcc, 0, v9, vcc
	v_add_co_u32_e32 v4, vcc, v4, v7
	v_addc_co_u32_e32 v6, vcc, v6, v8, vcc
	v_mul_lo_u32 v7, s0, v6
	v_mul_hi_u32 v8, s0, v4
	v_add_u32_e32 v7, v8, v7
	v_mul_lo_u32 v8, s1, v4
	v_add_u32_e32 v7, v7, v8
	v_mul_lo_u32 v9, s0, v4
	v_mul_hi_u32 v10, v6, v9
	v_mul_lo_u32 v11, v6, v9
	v_mul_lo_u32 v13, v4, v7
	v_mul_hi_u32 v9, v4, v9
	v_mul_hi_u32 v12, v4, v7
	v_add_co_u32_e32 v9, vcc, v9, v13
	v_addc_co_u32_e32 v12, vcc, 0, v12, vcc
	v_add_co_u32_e32 v9, vcc, v9, v11
	v_mul_hi_u32 v8, v6, v7
	v_addc_co_u32_e32 v9, vcc, v12, v10, vcc
	v_addc_co_u32_e32 v8, vcc, 0, v8, vcc
	v_mul_lo_u32 v7, v6, v7
	v_add_co_u32_e32 v7, vcc, v9, v7
	v_addc_co_u32_e32 v8, vcc, 0, v8, vcc
	v_add_co_u32_e32 v4, vcc, v4, v7
	v_addc_co_u32_e32 v8, vcc, v6, v8, vcc
	v_mad_u64_u32 v[6:7], s[0:1], v3, v8, 0
	v_mul_hi_u32 v9, v3, v4
	v_add_co_u32_e32 v10, vcc, v9, v6
	v_addc_co_u32_e32 v11, vcc, 0, v7, vcc
	v_mad_u64_u32 v[6:7], s[0:1], v5, v8, 0
	v_mad_u64_u32 v[8:9], s[0:1], v5, v4, 0
	v_add_co_u32_e32 v4, vcc, v10, v8
	v_addc_co_u32_e32 v4, vcc, v11, v9, vcc
	v_addc_co_u32_e32 v7, vcc, 0, v7, vcc
	v_add_co_u32_e32 v10, vcc, v4, v6
	v_addc_co_u32_e32 v11, vcc, 0, v7, vcc
	v_mad_u64_u32 v[6:7], s[0:1], s18, v10, 0
	v_mov_b32_e32 v4, v7
	v_mad_u64_u32 v[8:9], s[0:1], s18, v11, v[4:5]
	v_sub_co_u32_e32 v3, vcc, v3, v6
	v_subb_co_u32_e32 v4, vcc, v5, v8, vcc
	v_subrev_co_u32_e32 v5, vcc, s18, v3
	v_subbrev_co_u32_e32 v6, vcc, 0, v4, vcc
	v_cmp_le_u32_e32 vcc, s18, v5
	v_cndmask_b32_e64 v5, 0, -1, vcc
	v_cmp_eq_u32_e32 vcc, 0, v6
	v_cndmask_b32_e32 v5, -1, v5, vcc
	v_add_co_u32_e32 v6, vcc, 2, v10
	v_addc_co_u32_e32 v7, vcc, 0, v11, vcc
	v_add_co_u32_e32 v8, vcc, 1, v10
	v_cmp_le_u32_e64 s[0:1], s18, v3
	v_addc_co_u32_e32 v9, vcc, 0, v11, vcc
	v_cndmask_b32_e64 v3, 0, -1, s[0:1]
	v_cmp_eq_u32_e64 s[0:1], 0, v4
	v_cmp_ne_u32_e32 vcc, 0, v5
	v_cndmask_b32_e64 v3, -1, v3, s[0:1]
	v_cndmask_b32_e32 v5, v9, v7, vcc
	v_cmp_ne_u32_e64 s[0:1], 0, v3
	v_cndmask_b32_e32 v3, v8, v6, vcc
	v_cndmask_b32_e64 v7, v11, v5, s[0:1]
	v_cndmask_b32_e64 v6, v10, v3, s[0:1]
                                        ; implicit-def: $vgpr3
.LBB312_3:
	s_andn2_saveexec_b64 s[0:1], s[2:3]
	s_cbranch_execz .LBB312_5
; %bb.4:
	v_cvt_f32_u32_e32 v4, s18
	s_sub_i32 s2, 0, s18
	v_mov_b32_e32 v7, 0
	v_rcp_iflag_f32_e32 v4, v4
	v_mul_f32_e32 v4, 0x4f7ffffe, v4
	v_cvt_u32_f32_e32 v4, v4
	v_mul_lo_u32 v5, s2, v4
	v_mul_hi_u32 v5, v4, v5
	v_add_u32_e32 v4, v4, v5
	v_mul_hi_u32 v4, v3, v4
	v_mul_lo_u32 v5, v4, s18
	v_sub_u32_e32 v3, v3, v5
	v_add_u32_e32 v6, 1, v4
	v_subrev_u32_e32 v5, s18, v3
	v_cmp_le_u32_e32 vcc, s18, v3
	v_cndmask_b32_e32 v3, v3, v5, vcc
	v_cndmask_b32_e32 v4, v4, v6, vcc
	v_add_u32_e32 v5, 1, v4
	v_cmp_le_u32_e32 vcc, s18, v3
	v_cndmask_b32_e32 v6, v4, v5, vcc
.LBB312_5:
	s_or_b64 exec, exec, s[0:1]
	s_mul_i32 s0, s6, s13
	s_mul_hi_u32 s1, s6, s12
	s_add_i32 s1, s1, s0
	s_mul_i32 s0, s6, s12
	s_lshl_b64 s[2:3], s[0:1], 2
	v_add_co_u32_e32 v2, vcc, v6, v2
	s_add_u32 s20, s10, s2
	v_addc_co_u32_e32 v3, vcc, 0, v7, vcc
	s_addc_u32 s22, s11, s3
	s_lshl_b64 s[0:1], s[0:1], 1
	v_add_co_u32_e32 v2, vcc, 1, v2
	s_add_u32 s21, s8, s0
	v_addc_co_u32_e32 v3, vcc, 0, v3, vcc
	s_addc_u32 s23, s9, s1
	v_cmp_gt_u64_e32 vcc, 4, v[2:3]
	v_cmp_ne_u16_e64 s[0:1], s18, 1
                                        ; kill: def $vgpr4_vgpr5 killed $sgpr0_sgpr1 killed $exec
	s_mov_b32 s7, 0
	s_or_b64 s[2:3], vcc, s[0:1]
	s_mov_b64 s[8:9], 0
	v_mov_b32_e32 v5, v3
                                        ; implicit-def: $sgpr0_sgpr1
	s_and_saveexec_b64 s[4:5], s[2:3]
	s_xor_b64 s[2:3], exec, s[4:5]
	s_cbranch_execnz .LBB312_8
; %bb.6:
	s_or_saveexec_b64 s[14:15], s[2:3]
	v_pk_mov_b32 v[6:7], s[0:1], s[0:1] op_sel:[0,1]
	s_xor_b64 exec, exec, s[14:15]
	s_cbranch_execnz .LBB312_9
.LBB312_7:
	s_or_b64 exec, exec, s[14:15]
	s_and_b64 exec, exec, s[8:9]
	s_cbranch_execnz .LBB312_12
	s_branch .LBB312_14
.LBB312_8:
	s_lshl_b64 s[0:1], s[6:7], 2
	s_or_b32 s0, s0, 2
	s_mul_i32 s4, s0, s13
	s_mul_hi_u32 s5, s0, s12
	s_add_i32 s4, s5, s4
	s_mul_i32 s1, s1, s12
	s_mov_b64 s[8:9], exec
	s_add_i32 s1, s4, s1
	s_mul_i32 s0, s0, s12
                                        ; implicit-def: $vgpr2_vgpr3
                                        ; implicit-def: $vgpr5
	s_or_saveexec_b64 s[14:15], s[2:3]
	v_pk_mov_b32 v[6:7], s[0:1], s[0:1] op_sel:[0,1]
	s_xor_b64 exec, exec, s[14:15]
	s_cbranch_execz .LBB312_7
.LBB312_9:
	s_lshl_b64 s[0:1], s[6:7], 2
	s_or_b32 s0, s0, 2
	s_mul_i32 s3, s0, s13
	s_mul_hi_u32 s4, s0, s12
	s_add_i32 s3, s4, s3
	s_mul_i32 s1, s1, s12
	s_lshl_b32 s24, s18, 3
	s_add_i32 s7, s3, s1
	s_mul_i32 s6, s0, s12
	s_add_u32 s25, s10, s6
	v_and_b32_e32 v4, -4, v2
	s_mov_b32 s2, 0
	s_addc_u32 s0, s11, s7
	v_lshlrev_b32_e32 v6, 1, v0
	v_mov_b32_e32 v7, 0
	s_mov_b64 s[16:17], 0
	v_mov_b32_e32 v12, s22
	s_movk_i32 s26, 0xff
	s_mov_b32 s27, 0xff000000
	s_movk_i32 s28, 0x7fff
	v_mov_b32_e32 v13, 0x7fc0
	v_mov_b32_e32 v14, s0
	s_mov_b32 s29, 0x5040100
	v_mov_b32_e32 v15, s23
	v_mov_b32_e32 v16, s2
	v_pk_mov_b32 v[8:9], v[4:5], v[4:5] op_sel:[0,1]
.LBB312_10:                             ; =>This Inner Loop Header: Depth=1
	v_add_co_u32_e32 v10, vcc, s20, v6
	v_addc_co_u32_e32 v11, vcc, v12, v7, vcc
	v_add_co_u32_e32 v18, vcc, s25, v6
	v_addc_co_u32_e32 v19, vcc, v14, v7, vcc
	global_load_dwordx2 v[22:23], v[10:11], off
	global_load_dwordx2 v[24:25], v[18:19], off
	v_add_co_u32_e32 v20, vcc, s21, v6
	v_addc_co_u32_e32 v21, vcc, v15, v7, vcc
	v_add_co_u32_e32 v8, vcc, -4, v8
	v_addc_co_u32_e32 v9, vcc, -1, v9, vcc
	v_add_co_u32_e32 v6, vcc, s24, v6
	v_addc_co_u32_e32 v7, vcc, v7, v16, vcc
	v_cmp_eq_u64_e32 vcc, 0, v[8:9]
	s_or_b64 s[16:17], vcc, s[16:17]
	s_waitcnt vmcnt(1)
	v_pk_lshrrev_b16 v10, 8, v23 op_sel_hi:[0,1]
	v_pk_lshrrev_b16 v17, 8, v22 op_sel_hi:[0,1]
	v_and_b32_e32 v11, 0xff, v23
	v_and_b32_sdwa v18, v23, s26 dst_sel:DWORD dst_unused:UNUSED_PAD src0_sel:WORD_1 src1_sel:DWORD
	v_and_b32_e32 v19, 0xff, v22
	v_and_b32_sdwa v22, v22, s26 dst_sel:DWORD dst_unused:UNUSED_PAD src0_sel:WORD_1 src1_sel:DWORD
	s_waitcnt vmcnt(0)
	v_pk_lshrrev_b16 v23, 8, v24 op_sel_hi:[0,1]
	v_and_b32_e32 v27, 0xff, v24
	v_and_b32_sdwa v24, v24, s26 dst_sel:DWORD dst_unused:UNUSED_PAD src0_sel:WORD_1 src1_sel:DWORD
	v_and_b32_e32 v28, 0xff, v25
	v_lshlrev_b32_e32 v22, 16, v22
	v_lshlrev_b32_e32 v19, 16, v19
	;; [unrolled: 1-line block ×6, first 2 shown]
	v_pk_lshrrev_b16 v26, 8, v25 op_sel_hi:[0,1]
	v_and_b32_sdwa v25, v25, s26 dst_sel:DWORD dst_unused:UNUSED_PAD src0_sel:WORD_1 src1_sel:DWORD
	v_lshlrev_b32_e32 v28, 16, v28
	v_lshlrev_b32_e32 v24, 16, v24
	;; [unrolled: 1-line block ×4, first 2 shown]
	v_lshl_or_b32 v10, v10, 24, v11
	v_and_or_b32 v11, v30, s27, v18
	v_lshl_or_b32 v18, v17, 24, v19
	v_and_or_b32 v19, v29, s27, v22
	v_lshlrev_b32_e32 v25, 16, v25
	v_lshlrev_b32_e32 v31, 8, v26
	v_lshl_or_b32 v22, v23, 24, v27
	v_and_or_b32 v23, v32, s27, v24
	v_lshl_or_b32 v24, v26, 24, v28
	v_pk_add_f32 v[26:27], v[18:19], 0 op_sel_hi:[1,0]
	v_pk_add_f32 v[28:29], v[10:11], 0 op_sel_hi:[1,0]
	v_and_or_b32 v25, v31, s27, v25
	v_bfe_u32 v17, v28, 16, 1
	v_bfe_u32 v30, v29, 16, 1
	;; [unrolled: 1-line block ×4, first 2 shown]
	v_add3_u32 v27, v27, v32, s28
	v_add3_u32 v26, v26, v31, s28
	v_add3_u32 v29, v29, v30, s28
	v_add3_u32 v17, v28, v17, s28
	v_lshrrev_b32_e32 v17, 16, v17
	v_lshrrev_b32_e32 v28, 16, v29
	v_lshrrev_b32_e32 v26, 16, v26
	v_lshrrev_b32_e32 v27, 16, v27
	v_cmp_o_f32_e32 vcc, v11, v11
	v_cmp_o_f32_e64 s[0:1], v18, v18
	v_cmp_o_f32_e64 s[2:3], v19, v19
	;; [unrolled: 1-line block ×3, first 2 shown]
	v_cndmask_b32_e64 v10, v13, v17, s[4:5]
	v_cndmask_b32_e32 v11, v13, v28, vcc
	v_cndmask_b32_e64 v17, v13, v26, s[0:1]
	v_cndmask_b32_e64 v18, v13, v27, s[2:3]
	v_perm_b32 v19, v18, v17, s29
	v_perm_b32 v26, v11, v10, s29
	v_and_b32_e32 v17, 0xff, v17
	v_and_b32_e32 v18, 0xff, v18
	;; [unrolled: 1-line block ×4, first 2 shown]
	v_pk_lshrrev_b16 v19, 8, v19 op_sel_hi:[0,1]
	v_pk_lshrrev_b16 v26, 8, v26 op_sel_hi:[0,1]
	v_lshlrev_b32_e32 v27, 16, v11
	v_lshlrev_b32_e32 v11, 16, v10
	;; [unrolled: 1-line block ×6, first 2 shown]
	v_lshl_or_b32 v10, v19, 24, v10
	v_lshl_or_b32 v18, v26, 24, v11
	v_and_or_b32 v11, v29, s27, v28
	v_and_or_b32 v19, v17, s27, v27
	v_pk_add_f32 v[18:19], v[18:19], v[24:25]
	v_pk_add_f32 v[10:11], v[10:11], v[22:23]
	v_bfe_u32 v17, v18, 16, 1
	v_bfe_u32 v22, v19, 16, 1
	;; [unrolled: 1-line block ×4, first 2 shown]
	v_add3_u32 v24, v11, v24, s28
	v_add3_u32 v23, v10, v23, s28
	;; [unrolled: 1-line block ×4, first 2 shown]
	v_lshrrev_b32_e32 v17, 16, v17
	v_lshrrev_b32_e32 v22, 16, v22
	;; [unrolled: 1-line block ×4, first 2 shown]
	v_cmp_o_f32_e32 vcc, v19, v19
	v_cmp_o_f32_e64 s[0:1], v10, v10
	v_cmp_o_f32_e64 s[2:3], v11, v11
	;; [unrolled: 1-line block ×3, first 2 shown]
	v_cndmask_b32_e64 v10, v13, v17, s[4:5]
	v_cndmask_b32_e32 v11, v13, v22, vcc
	v_cndmask_b32_e64 v17, v13, v23, s[0:1]
	v_cndmask_b32_e64 v18, v13, v24, s[2:3]
	v_perm_b32 v11, v11, v10, s29
	v_perm_b32 v10, v18, v17, s29
	global_store_dwordx2 v[20:21], v[10:11], off
	s_andn2_b64 exec, exec, s[16:17]
	s_cbranch_execnz .LBB312_10
; %bb.11:
	s_or_b64 exec, exec, s[16:17]
	v_mad_u64_u32 v[0:1], s[0:1], v4, s18, v[0:1]
	v_mov_b32_e32 v6, v1
	v_mad_u64_u32 v[6:7], s[0:1], v5, s18, v[6:7]
	v_cmp_ne_u64_e32 vcc, v[2:3], v[4:5]
	s_andn2_b64 s[0:1], s[8:9], exec
	s_and_b64 s[2:3], vcc, exec
	v_mov_b32_e32 v1, v6
	v_pk_mov_b32 v[6:7], s[6:7], s[6:7] op_sel:[0,1]
	s_or_b64 s[8:9], s[0:1], s[2:3]
	s_or_b64 exec, exec, s[14:15]
	s_and_b64 exec, exec, s[8:9]
	s_cbranch_execz .LBB312_14
.LBB312_12:
	s_mov_b32 s4, 0
	v_mov_b32_e32 v5, s11
	v_add_co_u32_e32 v4, vcc, s10, v6
	v_lshlrev_b64 v[2:3], 1, v[0:1]
	s_lshl_b32 s2, s18, 1
	v_addc_co_u32_e32 v5, vcc, v5, v7, vcc
	s_mov_b64 s[0:1], 0
	v_mov_b32_e32 v6, s22
	s_movk_i32 s3, 0x7fff
	v_mov_b32_e32 v7, 0x7fc0
	v_mov_b32_e32 v8, s23
	;; [unrolled: 1-line block ×4, first 2 shown]
.LBB312_13:                             ; =>This Inner Loop Header: Depth=1
	v_add_co_u32_e32 v12, vcc, s20, v2
	v_addc_co_u32_e32 v13, vcc, v6, v3, vcc
	v_add_co_u32_e32 v14, vcc, v4, v2
	v_addc_co_u32_e32 v15, vcc, v5, v3, vcc
	global_load_ushort v11, v[12:13], off
	global_load_ushort v16, v[14:15], off
	v_add_co_u32_e32 v12, vcc, s21, v2
	v_addc_co_u32_e32 v13, vcc, v8, v3, vcc
	v_add_co_u32_e32 v0, vcc, s18, v0
	v_addc_co_u32_e32 v1, vcc, v1, v9, vcc
	;; [unrolled: 2-line block ×3, first 2 shown]
	v_cmp_le_i64_e32 vcc, s[12:13], v[0:1]
	s_or_b64 s[0:1], vcc, s[0:1]
	s_waitcnt vmcnt(1)
	v_lshrrev_b16_e32 v14, 8, v11
	v_and_b32_e32 v11, 0xff, v11
	s_waitcnt vmcnt(0)
	v_lshrrev_b16_e32 v15, 8, v16
	v_and_b32_e32 v16, 0xff, v16
	v_lshlrev_b32_e32 v11, 16, v11
	v_lshlrev_b32_e32 v16, 16, v16
	v_lshl_or_b32 v11, v14, 24, v11
	v_lshl_or_b32 v14, v15, 24, v16
	v_add_f32_e32 v15, 0, v11
	v_bfe_u32 v16, v15, 16, 1
	v_add3_u32 v15, v15, v16, s3
	v_lshrrev_b32_e32 v15, 16, v15
	v_cmp_o_f32_e32 vcc, v11, v11
	v_cndmask_b32_e32 v11, v7, v15, vcc
	v_lshrrev_b16_e32 v15, 8, v11
	v_and_b32_e32 v11, 0xff, v11
	v_lshlrev_b32_e32 v11, 16, v11
	v_lshl_or_b32 v11, v15, 24, v11
	v_add_f32_e32 v11, v11, v14
	v_bfe_u32 v14, v11, 16, 1
	v_add3_u32 v14, v11, v14, s3
	v_lshrrev_b32_e32 v14, 16, v14
	v_cmp_o_f32_e32 vcc, v11, v11
	v_cndmask_b32_e32 v11, v7, v14, vcc
	global_store_short v[12:13], v11, off
	s_andn2_b64 exec, exec, s[0:1]
	s_cbranch_execnz .LBB312_13
.LBB312_14:
	s_endpgm
	.section	.rodata,"a",@progbits
	.p2align	6, 0x0
	.amdhsa_kernel _ZN4vllm3moe14moe_sum_kernelIN3c108BFloat16ELi2EEEvPT_PKS4_i
		.amdhsa_group_segment_fixed_size 0
		.amdhsa_private_segment_fixed_size 0
		.amdhsa_kernarg_size 280
		.amdhsa_user_sgpr_count 6
		.amdhsa_user_sgpr_private_segment_buffer 1
		.amdhsa_user_sgpr_dispatch_ptr 0
		.amdhsa_user_sgpr_queue_ptr 0
		.amdhsa_user_sgpr_kernarg_segment_ptr 1
		.amdhsa_user_sgpr_dispatch_id 0
		.amdhsa_user_sgpr_flat_scratch_init 0
		.amdhsa_user_sgpr_kernarg_preload_length 0
		.amdhsa_user_sgpr_kernarg_preload_offset 0
		.amdhsa_user_sgpr_private_segment_size 0
		.amdhsa_uses_dynamic_stack 0
		.amdhsa_system_sgpr_private_segment_wavefront_offset 0
		.amdhsa_system_sgpr_workgroup_id_x 1
		.amdhsa_system_sgpr_workgroup_id_y 0
		.amdhsa_system_sgpr_workgroup_id_z 0
		.amdhsa_system_sgpr_workgroup_info 0
		.amdhsa_system_vgpr_workitem_id 0
		.amdhsa_next_free_vgpr 33
		.amdhsa_next_free_sgpr 30
		.amdhsa_accum_offset 36
		.amdhsa_reserve_vcc 1
		.amdhsa_reserve_flat_scratch 0
		.amdhsa_float_round_mode_32 0
		.amdhsa_float_round_mode_16_64 0
		.amdhsa_float_denorm_mode_32 3
		.amdhsa_float_denorm_mode_16_64 3
		.amdhsa_dx10_clamp 1
		.amdhsa_ieee_mode 1
		.amdhsa_fp16_overflow 0
		.amdhsa_tg_split 0
		.amdhsa_exception_fp_ieee_invalid_op 0
		.amdhsa_exception_fp_denorm_src 0
		.amdhsa_exception_fp_ieee_div_zero 0
		.amdhsa_exception_fp_ieee_overflow 0
		.amdhsa_exception_fp_ieee_underflow 0
		.amdhsa_exception_fp_ieee_inexact 0
		.amdhsa_exception_int_div_zero 0
	.end_amdhsa_kernel
	.section	.text._ZN4vllm3moe14moe_sum_kernelIN3c108BFloat16ELi2EEEvPT_PKS4_i,"axG",@progbits,_ZN4vllm3moe14moe_sum_kernelIN3c108BFloat16ELi2EEEvPT_PKS4_i,comdat
.Lfunc_end312:
	.size	_ZN4vllm3moe14moe_sum_kernelIN3c108BFloat16ELi2EEEvPT_PKS4_i, .Lfunc_end312-_ZN4vllm3moe14moe_sum_kernelIN3c108BFloat16ELi2EEEvPT_PKS4_i
                                        ; -- End function
	.section	.AMDGPU.csdata,"",@progbits
; Kernel info:
; codeLenInByte = 2184
; NumSgprs: 34
; NumVgprs: 33
; NumAgprs: 0
; TotalNumVgprs: 33
; ScratchSize: 0
; MemoryBound: 0
; FloatMode: 240
; IeeeMode: 1
; LDSByteSize: 0 bytes/workgroup (compile time only)
; SGPRBlocks: 4
; VGPRBlocks: 4
; NumSGPRsForWavesPerEU: 34
; NumVGPRsForWavesPerEU: 33
; AccumOffset: 36
; Occupancy: 8
; WaveLimiterHint : 0
; COMPUTE_PGM_RSRC2:SCRATCH_EN: 0
; COMPUTE_PGM_RSRC2:USER_SGPR: 6
; COMPUTE_PGM_RSRC2:TRAP_HANDLER: 0
; COMPUTE_PGM_RSRC2:TGID_X_EN: 1
; COMPUTE_PGM_RSRC2:TGID_Y_EN: 0
; COMPUTE_PGM_RSRC2:TGID_Z_EN: 0
; COMPUTE_PGM_RSRC2:TIDIG_COMP_CNT: 0
; COMPUTE_PGM_RSRC3_GFX90A:ACCUM_OFFSET: 8
; COMPUTE_PGM_RSRC3_GFX90A:TG_SPLIT: 0
	.section	.text._ZN4vllm3moe14moe_sum_kernelIfLi4EEEvPT_PKS2_i,"axG",@progbits,_ZN4vllm3moe14moe_sum_kernelIfLi4EEEvPT_PKS2_i,comdat
	.protected	_ZN4vllm3moe14moe_sum_kernelIfLi4EEEvPT_PKS2_i ; -- Begin function _ZN4vllm3moe14moe_sum_kernelIfLi4EEEvPT_PKS2_i
	.globl	_ZN4vllm3moe14moe_sum_kernelIfLi4EEEvPT_PKS2_i
	.p2align	8
	.type	_ZN4vllm3moe14moe_sum_kernelIfLi4EEEvPT_PKS2_i,@function
_ZN4vllm3moe14moe_sum_kernelIfLi4EEEvPT_PKS2_i: ; @_ZN4vllm3moe14moe_sum_kernelIfLi4EEEvPT_PKS2_i
; %bb.0:
	s_load_dword s2, s[4:5], 0x10
	s_waitcnt lgkmcnt(0)
	v_cmp_gt_i32_e32 vcc, s2, v0
	s_and_saveexec_b64 s[0:1], vcc
	s_cbranch_execz .LBB313_14
; %bb.1:
	s_load_dword s0, s[4:5], 0x24
	s_load_dwordx4 s[8:11], s[4:5], 0x0
	s_ashr_i32 s3, s2, 31
	v_mov_b32_e32 v2, s3
	v_mov_b32_e32 v1, 0
	s_waitcnt lgkmcnt(0)
	s_and_b32 s16, s0, 0xffff
	v_add_co_u32_e32 v4, vcc, s16, v0
	v_addc_co_u32_e64 v5, s[0:1], 0, 0, vcc
	v_cmp_lt_i64_e32 vcc, s[2:3], v[4:5]
	v_cndmask_b32_e32 v6, v2, v5, vcc
	v_mov_b32_e32 v2, s2
	v_cndmask_b32_e32 v3, v2, v4, vcc
	v_cmp_gt_i64_e32 vcc, s[2:3], v[4:5]
	v_cndmask_b32_e64 v2, 0, 1, vcc
	v_add_co_u32_e32 v4, vcc, v4, v2
	v_addc_co_u32_e32 v5, vcc, 0, v5, vcc
	v_sub_co_u32_e32 v3, vcc, v3, v4
	v_subb_co_u32_e32 v5, vcc, v6, v5, vcc
	v_mov_b32_e32 v4, v1
	s_mov_b32 s17, 0
	v_cmp_ne_u64_e32 vcc, 0, v[4:5]
                                        ; implicit-def: $vgpr6_vgpr7
	s_and_saveexec_b64 s[0:1], vcc
	s_xor_b64 s[4:5], exec, s[0:1]
	s_cbranch_execz .LBB313_3
; %bb.2:
	v_cvt_f32_u32_e32 v4, s16
	v_mov_b32_e32 v6, 0x4f800000
	s_sub_u32 s0, 0, s16
	s_subb_u32 s1, 0, 0
	v_mac_f32_e32 v4, 0, v6
	v_rcp_f32_e32 v4, v4
	v_mul_f32_e32 v4, 0x5f7ffffc, v4
	v_mul_f32_e32 v6, 0x2f800000, v4
	v_trunc_f32_e32 v6, v6
	v_madmk_f32 v4, v6, 0xcf800000, v4
	v_cvt_u32_f32_e32 v6, v6
	v_cvt_u32_f32_e32 v4, v4
	v_mul_lo_u32 v7, s0, v6
	v_mul_hi_u32 v9, s0, v4
	v_mul_lo_u32 v8, s1, v4
	v_add_u32_e32 v7, v9, v7
	v_mul_lo_u32 v10, s0, v4
	v_add_u32_e32 v7, v7, v8
	v_mul_hi_u32 v9, v4, v10
	v_mul_lo_u32 v11, v4, v7
	v_mul_hi_u32 v8, v4, v7
	v_add_co_u32_e32 v9, vcc, v9, v11
	v_addc_co_u32_e32 v8, vcc, 0, v8, vcc
	v_mul_hi_u32 v12, v6, v10
	v_mul_lo_u32 v10, v6, v10
	v_add_co_u32_e32 v9, vcc, v9, v10
	v_mul_hi_u32 v11, v6, v7
	v_addc_co_u32_e32 v8, vcc, v8, v12, vcc
	v_addc_co_u32_e32 v9, vcc, 0, v11, vcc
	v_mul_lo_u32 v7, v6, v7
	v_add_co_u32_e32 v7, vcc, v8, v7
	v_addc_co_u32_e32 v8, vcc, 0, v9, vcc
	v_add_co_u32_e32 v4, vcc, v4, v7
	v_addc_co_u32_e32 v6, vcc, v6, v8, vcc
	v_mul_lo_u32 v7, s0, v6
	v_mul_hi_u32 v8, s0, v4
	v_add_u32_e32 v7, v8, v7
	v_mul_lo_u32 v8, s1, v4
	v_add_u32_e32 v7, v7, v8
	v_mul_lo_u32 v9, s0, v4
	v_mul_hi_u32 v10, v6, v9
	v_mul_lo_u32 v11, v6, v9
	v_mul_lo_u32 v13, v4, v7
	v_mul_hi_u32 v9, v4, v9
	v_mul_hi_u32 v12, v4, v7
	v_add_co_u32_e32 v9, vcc, v9, v13
	v_addc_co_u32_e32 v12, vcc, 0, v12, vcc
	v_add_co_u32_e32 v9, vcc, v9, v11
	v_mul_hi_u32 v8, v6, v7
	v_addc_co_u32_e32 v9, vcc, v12, v10, vcc
	v_addc_co_u32_e32 v8, vcc, 0, v8, vcc
	v_mul_lo_u32 v7, v6, v7
	v_add_co_u32_e32 v7, vcc, v9, v7
	v_addc_co_u32_e32 v8, vcc, 0, v8, vcc
	v_add_co_u32_e32 v4, vcc, v4, v7
	v_addc_co_u32_e32 v8, vcc, v6, v8, vcc
	v_mad_u64_u32 v[6:7], s[0:1], v3, v8, 0
	v_mul_hi_u32 v9, v3, v4
	v_add_co_u32_e32 v10, vcc, v9, v6
	v_addc_co_u32_e32 v11, vcc, 0, v7, vcc
	v_mad_u64_u32 v[6:7], s[0:1], v5, v8, 0
	v_mad_u64_u32 v[8:9], s[0:1], v5, v4, 0
	v_add_co_u32_e32 v4, vcc, v10, v8
	v_addc_co_u32_e32 v4, vcc, v11, v9, vcc
	v_addc_co_u32_e32 v7, vcc, 0, v7, vcc
	v_add_co_u32_e32 v10, vcc, v4, v6
	v_addc_co_u32_e32 v11, vcc, 0, v7, vcc
	v_mad_u64_u32 v[6:7], s[0:1], s16, v10, 0
	v_mov_b32_e32 v4, v7
	v_mad_u64_u32 v[8:9], s[0:1], s16, v11, v[4:5]
	v_sub_co_u32_e32 v3, vcc, v3, v6
	v_subb_co_u32_e32 v4, vcc, v5, v8, vcc
	v_subrev_co_u32_e32 v5, vcc, s16, v3
	v_subbrev_co_u32_e32 v6, vcc, 0, v4, vcc
	v_cmp_le_u32_e32 vcc, s16, v5
	v_cndmask_b32_e64 v5, 0, -1, vcc
	v_cmp_eq_u32_e32 vcc, 0, v6
	v_cndmask_b32_e32 v5, -1, v5, vcc
	v_add_co_u32_e32 v6, vcc, 2, v10
	v_addc_co_u32_e32 v7, vcc, 0, v11, vcc
	v_add_co_u32_e32 v8, vcc, 1, v10
	v_cmp_le_u32_e64 s[0:1], s16, v3
	v_addc_co_u32_e32 v9, vcc, 0, v11, vcc
	v_cndmask_b32_e64 v3, 0, -1, s[0:1]
	v_cmp_eq_u32_e64 s[0:1], 0, v4
	v_cmp_ne_u32_e32 vcc, 0, v5
	v_cndmask_b32_e64 v3, -1, v3, s[0:1]
	v_cndmask_b32_e32 v5, v9, v7, vcc
	v_cmp_ne_u32_e64 s[0:1], 0, v3
	v_cndmask_b32_e32 v3, v8, v6, vcc
	v_cndmask_b32_e64 v7, v11, v5, s[0:1]
	v_cndmask_b32_e64 v6, v10, v3, s[0:1]
                                        ; implicit-def: $vgpr3
.LBB313_3:
	s_andn2_saveexec_b64 s[0:1], s[4:5]
	s_cbranch_execz .LBB313_5
; %bb.4:
	v_cvt_f32_u32_e32 v4, s16
	s_sub_i32 s4, 0, s16
	v_mov_b32_e32 v7, 0
	v_rcp_iflag_f32_e32 v4, v4
	v_mul_f32_e32 v4, 0x4f7ffffe, v4
	v_cvt_u32_f32_e32 v4, v4
	v_mul_lo_u32 v5, s4, v4
	v_mul_hi_u32 v5, v4, v5
	v_add_u32_e32 v4, v4, v5
	v_mul_hi_u32 v4, v3, v4
	v_mul_lo_u32 v5, v4, s16
	v_sub_u32_e32 v3, v3, v5
	v_add_u32_e32 v6, 1, v4
	v_subrev_u32_e32 v5, s16, v3
	v_cmp_le_u32_e32 vcc, s16, v3
	v_cndmask_b32_e32 v3, v3, v5, vcc
	v_cndmask_b32_e32 v4, v4, v6, vcc
	v_add_u32_e32 v5, 1, v4
	v_cmp_le_u32_e32 vcc, s16, v3
	v_cndmask_b32_e32 v6, v4, v5, vcc
.LBB313_5:
	s_or_b64 exec, exec, s[0:1]
	s_mul_i32 s0, s6, s3
	s_mul_hi_u32 s1, s6, s2
	s_add_i32 s1, s1, s0
	s_mul_i32 s0, s6, s2
	s_lshl_b64 s[4:5], s[0:1], 4
	v_add_co_u32_e32 v2, vcc, v6, v2
	s_add_u32 s18, s10, s4
	v_addc_co_u32_e32 v3, vcc, 0, v7, vcc
	s_addc_u32 s20, s11, s5
	s_lshl_b64 s[0:1], s[0:1], 2
	v_add_co_u32_e32 v2, vcc, 1, v2
	s_add_u32 s19, s8, s0
	v_addc_co_u32_e32 v3, vcc, 0, v3, vcc
	s_addc_u32 s21, s9, s1
	v_cmp_gt_u64_e32 vcc, 2, v[2:3]
	v_cmp_ne_u16_e64 s[0:1], s16, 1
	s_or_b64 s[4:5], vcc, s[0:1]
	s_mov_b64 s[0:1], 0
                                        ; kill: def $vgpr4_vgpr5 killed $sgpr0_sgpr1 killed $exec
	s_mov_b32 s7, 0
	v_mov_b32_e32 v5, v3
                                        ; implicit-def: $sgpr8_sgpr9
                                        ; implicit-def: $sgpr12_sgpr13
                                        ; implicit-def: $sgpr14_sgpr15
	s_and_saveexec_b64 s[22:23], s[4:5]
	s_xor_b64 s[4:5], exec, s[22:23]
	s_cbranch_execz .LBB313_7
; %bb.6:
	s_lshl_b64 s[14:15], s[6:7], 4
	s_or_b32 s8, s14, 8
	s_mul_i32 s9, s8, s3
	s_mul_hi_u32 s12, s8, s2
	s_add_i32 s9, s12, s9
	s_or_b32 s12, s14, 12
	s_mul_i32 s13, s12, s3
	s_mul_hi_u32 s22, s12, s2
	s_or_b32 s14, s14, 4
	s_add_i32 s13, s22, s13
	s_mul_i32 s22, s14, s3
	s_mul_hi_u32 s23, s14, s2
	s_mul_i32 s15, s15, s2
	s_add_i32 s22, s23, s22
	s_mov_b64 s[0:1], exec
	s_add_i32 s9, s9, s15
	s_mul_i32 s8, s8, s2
	s_add_i32 s13, s13, s15
	s_mul_i32 s12, s12, s2
	;; [unrolled: 2-line block ×3, first 2 shown]
                                        ; implicit-def: $vgpr2_vgpr3
                                        ; implicit-def: $vgpr5
.LBB313_7:
	s_or_saveexec_b64 s[4:5], s[4:5]
	v_pk_mov_b32 v[6:7], s[8:9], s[8:9] op_sel:[0,1]
	v_pk_mov_b32 v[8:9], s[12:13], s[12:13] op_sel:[0,1]
	;; [unrolled: 1-line block ×3, first 2 shown]
	s_xor_b64 exec, exec, s[4:5]
	s_cbranch_execz .LBB313_11
; %bb.8:
	s_lshl_b64 s[12:13], s[6:7], 4
	s_or_b32 s6, s12, 8
	s_mul_i32 s7, s6, s3
	s_mul_hi_u32 s8, s6, s2
	s_add_i32 s7, s8, s7
	s_mul_i32 s13, s13, s2
	s_lshl_b32 s22, s16, 3
	s_add_i32 s7, s7, s13
	s_mul_i32 s6, s6, s2
	s_add_u32 s23, s10, s6
	s_addc_u32 s27, s11, s7
	s_or_b32 s8, s12, 12
	s_mul_i32 s9, s8, s3
	s_mul_hi_u32 s14, s8, s2
	s_add_i32 s9, s14, s9
	s_add_i32 s9, s9, s13
	s_mul_i32 s8, s8, s2
	s_add_u32 s24, s10, s8
	s_addc_u32 s28, s11, s9
	s_or_b32 s12, s12, 4
	s_mul_i32 s14, s12, s3
	s_mul_hi_u32 s15, s12, s2
	s_add_i32 s14, s15, s14
	s_add_i32 s13, s14, s13
	s_mul_i32 s12, s12, s2
	s_add_u32 s25, s10, s12
	v_and_b32_e32 v4, -2, v2
	s_mov_b32 s26, 0
	s_addc_u32 s29, s11, s13
	v_lshlrev_b32_e32 v6, 2, v0
	v_mov_b32_e32 v7, 0
	s_mov_b64 s[14:15], 0
	v_mov_b32_e32 v10, s20
	v_mov_b32_e32 v11, s29
	v_mov_b32_e32 v12, s27
	v_mov_b32_e32 v13, s28
	v_mov_b32_e32 v14, s21
	v_mov_b32_e32 v15, s26
	v_pk_mov_b32 v[8:9], v[4:5], v[4:5] op_sel:[0,1]
.LBB313_9:                              ; =>This Inner Loop Header: Depth=1
	v_add_co_u32_e32 v16, vcc, s18, v6
	v_addc_co_u32_e32 v17, vcc, v10, v7, vcc
	v_add_co_u32_e32 v18, vcc, s25, v6
	v_addc_co_u32_e32 v19, vcc, v11, v7, vcc
	;; [unrolled: 2-line block ×4, first 2 shown]
	global_load_dwordx2 v[24:25], v[16:17], off
	global_load_dwordx2 v[26:27], v[18:19], off
	global_load_dwordx2 v[28:29], v[20:21], off
	global_load_dwordx2 v[30:31], v[22:23], off
	v_add_co_u32_e32 v16, vcc, s19, v6
	v_addc_co_u32_e32 v17, vcc, v14, v7, vcc
	v_add_co_u32_e32 v8, vcc, -2, v8
	v_addc_co_u32_e32 v9, vcc, -1, v9, vcc
	v_add_co_u32_e32 v6, vcc, s22, v6
	v_addc_co_u32_e32 v7, vcc, v7, v15, vcc
	v_cmp_eq_u64_e32 vcc, 0, v[8:9]
	s_or_b64 s[14:15], vcc, s[14:15]
	s_waitcnt vmcnt(3)
	v_pk_add_f32 v[18:19], v[24:25], 0 op_sel_hi:[1,0]
	s_waitcnt vmcnt(2)
	v_pk_add_f32 v[18:19], v[18:19], v[26:27]
	s_waitcnt vmcnt(1)
	v_pk_add_f32 v[18:19], v[18:19], v[28:29]
	;; [unrolled: 2-line block ×3, first 2 shown]
	global_store_dwordx2 v[16:17], v[18:19], off
	s_andn2_b64 exec, exec, s[14:15]
	s_cbranch_execnz .LBB313_9
; %bb.10:
	s_or_b64 exec, exec, s[14:15]
	v_mad_u64_u32 v[0:1], s[14:15], v4, s16, v[0:1]
	v_mov_b32_e32 v6, v1
	v_mad_u64_u32 v[6:7], s[14:15], v5, s16, v[6:7]
	v_cmp_ne_u64_e32 vcc, v[2:3], v[4:5]
	v_mov_b32_e32 v1, v6
	v_pk_mov_b32 v[6:7], s[6:7], s[6:7] op_sel:[0,1]
	s_andn2_b64 s[0:1], s[0:1], exec
	s_and_b64 s[6:7], vcc, exec
	v_pk_mov_b32 v[8:9], s[8:9], s[8:9] op_sel:[0,1]
	v_pk_mov_b32 v[10:11], s[12:13], s[12:13] op_sel:[0,1]
	s_or_b64 s[0:1], s[0:1], s[6:7]
.LBB313_11:
	s_or_b64 exec, exec, s[4:5]
	s_and_b64 exec, exec, s[0:1]
	s_cbranch_execz .LBB313_14
; %bb.12:
	v_mov_b32_e32 v12, s11
	v_add_co_u32_e32 v4, vcc, s10, v6
	v_addc_co_u32_e32 v5, vcc, v12, v7, vcc
	v_add_co_u32_e32 v6, vcc, s10, v8
	v_addc_co_u32_e32 v7, vcc, v12, v9, vcc
	s_mov_b32 s5, 0
	v_add_co_u32_e32 v8, vcc, s10, v10
	v_lshlrev_b64 v[2:3], 2, v[0:1]
	s_lshl_b32 s4, s16, 2
	v_addc_co_u32_e32 v9, vcc, v12, v11, vcc
	s_mov_b64 s[0:1], 0
	v_mov_b32_e32 v10, s20
	v_mov_b32_e32 v11, s21
	;; [unrolled: 1-line block ×4, first 2 shown]
.LBB313_13:                             ; =>This Inner Loop Header: Depth=1
	v_add_co_u32_e32 v14, vcc, s18, v2
	v_addc_co_u32_e32 v15, vcc, v10, v3, vcc
	v_add_co_u32_e32 v16, vcc, v8, v2
	v_addc_co_u32_e32 v17, vcc, v9, v3, vcc
	;; [unrolled: 2-line block ×4, first 2 shown]
	global_load_dword v22, v[14:15], off
	global_load_dword v23, v[16:17], off
	;; [unrolled: 1-line block ×4, first 2 shown]
	v_add_co_u32_e32 v14, vcc, s19, v2
	v_addc_co_u32_e32 v15, vcc, v11, v3, vcc
	v_add_co_u32_e32 v0, vcc, s16, v0
	v_addc_co_u32_e32 v1, vcc, v1, v12, vcc
	;; [unrolled: 2-line block ×3, first 2 shown]
	v_cmp_le_i64_e32 vcc, s[2:3], v[0:1]
	s_or_b64 s[0:1], vcc, s[0:1]
	s_waitcnt vmcnt(3)
	v_add_f32_e32 v16, 0, v22
	s_waitcnt vmcnt(2)
	v_add_f32_e32 v16, v16, v23
	;; [unrolled: 2-line block ×4, first 2 shown]
	global_store_dword v[14:15], v16, off
	s_andn2_b64 exec, exec, s[0:1]
	s_cbranch_execnz .LBB313_13
.LBB313_14:
	s_endpgm
	.section	.rodata,"a",@progbits
	.p2align	6, 0x0
	.amdhsa_kernel _ZN4vllm3moe14moe_sum_kernelIfLi4EEEvPT_PKS2_i
		.amdhsa_group_segment_fixed_size 0
		.amdhsa_private_segment_fixed_size 0
		.amdhsa_kernarg_size 280
		.amdhsa_user_sgpr_count 6
		.amdhsa_user_sgpr_private_segment_buffer 1
		.amdhsa_user_sgpr_dispatch_ptr 0
		.amdhsa_user_sgpr_queue_ptr 0
		.amdhsa_user_sgpr_kernarg_segment_ptr 1
		.amdhsa_user_sgpr_dispatch_id 0
		.amdhsa_user_sgpr_flat_scratch_init 0
		.amdhsa_user_sgpr_kernarg_preload_length 0
		.amdhsa_user_sgpr_kernarg_preload_offset 0
		.amdhsa_user_sgpr_private_segment_size 0
		.amdhsa_uses_dynamic_stack 0
		.amdhsa_system_sgpr_private_segment_wavefront_offset 0
		.amdhsa_system_sgpr_workgroup_id_x 1
		.amdhsa_system_sgpr_workgroup_id_y 0
		.amdhsa_system_sgpr_workgroup_id_z 0
		.amdhsa_system_sgpr_workgroup_info 0
		.amdhsa_system_vgpr_workitem_id 0
		.amdhsa_next_free_vgpr 32
		.amdhsa_next_free_sgpr 30
		.amdhsa_accum_offset 32
		.amdhsa_reserve_vcc 1
		.amdhsa_reserve_flat_scratch 0
		.amdhsa_float_round_mode_32 0
		.amdhsa_float_round_mode_16_64 0
		.amdhsa_float_denorm_mode_32 3
		.amdhsa_float_denorm_mode_16_64 3
		.amdhsa_dx10_clamp 1
		.amdhsa_ieee_mode 1
		.amdhsa_fp16_overflow 0
		.amdhsa_tg_split 0
		.amdhsa_exception_fp_ieee_invalid_op 0
		.amdhsa_exception_fp_denorm_src 0
		.amdhsa_exception_fp_ieee_div_zero 0
		.amdhsa_exception_fp_ieee_overflow 0
		.amdhsa_exception_fp_ieee_underflow 0
		.amdhsa_exception_fp_ieee_inexact 0
		.amdhsa_exception_int_div_zero 0
	.end_amdhsa_kernel
	.section	.text._ZN4vllm3moe14moe_sum_kernelIfLi4EEEvPT_PKS2_i,"axG",@progbits,_ZN4vllm3moe14moe_sum_kernelIfLi4EEEvPT_PKS2_i,comdat
.Lfunc_end313:
	.size	_ZN4vllm3moe14moe_sum_kernelIfLi4EEEvPT_PKS2_i, .Lfunc_end313-_ZN4vllm3moe14moe_sum_kernelIfLi4EEEvPT_PKS2_i
                                        ; -- End function
	.section	.AMDGPU.csdata,"",@progbits
; Kernel info:
; codeLenInByte = 1616
; NumSgprs: 34
; NumVgprs: 32
; NumAgprs: 0
; TotalNumVgprs: 32
; ScratchSize: 0
; MemoryBound: 0
; FloatMode: 240
; IeeeMode: 1
; LDSByteSize: 0 bytes/workgroup (compile time only)
; SGPRBlocks: 4
; VGPRBlocks: 3
; NumSGPRsForWavesPerEU: 34
; NumVGPRsForWavesPerEU: 32
; AccumOffset: 32
; Occupancy: 8
; WaveLimiterHint : 0
; COMPUTE_PGM_RSRC2:SCRATCH_EN: 0
; COMPUTE_PGM_RSRC2:USER_SGPR: 6
; COMPUTE_PGM_RSRC2:TRAP_HANDLER: 0
; COMPUTE_PGM_RSRC2:TGID_X_EN: 1
; COMPUTE_PGM_RSRC2:TGID_Y_EN: 0
; COMPUTE_PGM_RSRC2:TGID_Z_EN: 0
; COMPUTE_PGM_RSRC2:TIDIG_COMP_CNT: 0
; COMPUTE_PGM_RSRC3_GFX90A:ACCUM_OFFSET: 7
; COMPUTE_PGM_RSRC3_GFX90A:TG_SPLIT: 0
	.section	.text._ZN4vllm3moe14moe_sum_kernelIN3c104HalfELi4EEEvPT_PKS4_i,"axG",@progbits,_ZN4vllm3moe14moe_sum_kernelIN3c104HalfELi4EEEvPT_PKS4_i,comdat
	.protected	_ZN4vllm3moe14moe_sum_kernelIN3c104HalfELi4EEEvPT_PKS4_i ; -- Begin function _ZN4vllm3moe14moe_sum_kernelIN3c104HalfELi4EEEvPT_PKS4_i
	.globl	_ZN4vllm3moe14moe_sum_kernelIN3c104HalfELi4EEEvPT_PKS4_i
	.p2align	8
	.type	_ZN4vllm3moe14moe_sum_kernelIN3c104HalfELi4EEEvPT_PKS4_i,@function
_ZN4vllm3moe14moe_sum_kernelIN3c104HalfELi4EEEvPT_PKS4_i: ; @_ZN4vllm3moe14moe_sum_kernelIN3c104HalfELi4EEEvPT_PKS4_i
; %bb.0:
	s_load_dword s2, s[4:5], 0x10
	s_waitcnt lgkmcnt(0)
	v_cmp_gt_i32_e32 vcc, s2, v0
	s_and_saveexec_b64 s[0:1], vcc
	s_cbranch_execz .LBB314_14
; %bb.1:
	s_load_dword s0, s[4:5], 0x24
	s_load_dwordx4 s[8:11], s[4:5], 0x0
	s_ashr_i32 s3, s2, 31
	v_mov_b32_e32 v2, s3
	v_mov_b32_e32 v1, 0
	s_waitcnt lgkmcnt(0)
	s_and_b32 s16, s0, 0xffff
	v_add_co_u32_e32 v4, vcc, s16, v0
	v_addc_co_u32_e64 v5, s[0:1], 0, 0, vcc
	v_cmp_lt_i64_e32 vcc, s[2:3], v[4:5]
	v_cndmask_b32_e32 v6, v2, v5, vcc
	v_mov_b32_e32 v2, s2
	v_cndmask_b32_e32 v3, v2, v4, vcc
	v_cmp_gt_i64_e32 vcc, s[2:3], v[4:5]
	v_cndmask_b32_e64 v2, 0, 1, vcc
	v_add_co_u32_e32 v4, vcc, v4, v2
	v_addc_co_u32_e32 v5, vcc, 0, v5, vcc
	v_sub_co_u32_e32 v3, vcc, v3, v4
	v_subb_co_u32_e32 v5, vcc, v6, v5, vcc
	v_mov_b32_e32 v4, v1
	s_mov_b32 s17, 0
	v_cmp_ne_u64_e32 vcc, 0, v[4:5]
                                        ; implicit-def: $vgpr6_vgpr7
	s_and_saveexec_b64 s[0:1], vcc
	s_xor_b64 s[4:5], exec, s[0:1]
	s_cbranch_execz .LBB314_3
; %bb.2:
	v_cvt_f32_u32_e32 v4, s16
	v_mov_b32_e32 v6, 0x4f800000
	s_sub_u32 s0, 0, s16
	s_subb_u32 s1, 0, 0
	v_mac_f32_e32 v4, 0, v6
	v_rcp_f32_e32 v4, v4
	v_mul_f32_e32 v4, 0x5f7ffffc, v4
	v_mul_f32_e32 v6, 0x2f800000, v4
	v_trunc_f32_e32 v6, v6
	v_madmk_f32 v4, v6, 0xcf800000, v4
	v_cvt_u32_f32_e32 v6, v6
	v_cvt_u32_f32_e32 v4, v4
	v_mul_lo_u32 v7, s0, v6
	v_mul_hi_u32 v9, s0, v4
	v_mul_lo_u32 v8, s1, v4
	v_add_u32_e32 v7, v9, v7
	v_mul_lo_u32 v10, s0, v4
	v_add_u32_e32 v7, v7, v8
	v_mul_hi_u32 v9, v4, v10
	v_mul_lo_u32 v11, v4, v7
	v_mul_hi_u32 v8, v4, v7
	v_add_co_u32_e32 v9, vcc, v9, v11
	v_addc_co_u32_e32 v8, vcc, 0, v8, vcc
	v_mul_hi_u32 v12, v6, v10
	v_mul_lo_u32 v10, v6, v10
	v_add_co_u32_e32 v9, vcc, v9, v10
	v_mul_hi_u32 v11, v6, v7
	v_addc_co_u32_e32 v8, vcc, v8, v12, vcc
	v_addc_co_u32_e32 v9, vcc, 0, v11, vcc
	v_mul_lo_u32 v7, v6, v7
	v_add_co_u32_e32 v7, vcc, v8, v7
	v_addc_co_u32_e32 v8, vcc, 0, v9, vcc
	v_add_co_u32_e32 v4, vcc, v4, v7
	v_addc_co_u32_e32 v6, vcc, v6, v8, vcc
	v_mul_lo_u32 v7, s0, v6
	v_mul_hi_u32 v8, s0, v4
	v_add_u32_e32 v7, v8, v7
	v_mul_lo_u32 v8, s1, v4
	v_add_u32_e32 v7, v7, v8
	v_mul_lo_u32 v9, s0, v4
	v_mul_hi_u32 v10, v6, v9
	v_mul_lo_u32 v11, v6, v9
	v_mul_lo_u32 v13, v4, v7
	v_mul_hi_u32 v9, v4, v9
	v_mul_hi_u32 v12, v4, v7
	v_add_co_u32_e32 v9, vcc, v9, v13
	v_addc_co_u32_e32 v12, vcc, 0, v12, vcc
	v_add_co_u32_e32 v9, vcc, v9, v11
	v_mul_hi_u32 v8, v6, v7
	v_addc_co_u32_e32 v9, vcc, v12, v10, vcc
	v_addc_co_u32_e32 v8, vcc, 0, v8, vcc
	v_mul_lo_u32 v7, v6, v7
	v_add_co_u32_e32 v7, vcc, v9, v7
	v_addc_co_u32_e32 v8, vcc, 0, v8, vcc
	v_add_co_u32_e32 v4, vcc, v4, v7
	v_addc_co_u32_e32 v8, vcc, v6, v8, vcc
	v_mad_u64_u32 v[6:7], s[0:1], v3, v8, 0
	v_mul_hi_u32 v9, v3, v4
	v_add_co_u32_e32 v10, vcc, v9, v6
	v_addc_co_u32_e32 v11, vcc, 0, v7, vcc
	v_mad_u64_u32 v[6:7], s[0:1], v5, v8, 0
	v_mad_u64_u32 v[8:9], s[0:1], v5, v4, 0
	v_add_co_u32_e32 v4, vcc, v10, v8
	v_addc_co_u32_e32 v4, vcc, v11, v9, vcc
	v_addc_co_u32_e32 v7, vcc, 0, v7, vcc
	v_add_co_u32_e32 v10, vcc, v4, v6
	v_addc_co_u32_e32 v11, vcc, 0, v7, vcc
	v_mad_u64_u32 v[6:7], s[0:1], s16, v10, 0
	v_mov_b32_e32 v4, v7
	v_mad_u64_u32 v[8:9], s[0:1], s16, v11, v[4:5]
	v_sub_co_u32_e32 v3, vcc, v3, v6
	v_subb_co_u32_e32 v4, vcc, v5, v8, vcc
	v_subrev_co_u32_e32 v5, vcc, s16, v3
	v_subbrev_co_u32_e32 v6, vcc, 0, v4, vcc
	v_cmp_le_u32_e32 vcc, s16, v5
	v_cndmask_b32_e64 v5, 0, -1, vcc
	v_cmp_eq_u32_e32 vcc, 0, v6
	v_cndmask_b32_e32 v5, -1, v5, vcc
	v_add_co_u32_e32 v6, vcc, 2, v10
	v_addc_co_u32_e32 v7, vcc, 0, v11, vcc
	v_add_co_u32_e32 v8, vcc, 1, v10
	v_cmp_le_u32_e64 s[0:1], s16, v3
	v_addc_co_u32_e32 v9, vcc, 0, v11, vcc
	v_cndmask_b32_e64 v3, 0, -1, s[0:1]
	v_cmp_eq_u32_e64 s[0:1], 0, v4
	v_cmp_ne_u32_e32 vcc, 0, v5
	v_cndmask_b32_e64 v3, -1, v3, s[0:1]
	v_cndmask_b32_e32 v5, v9, v7, vcc
	v_cmp_ne_u32_e64 s[0:1], 0, v3
	v_cndmask_b32_e32 v3, v8, v6, vcc
	v_cndmask_b32_e64 v7, v11, v5, s[0:1]
	v_cndmask_b32_e64 v6, v10, v3, s[0:1]
                                        ; implicit-def: $vgpr3
.LBB314_3:
	s_andn2_saveexec_b64 s[0:1], s[4:5]
	s_cbranch_execz .LBB314_5
; %bb.4:
	v_cvt_f32_u32_e32 v4, s16
	s_sub_i32 s4, 0, s16
	v_mov_b32_e32 v7, 0
	v_rcp_iflag_f32_e32 v4, v4
	v_mul_f32_e32 v4, 0x4f7ffffe, v4
	v_cvt_u32_f32_e32 v4, v4
	v_mul_lo_u32 v5, s4, v4
	v_mul_hi_u32 v5, v4, v5
	v_add_u32_e32 v4, v4, v5
	v_mul_hi_u32 v4, v3, v4
	v_mul_lo_u32 v5, v4, s16
	v_sub_u32_e32 v3, v3, v5
	v_add_u32_e32 v6, 1, v4
	v_subrev_u32_e32 v5, s16, v3
	v_cmp_le_u32_e32 vcc, s16, v3
	v_cndmask_b32_e32 v3, v3, v5, vcc
	v_cndmask_b32_e32 v4, v4, v6, vcc
	v_add_u32_e32 v5, 1, v4
	v_cmp_le_u32_e32 vcc, s16, v3
	v_cndmask_b32_e32 v6, v4, v5, vcc
.LBB314_5:
	s_or_b64 exec, exec, s[0:1]
	s_mul_i32 s0, s6, s3
	s_mul_hi_u32 s1, s6, s2
	s_add_i32 s1, s1, s0
	s_mul_i32 s0, s6, s2
	s_lshl_b64 s[4:5], s[0:1], 3
	v_add_co_u32_e32 v2, vcc, v6, v2
	s_add_u32 s18, s10, s4
	v_addc_co_u32_e32 v3, vcc, 0, v7, vcc
	s_addc_u32 s20, s11, s5
	s_lshl_b64 s[0:1], s[0:1], 1
	v_add_co_u32_e32 v2, vcc, 1, v2
	s_add_u32 s19, s8, s0
	v_addc_co_u32_e32 v3, vcc, 0, v3, vcc
	s_addc_u32 s21, s9, s1
	v_cmp_gt_u64_e32 vcc, 4, v[2:3]
	v_cmp_ne_u16_e64 s[0:1], s16, 1
	s_or_b64 s[4:5], vcc, s[0:1]
	s_mov_b64 s[0:1], 0
                                        ; kill: def $vgpr4_vgpr5 killed $sgpr0_sgpr1 killed $exec
	s_mov_b32 s7, 0
	v_mov_b32_e32 v5, v3
                                        ; implicit-def: $sgpr8_sgpr9
                                        ; implicit-def: $sgpr12_sgpr13
                                        ; implicit-def: $sgpr14_sgpr15
	s_and_saveexec_b64 s[22:23], s[4:5]
	s_xor_b64 s[4:5], exec, s[22:23]
	s_cbranch_execz .LBB314_7
; %bb.6:
	s_lshl_b64 s[14:15], s[6:7], 3
	s_or_b32 s8, s14, 4
	s_mul_i32 s9, s8, s3
	s_mul_hi_u32 s12, s8, s2
	s_add_i32 s9, s12, s9
	s_or_b32 s12, s14, 6
	s_mul_i32 s13, s12, s3
	s_mul_hi_u32 s22, s12, s2
	s_or_b32 s14, s14, 2
	s_add_i32 s13, s22, s13
	s_mul_i32 s22, s14, s3
	s_mul_hi_u32 s23, s14, s2
	s_mul_i32 s15, s15, s2
	s_add_i32 s22, s23, s22
	s_mov_b64 s[0:1], exec
	s_add_i32 s9, s9, s15
	s_mul_i32 s8, s8, s2
	s_add_i32 s13, s13, s15
	s_mul_i32 s12, s12, s2
	;; [unrolled: 2-line block ×3, first 2 shown]
                                        ; implicit-def: $vgpr2_vgpr3
                                        ; implicit-def: $vgpr5
.LBB314_7:
	s_or_saveexec_b64 s[4:5], s[4:5]
	v_pk_mov_b32 v[6:7], s[8:9], s[8:9] op_sel:[0,1]
	v_pk_mov_b32 v[8:9], s[12:13], s[12:13] op_sel:[0,1]
	;; [unrolled: 1-line block ×3, first 2 shown]
	s_xor_b64 exec, exec, s[4:5]
	s_cbranch_execz .LBB314_11
; %bb.8:
	s_lshl_b64 s[12:13], s[6:7], 3
	s_or_b32 s6, s12, 4
	s_mul_i32 s7, s6, s3
	s_mul_hi_u32 s8, s6, s2
	s_add_i32 s7, s8, s7
	s_mul_i32 s13, s13, s2
	s_lshl_b32 s22, s16, 3
	s_add_i32 s7, s7, s13
	s_mul_i32 s6, s6, s2
	s_add_u32 s23, s10, s6
	s_addc_u32 s27, s11, s7
	s_or_b32 s8, s12, 6
	s_mul_i32 s9, s8, s3
	s_mul_hi_u32 s14, s8, s2
	s_add_i32 s9, s14, s9
	s_add_i32 s9, s9, s13
	s_mul_i32 s8, s8, s2
	s_add_u32 s24, s10, s8
	s_addc_u32 s28, s11, s9
	s_or_b32 s12, s12, 2
	s_mul_i32 s14, s12, s3
	s_mul_hi_u32 s15, s12, s2
	s_add_i32 s14, s15, s14
	s_add_i32 s13, s14, s13
	s_mul_i32 s12, s12, s2
	s_add_u32 s25, s10, s12
	v_and_b32_e32 v4, -4, v2
	s_mov_b32 s26, 0
	s_addc_u32 s29, s11, s13
	v_lshlrev_b32_e32 v6, 1, v0
	v_mov_b32_e32 v7, 0
	s_mov_b64 s[14:15], 0
	v_mov_b32_e32 v10, s20
	v_mov_b32_e32 v11, s29
	;; [unrolled: 1-line block ×6, first 2 shown]
	v_pk_mov_b32 v[8:9], v[4:5], v[4:5] op_sel:[0,1]
.LBB314_9:                              ; =>This Inner Loop Header: Depth=1
	v_add_co_u32_e32 v16, vcc, s18, v6
	v_addc_co_u32_e32 v17, vcc, v10, v7, vcc
	v_add_co_u32_e32 v18, vcc, s25, v6
	v_addc_co_u32_e32 v19, vcc, v11, v7, vcc
	;; [unrolled: 2-line block ×4, first 2 shown]
	global_load_dwordx2 v[24:25], v[16:17], off
	global_load_dwordx2 v[26:27], v[18:19], off
	;; [unrolled: 1-line block ×4, first 2 shown]
	v_add_co_u32_e32 v16, vcc, s19, v6
	v_addc_co_u32_e32 v17, vcc, v14, v7, vcc
	v_add_co_u32_e32 v8, vcc, -4, v8
	v_addc_co_u32_e32 v9, vcc, -1, v9, vcc
	v_add_co_u32_e32 v6, vcc, s22, v6
	v_addc_co_u32_e32 v7, vcc, v7, v15, vcc
	v_cmp_eq_u64_e32 vcc, 0, v[8:9]
	s_or_b64 s[14:15], vcc, s[14:15]
	s_waitcnt vmcnt(3)
	v_pk_add_f16 v18, v24, 0
	v_pk_add_f16 v19, v25, 0
	s_waitcnt vmcnt(2)
	v_pk_add_f16 v19, v19, v27
	v_pk_add_f16 v18, v18, v26
	;; [unrolled: 3-line block ×4, first 2 shown]
	global_store_dwordx2 v[16:17], v[18:19], off
	s_andn2_b64 exec, exec, s[14:15]
	s_cbranch_execnz .LBB314_9
; %bb.10:
	s_or_b64 exec, exec, s[14:15]
	v_mad_u64_u32 v[0:1], s[14:15], v4, s16, v[0:1]
	v_mov_b32_e32 v6, v1
	v_mad_u64_u32 v[6:7], s[14:15], v5, s16, v[6:7]
	v_cmp_ne_u64_e32 vcc, v[2:3], v[4:5]
	v_mov_b32_e32 v1, v6
	v_pk_mov_b32 v[6:7], s[6:7], s[6:7] op_sel:[0,1]
	s_andn2_b64 s[0:1], s[0:1], exec
	s_and_b64 s[6:7], vcc, exec
	v_pk_mov_b32 v[8:9], s[8:9], s[8:9] op_sel:[0,1]
	v_pk_mov_b32 v[10:11], s[12:13], s[12:13] op_sel:[0,1]
	s_or_b64 s[0:1], s[0:1], s[6:7]
.LBB314_11:
	s_or_b64 exec, exec, s[4:5]
	s_and_b64 exec, exec, s[0:1]
	s_cbranch_execz .LBB314_14
; %bb.12:
	v_mov_b32_e32 v12, s11
	v_add_co_u32_e32 v4, vcc, s10, v6
	v_addc_co_u32_e32 v5, vcc, v12, v7, vcc
	v_add_co_u32_e32 v6, vcc, s10, v8
	v_addc_co_u32_e32 v7, vcc, v12, v9, vcc
	s_mov_b32 s5, 0
	v_add_co_u32_e32 v8, vcc, s10, v10
	v_lshlrev_b64 v[2:3], 1, v[0:1]
	s_lshl_b32 s4, s16, 1
	v_addc_co_u32_e32 v9, vcc, v12, v11, vcc
	s_mov_b64 s[0:1], 0
	v_mov_b32_e32 v10, s20
	v_mov_b32_e32 v11, s21
	v_mov_b32_e32 v12, s17
	v_mov_b32_e32 v13, s5
.LBB314_13:                             ; =>This Inner Loop Header: Depth=1
	v_add_co_u32_e32 v14, vcc, s18, v2
	v_addc_co_u32_e32 v15, vcc, v10, v3, vcc
	v_add_co_u32_e32 v16, vcc, v8, v2
	v_addc_co_u32_e32 v17, vcc, v9, v3, vcc
	;; [unrolled: 2-line block ×4, first 2 shown]
	global_load_ushort v22, v[14:15], off
	global_load_ushort v23, v[16:17], off
	;; [unrolled: 1-line block ×4, first 2 shown]
	v_add_co_u32_e32 v14, vcc, s19, v2
	v_addc_co_u32_e32 v15, vcc, v11, v3, vcc
	v_add_co_u32_e32 v0, vcc, s16, v0
	v_addc_co_u32_e32 v1, vcc, v1, v12, vcc
	;; [unrolled: 2-line block ×3, first 2 shown]
	v_cmp_le_i64_e32 vcc, s[2:3], v[0:1]
	s_or_b64 s[0:1], vcc, s[0:1]
	s_waitcnt vmcnt(3)
	v_add_f16_e32 v16, 0, v22
	s_waitcnt vmcnt(2)
	v_add_f16_e32 v16, v16, v23
	;; [unrolled: 2-line block ×4, first 2 shown]
	global_store_short v[14:15], v16, off
	s_andn2_b64 exec, exec, s[0:1]
	s_cbranch_execnz .LBB314_13
.LBB314_14:
	s_endpgm
	.section	.rodata,"a",@progbits
	.p2align	6, 0x0
	.amdhsa_kernel _ZN4vllm3moe14moe_sum_kernelIN3c104HalfELi4EEEvPT_PKS4_i
		.amdhsa_group_segment_fixed_size 0
		.amdhsa_private_segment_fixed_size 0
		.amdhsa_kernarg_size 280
		.amdhsa_user_sgpr_count 6
		.amdhsa_user_sgpr_private_segment_buffer 1
		.amdhsa_user_sgpr_dispatch_ptr 0
		.amdhsa_user_sgpr_queue_ptr 0
		.amdhsa_user_sgpr_kernarg_segment_ptr 1
		.amdhsa_user_sgpr_dispatch_id 0
		.amdhsa_user_sgpr_flat_scratch_init 0
		.amdhsa_user_sgpr_kernarg_preload_length 0
		.amdhsa_user_sgpr_kernarg_preload_offset 0
		.amdhsa_user_sgpr_private_segment_size 0
		.amdhsa_uses_dynamic_stack 0
		.amdhsa_system_sgpr_private_segment_wavefront_offset 0
		.amdhsa_system_sgpr_workgroup_id_x 1
		.amdhsa_system_sgpr_workgroup_id_y 0
		.amdhsa_system_sgpr_workgroup_id_z 0
		.amdhsa_system_sgpr_workgroup_info 0
		.amdhsa_system_vgpr_workitem_id 0
		.amdhsa_next_free_vgpr 32
		.amdhsa_next_free_sgpr 30
		.amdhsa_accum_offset 32
		.amdhsa_reserve_vcc 1
		.amdhsa_reserve_flat_scratch 0
		.amdhsa_float_round_mode_32 0
		.amdhsa_float_round_mode_16_64 0
		.amdhsa_float_denorm_mode_32 3
		.amdhsa_float_denorm_mode_16_64 3
		.amdhsa_dx10_clamp 1
		.amdhsa_ieee_mode 1
		.amdhsa_fp16_overflow 0
		.amdhsa_tg_split 0
		.amdhsa_exception_fp_ieee_invalid_op 0
		.amdhsa_exception_fp_denorm_src 0
		.amdhsa_exception_fp_ieee_div_zero 0
		.amdhsa_exception_fp_ieee_overflow 0
		.amdhsa_exception_fp_ieee_underflow 0
		.amdhsa_exception_fp_ieee_inexact 0
		.amdhsa_exception_int_div_zero 0
	.end_amdhsa_kernel
	.section	.text._ZN4vllm3moe14moe_sum_kernelIN3c104HalfELi4EEEvPT_PKS4_i,"axG",@progbits,_ZN4vllm3moe14moe_sum_kernelIN3c104HalfELi4EEEvPT_PKS4_i,comdat
.Lfunc_end314:
	.size	_ZN4vllm3moe14moe_sum_kernelIN3c104HalfELi4EEEvPT_PKS4_i, .Lfunc_end314-_ZN4vllm3moe14moe_sum_kernelIN3c104HalfELi4EEEvPT_PKS4_i
                                        ; -- End function
	.section	.AMDGPU.csdata,"",@progbits
; Kernel info:
; codeLenInByte = 1648
; NumSgprs: 34
; NumVgprs: 32
; NumAgprs: 0
; TotalNumVgprs: 32
; ScratchSize: 0
; MemoryBound: 0
; FloatMode: 240
; IeeeMode: 1
; LDSByteSize: 0 bytes/workgroup (compile time only)
; SGPRBlocks: 4
; VGPRBlocks: 3
; NumSGPRsForWavesPerEU: 34
; NumVGPRsForWavesPerEU: 32
; AccumOffset: 32
; Occupancy: 8
; WaveLimiterHint : 0
; COMPUTE_PGM_RSRC2:SCRATCH_EN: 0
; COMPUTE_PGM_RSRC2:USER_SGPR: 6
; COMPUTE_PGM_RSRC2:TRAP_HANDLER: 0
; COMPUTE_PGM_RSRC2:TGID_X_EN: 1
; COMPUTE_PGM_RSRC2:TGID_Y_EN: 0
; COMPUTE_PGM_RSRC2:TGID_Z_EN: 0
; COMPUTE_PGM_RSRC2:TIDIG_COMP_CNT: 0
; COMPUTE_PGM_RSRC3_GFX90A:ACCUM_OFFSET: 7
; COMPUTE_PGM_RSRC3_GFX90A:TG_SPLIT: 0
	.section	.text._ZN4vllm3moe14moe_sum_kernelIN3c108BFloat16ELi4EEEvPT_PKS4_i,"axG",@progbits,_ZN4vllm3moe14moe_sum_kernelIN3c108BFloat16ELi4EEEvPT_PKS4_i,comdat
	.protected	_ZN4vllm3moe14moe_sum_kernelIN3c108BFloat16ELi4EEEvPT_PKS4_i ; -- Begin function _ZN4vllm3moe14moe_sum_kernelIN3c108BFloat16ELi4EEEvPT_PKS4_i
	.globl	_ZN4vllm3moe14moe_sum_kernelIN3c108BFloat16ELi4EEEvPT_PKS4_i
	.p2align	8
	.type	_ZN4vllm3moe14moe_sum_kernelIN3c108BFloat16ELi4EEEvPT_PKS4_i,@function
_ZN4vllm3moe14moe_sum_kernelIN3c108BFloat16ELi4EEEvPT_PKS4_i: ; @_ZN4vllm3moe14moe_sum_kernelIN3c108BFloat16ELi4EEEvPT_PKS4_i
; %bb.0:
	s_load_dword s12, s[4:5], 0x10
	s_waitcnt lgkmcnt(0)
	v_cmp_gt_i32_e32 vcc, s12, v0
	s_and_saveexec_b64 s[0:1], vcc
	s_cbranch_execz .LBB315_14
; %bb.1:
	s_load_dword s0, s[4:5], 0x24
	s_load_dwordx4 s[8:11], s[4:5], 0x0
	s_ashr_i32 s13, s12, 31
	v_mov_b32_e32 v2, s13
	v_mov_b32_e32 v1, 0
	s_waitcnt lgkmcnt(0)
	s_and_b32 s22, s0, 0xffff
	v_add_co_u32_e32 v4, vcc, s22, v0
	v_addc_co_u32_e64 v5, s[0:1], 0, 0, vcc
	v_cmp_lt_i64_e32 vcc, s[12:13], v[4:5]
	v_cndmask_b32_e32 v6, v2, v5, vcc
	v_mov_b32_e32 v2, s12
	v_cndmask_b32_e32 v3, v2, v4, vcc
	v_cmp_gt_i64_e32 vcc, s[12:13], v[4:5]
	v_cndmask_b32_e64 v2, 0, 1, vcc
	v_add_co_u32_e32 v4, vcc, v4, v2
	v_addc_co_u32_e32 v5, vcc, 0, v5, vcc
	v_sub_co_u32_e32 v3, vcc, v3, v4
	v_subb_co_u32_e32 v5, vcc, v6, v5, vcc
	v_mov_b32_e32 v4, v1
	s_mov_b32 s23, 0
	v_cmp_ne_u64_e32 vcc, 0, v[4:5]
                                        ; implicit-def: $vgpr6_vgpr7
	s_and_saveexec_b64 s[0:1], vcc
	s_xor_b64 s[2:3], exec, s[0:1]
	s_cbranch_execz .LBB315_3
; %bb.2:
	v_cvt_f32_u32_e32 v4, s22
	v_mov_b32_e32 v6, 0x4f800000
	s_sub_u32 s0, 0, s22
	s_subb_u32 s1, 0, 0
	v_mac_f32_e32 v4, 0, v6
	v_rcp_f32_e32 v4, v4
	v_mul_f32_e32 v4, 0x5f7ffffc, v4
	v_mul_f32_e32 v6, 0x2f800000, v4
	v_trunc_f32_e32 v6, v6
	v_madmk_f32 v4, v6, 0xcf800000, v4
	v_cvt_u32_f32_e32 v6, v6
	v_cvt_u32_f32_e32 v4, v4
	v_mul_lo_u32 v7, s0, v6
	v_mul_hi_u32 v9, s0, v4
	v_mul_lo_u32 v8, s1, v4
	v_add_u32_e32 v7, v9, v7
	v_mul_lo_u32 v10, s0, v4
	v_add_u32_e32 v7, v7, v8
	v_mul_hi_u32 v9, v4, v10
	v_mul_lo_u32 v11, v4, v7
	v_mul_hi_u32 v8, v4, v7
	v_add_co_u32_e32 v9, vcc, v9, v11
	v_addc_co_u32_e32 v8, vcc, 0, v8, vcc
	v_mul_hi_u32 v12, v6, v10
	v_mul_lo_u32 v10, v6, v10
	v_add_co_u32_e32 v9, vcc, v9, v10
	v_mul_hi_u32 v11, v6, v7
	v_addc_co_u32_e32 v8, vcc, v8, v12, vcc
	v_addc_co_u32_e32 v9, vcc, 0, v11, vcc
	v_mul_lo_u32 v7, v6, v7
	v_add_co_u32_e32 v7, vcc, v8, v7
	v_addc_co_u32_e32 v8, vcc, 0, v9, vcc
	v_add_co_u32_e32 v4, vcc, v4, v7
	v_addc_co_u32_e32 v6, vcc, v6, v8, vcc
	v_mul_lo_u32 v7, s0, v6
	v_mul_hi_u32 v8, s0, v4
	v_add_u32_e32 v7, v8, v7
	v_mul_lo_u32 v8, s1, v4
	v_add_u32_e32 v7, v7, v8
	v_mul_lo_u32 v9, s0, v4
	v_mul_hi_u32 v10, v6, v9
	v_mul_lo_u32 v11, v6, v9
	v_mul_lo_u32 v13, v4, v7
	v_mul_hi_u32 v9, v4, v9
	v_mul_hi_u32 v12, v4, v7
	v_add_co_u32_e32 v9, vcc, v9, v13
	v_addc_co_u32_e32 v12, vcc, 0, v12, vcc
	v_add_co_u32_e32 v9, vcc, v9, v11
	v_mul_hi_u32 v8, v6, v7
	v_addc_co_u32_e32 v9, vcc, v12, v10, vcc
	v_addc_co_u32_e32 v8, vcc, 0, v8, vcc
	v_mul_lo_u32 v7, v6, v7
	v_add_co_u32_e32 v7, vcc, v9, v7
	v_addc_co_u32_e32 v8, vcc, 0, v8, vcc
	v_add_co_u32_e32 v4, vcc, v4, v7
	v_addc_co_u32_e32 v8, vcc, v6, v8, vcc
	v_mad_u64_u32 v[6:7], s[0:1], v3, v8, 0
	v_mul_hi_u32 v9, v3, v4
	v_add_co_u32_e32 v10, vcc, v9, v6
	v_addc_co_u32_e32 v11, vcc, 0, v7, vcc
	v_mad_u64_u32 v[6:7], s[0:1], v5, v8, 0
	v_mad_u64_u32 v[8:9], s[0:1], v5, v4, 0
	v_add_co_u32_e32 v4, vcc, v10, v8
	v_addc_co_u32_e32 v4, vcc, v11, v9, vcc
	v_addc_co_u32_e32 v7, vcc, 0, v7, vcc
	v_add_co_u32_e32 v10, vcc, v4, v6
	v_addc_co_u32_e32 v11, vcc, 0, v7, vcc
	v_mad_u64_u32 v[6:7], s[0:1], s22, v10, 0
	v_mov_b32_e32 v4, v7
	v_mad_u64_u32 v[8:9], s[0:1], s22, v11, v[4:5]
	v_sub_co_u32_e32 v3, vcc, v3, v6
	v_subb_co_u32_e32 v4, vcc, v5, v8, vcc
	v_subrev_co_u32_e32 v5, vcc, s22, v3
	v_subbrev_co_u32_e32 v6, vcc, 0, v4, vcc
	v_cmp_le_u32_e32 vcc, s22, v5
	v_cndmask_b32_e64 v5, 0, -1, vcc
	v_cmp_eq_u32_e32 vcc, 0, v6
	v_cndmask_b32_e32 v5, -1, v5, vcc
	v_add_co_u32_e32 v6, vcc, 2, v10
	v_addc_co_u32_e32 v7, vcc, 0, v11, vcc
	v_add_co_u32_e32 v8, vcc, 1, v10
	v_cmp_le_u32_e64 s[0:1], s22, v3
	v_addc_co_u32_e32 v9, vcc, 0, v11, vcc
	v_cndmask_b32_e64 v3, 0, -1, s[0:1]
	v_cmp_eq_u32_e64 s[0:1], 0, v4
	v_cmp_ne_u32_e32 vcc, 0, v5
	v_cndmask_b32_e64 v3, -1, v3, s[0:1]
	v_cndmask_b32_e32 v5, v9, v7, vcc
	v_cmp_ne_u32_e64 s[0:1], 0, v3
	v_cndmask_b32_e32 v3, v8, v6, vcc
	v_cndmask_b32_e64 v7, v11, v5, s[0:1]
	v_cndmask_b32_e64 v6, v10, v3, s[0:1]
                                        ; implicit-def: $vgpr3
.LBB315_3:
	s_andn2_saveexec_b64 s[0:1], s[2:3]
	s_cbranch_execz .LBB315_5
; %bb.4:
	v_cvt_f32_u32_e32 v4, s22
	s_sub_i32 s2, 0, s22
	v_mov_b32_e32 v7, 0
	v_rcp_iflag_f32_e32 v4, v4
	v_mul_f32_e32 v4, 0x4f7ffffe, v4
	v_cvt_u32_f32_e32 v4, v4
	v_mul_lo_u32 v5, s2, v4
	v_mul_hi_u32 v5, v4, v5
	v_add_u32_e32 v4, v4, v5
	v_mul_hi_u32 v4, v3, v4
	v_mul_lo_u32 v5, v4, s22
	v_sub_u32_e32 v3, v3, v5
	v_add_u32_e32 v6, 1, v4
	v_subrev_u32_e32 v5, s22, v3
	v_cmp_le_u32_e32 vcc, s22, v3
	v_cndmask_b32_e32 v3, v3, v5, vcc
	v_cndmask_b32_e32 v4, v4, v6, vcc
	v_add_u32_e32 v5, 1, v4
	v_cmp_le_u32_e32 vcc, s22, v3
	v_cndmask_b32_e32 v6, v4, v5, vcc
.LBB315_5:
	s_or_b64 exec, exec, s[0:1]
	s_mul_i32 s0, s6, s13
	s_mul_hi_u32 s1, s6, s12
	s_add_i32 s1, s1, s0
	s_mul_i32 s0, s6, s12
	s_lshl_b64 s[2:3], s[0:1], 3
	v_add_co_u32_e32 v2, vcc, v6, v2
	s_add_u32 s24, s10, s2
	v_addc_co_u32_e32 v3, vcc, 0, v7, vcc
	s_addc_u32 s26, s11, s3
	s_lshl_b64 s[0:1], s[0:1], 1
	v_add_co_u32_e32 v2, vcc, 1, v2
	s_add_u32 s25, s8, s0
	v_addc_co_u32_e32 v3, vcc, 0, v3, vcc
	s_addc_u32 s27, s9, s1
	v_cmp_gt_u64_e32 vcc, 4, v[2:3]
	v_cmp_ne_u16_e64 s[0:1], s22, 1
                                        ; kill: def $vgpr4_vgpr5 killed $sgpr0_sgpr1 killed $exec
	s_mov_b32 s7, 0
	s_or_b64 s[4:5], vcc, s[0:1]
	s_mov_b64 s[8:9], 0
	v_mov_b32_e32 v5, v3
                                        ; implicit-def: $sgpr0_sgpr1
                                        ; implicit-def: $sgpr2_sgpr3
                                        ; implicit-def: $sgpr16_sgpr17
	s_and_saveexec_b64 s[14:15], s[4:5]
	s_xor_b64 s[4:5], exec, s[14:15]
	s_cbranch_execz .LBB315_7
; %bb.6:
	s_lshl_b64 s[14:15], s[6:7], 3
	s_or_b32 s0, s14, 4
	s_mul_i32 s1, s0, s13
	s_mul_hi_u32 s2, s0, s12
	s_add_i32 s1, s2, s1
	s_or_b32 s2, s14, 6
	s_mul_i32 s3, s2, s13
	s_mul_hi_u32 s16, s2, s12
	s_or_b32 s14, s14, 2
	s_add_i32 s3, s16, s3
	s_mul_i32 s16, s14, s13
	s_mul_hi_u32 s17, s14, s12
	s_mul_i32 s15, s15, s12
	s_add_i32 s16, s17, s16
	s_mov_b64 s[8:9], exec
	s_add_i32 s1, s1, s15
	s_mul_i32 s0, s0, s12
	s_add_i32 s3, s3, s15
	s_mul_i32 s2, s2, s12
	;; [unrolled: 2-line block ×3, first 2 shown]
                                        ; implicit-def: $vgpr2_vgpr3
                                        ; implicit-def: $vgpr5
.LBB315_7:
	s_or_saveexec_b64 s[14:15], s[4:5]
	v_pk_mov_b32 v[6:7], s[0:1], s[0:1] op_sel:[0,1]
	v_pk_mov_b32 v[8:9], s[2:3], s[2:3] op_sel:[0,1]
	;; [unrolled: 1-line block ×3, first 2 shown]
	s_xor_b64 exec, exec, s[14:15]
	s_cbranch_execz .LBB315_11
; %bb.8:
	s_lshl_b64 s[0:1], s[6:7], 3
	s_or_b32 s3, s0, 4
	s_mul_i32 s4, s3, s13
	s_mul_hi_u32 s5, s3, s12
	s_add_i32 s4, s5, s4
	s_mul_i32 s1, s1, s12
	s_lshl_b32 s28, s22, 3
	s_add_i32 s7, s4, s1
	s_mul_i32 s6, s3, s12
	s_add_u32 s29, s10, s6
	s_addc_u32 s3, s11, s7
	s_or_b32 s4, s0, 6
	s_mul_i32 s5, s4, s13
	s_mul_hi_u32 s16, s4, s12
	s_add_i32 s5, s16, s5
	s_add_i32 s17, s5, s1
	s_mul_i32 s16, s4, s12
	s_add_u32 s30, s10, s16
	s_addc_u32 s4, s11, s17
	s_or_b32 s0, s0, 2
	s_mul_i32 s5, s0, s13
	s_mul_hi_u32 s18, s0, s12
	s_add_i32 s5, s18, s5
	s_add_i32 s19, s5, s1
	s_mul_i32 s18, s0, s12
	s_add_u32 s31, s10, s18
	v_and_b32_e32 v4, -4, v2
	s_mov_b32 s2, 0
	s_addc_u32 s0, s11, s19
	v_lshlrev_b32_e32 v6, 1, v0
	v_mov_b32_e32 v7, 0
	s_mov_b64 s[20:21], 0
	v_mov_b32_e32 v18, s26
	s_movk_i32 s33, 0xff
	s_mov_b32 s34, 0xff000000
	s_movk_i32 s35, 0x7fff
	v_mov_b32_e32 v19, 0x7fc0
	v_mov_b32_e32 v20, s0
	s_mov_b32 s36, 0x5040100
	v_mov_b32_e32 v21, s3
	v_mov_b32_e32 v22, s4
	;; [unrolled: 1-line block ×4, first 2 shown]
	v_pk_mov_b32 v[8:9], v[4:5], v[4:5] op_sel:[0,1]
.LBB315_9:                              ; =>This Inner Loop Header: Depth=1
	v_add_co_u32_e32 v10, vcc, s24, v6
	v_addc_co_u32_e32 v11, vcc, v18, v7, vcc
	v_add_co_u32_e32 v14, vcc, s31, v6
	v_addc_co_u32_e32 v15, vcc, v20, v7, vcc
	;; [unrolled: 2-line block ×4, first 2 shown]
	global_load_dwordx2 v[28:29], v[10:11], off
	global_load_dwordx2 v[30:31], v[14:15], off
	;; [unrolled: 1-line block ×4, first 2 shown]
	v_add_co_u32_e32 v12, vcc, s25, v6
	v_addc_co_u32_e32 v13, vcc, v23, v7, vcc
	v_add_co_u32_e32 v8, vcc, -4, v8
	v_addc_co_u32_e32 v9, vcc, -1, v9, vcc
	v_add_co_u32_e32 v6, vcc, s28, v6
	v_addc_co_u32_e32 v7, vcc, v7, v24, vcc
	v_cmp_eq_u64_e32 vcc, 0, v[8:9]
	s_or_b64 s[20:21], vcc, s[20:21]
	s_waitcnt vmcnt(3)
	v_pk_lshrrev_b16 v10, 8, v29 op_sel_hi:[0,1]
	v_pk_lshrrev_b16 v14, 8, v28 op_sel_hi:[0,1]
	v_and_b32_e32 v11, 0xff, v29
	v_and_b32_sdwa v15, v29, s33 dst_sel:DWORD dst_unused:UNUSED_PAD src0_sel:WORD_1 src1_sel:DWORD
	v_and_b32_e32 v16, 0xff, v28
	v_and_b32_sdwa v17, v28, s33 dst_sel:DWORD dst_unused:UNUSED_PAD src0_sel:WORD_1 src1_sel:DWORD
	s_waitcnt vmcnt(2)
	v_pk_lshrrev_b16 v25, 8, v30 op_sel_hi:[0,1]
	v_pk_lshrrev_b16 v26, 8, v31 op_sel_hi:[0,1]
	v_and_b32_e32 v27, 0xff, v30
	v_and_b32_sdwa v28, v30, s33 dst_sel:DWORD dst_unused:UNUSED_PAD src0_sel:WORD_1 src1_sel:DWORD
	v_and_b32_e32 v29, 0xff, v31
	v_and_b32_sdwa v30, v31, s33 dst_sel:DWORD dst_unused:UNUSED_PAD src0_sel:WORD_1 src1_sel:DWORD
	s_waitcnt vmcnt(1)
	v_pk_lshrrev_b16 v31, 8, v32 op_sel_hi:[0,1]
	v_and_b32_e32 v37, 0xff, v32
	v_and_b32_sdwa v32, v32, s33 dst_sel:DWORD dst_unused:UNUSED_PAD src0_sel:WORD_1 src1_sel:DWORD
	v_and_b32_e32 v38, 0xff, v33
	s_waitcnt vmcnt(0)
	v_and_b32_e32 v41, 0xff, v34
	v_lshlrev_b32_e32 v17, 16, v17
	v_lshlrev_b32_e32 v16, 16, v16
	;; [unrolled: 1-line block ×6, first 2 shown]
	v_pk_lshrrev_b16 v36, 8, v33 op_sel_hi:[0,1]
	v_and_b32_sdwa v33, v33, s33 dst_sel:DWORD dst_unused:UNUSED_PAD src0_sel:WORD_1 src1_sel:DWORD
	v_pk_lshrrev_b16 v39, 8, v34 op_sel_hi:[0,1]
	v_and_b32_sdwa v34, v34, s33 dst_sel:DWORD dst_unused:UNUSED_PAD src0_sel:WORD_1 src1_sel:DWORD
	v_and_b32_e32 v42, 0xff, v35
	v_lshlrev_b32_e32 v30, 16, v30
	v_lshlrev_b32_e32 v29, 16, v29
	;; [unrolled: 1-line block ×11, first 2 shown]
	v_lshl_or_b32 v10, v10, 24, v11
	v_and_or_b32 v11, v44, s34, v15
	v_lshl_or_b32 v14, v14, 24, v16
	v_and_or_b32 v15, v43, s34, v17
	v_pk_lshrrev_b16 v40, 8, v35 op_sel_hi:[0,1]
	v_lshlrev_b32_e32 v33, 16, v33
	v_lshlrev_b32_e32 v47, 8, v36
	;; [unrolled: 1-line block ×5, first 2 shown]
	v_lshl_or_b32 v16, v25, 24, v27
	v_and_or_b32 v17, v46, s34, v28
	v_lshl_or_b32 v26, v26, 24, v29
	v_and_or_b32 v27, v45, s34, v30
	;; [unrolled: 2-line block ×3, first 2 shown]
	v_lshl_or_b32 v30, v36, 24, v38
	v_lshl_or_b32 v32, v39, 24, v41
	v_pk_add_f32 v[36:37], v[14:15], 0 op_sel_hi:[1,0]
	v_pk_add_f32 v[38:39], v[10:11], 0 op_sel_hi:[1,0]
	v_lshlrev_b32_e32 v49, 8, v40
	v_and_or_b32 v31, v47, s34, v33
	v_and_or_b32 v33, v50, s34, v34
	v_lshl_or_b32 v34, v40, 24, v42
	v_bfe_u32 v25, v38, 16, 1
	v_bfe_u32 v40, v39, 16, 1
	;; [unrolled: 1-line block ×4, first 2 shown]
	v_add3_u32 v37, v37, v42, s35
	v_add3_u32 v36, v36, v41, s35
	;; [unrolled: 1-line block ×4, first 2 shown]
	v_lshrrev_b32_e32 v25, 16, v25
	v_lshrrev_b32_e32 v38, 16, v39
	;; [unrolled: 1-line block ×4, first 2 shown]
	v_cmp_o_f32_e32 vcc, v11, v11
	v_cmp_o_f32_e64 s[0:1], v14, v14
	v_cmp_o_f32_e64 s[2:3], v15, v15
	;; [unrolled: 1-line block ×3, first 2 shown]
	v_cndmask_b32_e64 v10, v19, v25, s[4:5]
	v_cndmask_b32_e32 v11, v19, v38, vcc
	v_cndmask_b32_e64 v14, v19, v36, s[0:1]
	v_cndmask_b32_e64 v15, v19, v37, s[2:3]
	v_perm_b32 v25, v15, v14, s36
	v_perm_b32 v36, v11, v10, s36
	v_and_b32_e32 v14, 0xff, v14
	v_and_b32_e32 v15, 0xff, v15
	;; [unrolled: 1-line block ×4, first 2 shown]
	v_pk_lshrrev_b16 v25, 8, v25 op_sel_hi:[0,1]
	v_pk_lshrrev_b16 v36, 8, v36 op_sel_hi:[0,1]
	v_lshlrev_b32_e32 v37, 16, v11
	v_lshlrev_b32_e32 v11, 16, v10
	;; [unrolled: 1-line block ×6, first 2 shown]
	v_lshl_or_b32 v10, v25, 24, v10
	v_lshl_or_b32 v14, v36, 24, v11
	v_and_or_b32 v11, v39, s34, v15
	v_and_or_b32 v15, v38, s34, v37
	v_pk_add_f32 v[14:15], v[14:15], v[26:27]
	v_pk_add_f32 v[10:11], v[10:11], v[16:17]
	v_bfe_u32 v16, v14, 16, 1
	v_bfe_u32 v17, v15, 16, 1
	v_bfe_u32 v25, v10, 16, 1
	v_bfe_u32 v26, v11, 16, 1
	v_add3_u32 v26, v11, v26, s35
	v_add3_u32 v25, v10, v25, s35
	;; [unrolled: 1-line block ×4, first 2 shown]
	v_lshrrev_b32_e32 v16, 16, v16
	v_lshrrev_b32_e32 v17, 16, v17
	;; [unrolled: 1-line block ×4, first 2 shown]
	v_cmp_o_f32_e32 vcc, v15, v15
	v_cmp_o_f32_e64 s[0:1], v10, v10
	v_cmp_o_f32_e64 s[2:3], v11, v11
	;; [unrolled: 1-line block ×3, first 2 shown]
	v_cndmask_b32_e64 v10, v19, v16, s[4:5]
	v_cndmask_b32_e32 v11, v19, v17, vcc
	v_cndmask_b32_e64 v14, v19, v25, s[0:1]
	v_cndmask_b32_e64 v15, v19, v26, s[2:3]
	v_perm_b32 v16, v15, v14, s36
	v_perm_b32 v17, v11, v10, s36
	v_and_b32_e32 v14, 0xff, v14
	v_and_b32_e32 v15, 0xff, v15
	;; [unrolled: 1-line block ×4, first 2 shown]
	v_pk_lshrrev_b16 v16, 8, v16 op_sel_hi:[0,1]
	v_pk_lshrrev_b16 v17, 8, v17 op_sel_hi:[0,1]
	v_lshlrev_b32_e32 v25, 16, v11
	v_lshlrev_b32_e32 v11, 16, v10
	;; [unrolled: 1-line block ×6, first 2 shown]
	v_lshl_or_b32 v10, v16, 24, v10
	v_lshl_or_b32 v14, v17, 24, v11
	v_and_or_b32 v11, v27, s34, v15
	v_and_or_b32 v15, v26, s34, v25
	v_pk_add_f32 v[14:15], v[14:15], v[30:31]
	v_pk_add_f32 v[10:11], v[10:11], v[28:29]
	v_bfe_u32 v16, v14, 16, 1
	v_bfe_u32 v17, v15, 16, 1
	;; [unrolled: 1-line block ×4, first 2 shown]
	v_add3_u32 v26, v11, v26, s35
	v_add3_u32 v25, v10, v25, s35
	;; [unrolled: 1-line block ×4, first 2 shown]
	v_lshrrev_b32_e32 v16, 16, v16
	v_lshrrev_b32_e32 v17, 16, v17
	;; [unrolled: 1-line block ×4, first 2 shown]
	v_cmp_o_f32_e32 vcc, v15, v15
	v_cmp_o_f32_e64 s[0:1], v10, v10
	v_cmp_o_f32_e64 s[2:3], v11, v11
	;; [unrolled: 1-line block ×3, first 2 shown]
	v_cndmask_b32_e64 v10, v19, v16, s[4:5]
	v_cndmask_b32_e32 v11, v19, v17, vcc
	v_cndmask_b32_e64 v14, v19, v25, s[0:1]
	v_cndmask_b32_e64 v15, v19, v26, s[2:3]
	v_perm_b32 v16, v15, v14, s36
	v_perm_b32 v17, v11, v10, s36
	v_and_b32_sdwa v35, v35, s33 dst_sel:DWORD dst_unused:UNUSED_PAD src0_sel:WORD_1 src1_sel:DWORD
	v_and_b32_e32 v14, 0xff, v14
	v_and_b32_e32 v15, 0xff, v15
	;; [unrolled: 1-line block ×4, first 2 shown]
	v_pk_lshrrev_b16 v16, 8, v16 op_sel_hi:[0,1]
	v_pk_lshrrev_b16 v17, 8, v17 op_sel_hi:[0,1]
	v_lshlrev_b32_e32 v35, 16, v35
	v_lshlrev_b32_e32 v25, 16, v11
	;; [unrolled: 1-line block ×7, first 2 shown]
	v_and_or_b32 v35, v49, s34, v35
	v_lshl_or_b32 v10, v16, 24, v10
	v_lshl_or_b32 v14, v17, 24, v11
	v_and_or_b32 v11, v27, s34, v15
	v_and_or_b32 v15, v26, s34, v25
	v_pk_add_f32 v[14:15], v[14:15], v[34:35]
	v_pk_add_f32 v[10:11], v[10:11], v[32:33]
	v_bfe_u32 v16, v14, 16, 1
	v_bfe_u32 v17, v15, 16, 1
	;; [unrolled: 1-line block ×4, first 2 shown]
	v_add3_u32 v26, v11, v26, s35
	v_add3_u32 v25, v10, v25, s35
	;; [unrolled: 1-line block ×4, first 2 shown]
	v_lshrrev_b32_e32 v16, 16, v16
	v_lshrrev_b32_e32 v17, 16, v17
	;; [unrolled: 1-line block ×4, first 2 shown]
	v_cmp_o_f32_e32 vcc, v15, v15
	v_cmp_o_f32_e64 s[0:1], v10, v10
	v_cmp_o_f32_e64 s[2:3], v11, v11
	v_cmp_o_f32_e64 s[4:5], v14, v14
	v_cndmask_b32_e64 v10, v19, v16, s[4:5]
	v_cndmask_b32_e32 v11, v19, v17, vcc
	v_cndmask_b32_e64 v14, v19, v25, s[0:1]
	v_cndmask_b32_e64 v15, v19, v26, s[2:3]
	v_perm_b32 v11, v11, v10, s36
	v_perm_b32 v10, v15, v14, s36
	global_store_dwordx2 v[12:13], v[10:11], off
	s_andn2_b64 exec, exec, s[20:21]
	s_cbranch_execnz .LBB315_9
; %bb.10:
	s_or_b64 exec, exec, s[20:21]
	v_mad_u64_u32 v[0:1], s[0:1], v4, s22, v[0:1]
	v_mov_b32_e32 v6, v1
	v_mad_u64_u32 v[6:7], s[0:1], v5, s22, v[6:7]
	v_cmp_ne_u64_e32 vcc, v[2:3], v[4:5]
	s_andn2_b64 s[0:1], s[8:9], exec
	s_and_b64 s[2:3], vcc, exec
	v_mov_b32_e32 v1, v6
	v_pk_mov_b32 v[6:7], s[6:7], s[6:7] op_sel:[0,1]
	v_pk_mov_b32 v[8:9], s[16:17], s[16:17] op_sel:[0,1]
	;; [unrolled: 1-line block ×3, first 2 shown]
	s_or_b64 s[8:9], s[0:1], s[2:3]
.LBB315_11:
	s_or_b64 exec, exec, s[14:15]
	s_and_b64 exec, exec, s[8:9]
	s_cbranch_execz .LBB315_14
; %bb.12:
	v_mov_b32_e32 v12, s11
	v_add_co_u32_e32 v4, vcc, s10, v6
	v_addc_co_u32_e32 v5, vcc, v12, v7, vcc
	v_add_co_u32_e32 v6, vcc, s10, v8
	v_addc_co_u32_e32 v7, vcc, v12, v9, vcc
	s_mov_b32 s4, 0
	v_add_co_u32_e32 v8, vcc, s10, v10
	v_lshlrev_b64 v[2:3], 1, v[0:1]
	s_lshl_b32 s2, s22, 1
	v_addc_co_u32_e32 v9, vcc, v12, v11, vcc
	s_mov_b64 s[0:1], 0
	v_mov_b32_e32 v10, s26
	s_movk_i32 s3, 0x7fff
	v_mov_b32_e32 v11, 0x7fc0
	v_mov_b32_e32 v12, s27
	;; [unrolled: 1-line block ×4, first 2 shown]
.LBB315_13:                             ; =>This Inner Loop Header: Depth=1
	v_add_co_u32_e32 v16, vcc, s24, v2
	v_addc_co_u32_e32 v17, vcc, v10, v3, vcc
	v_add_co_u32_e32 v18, vcc, v8, v2
	v_addc_co_u32_e32 v19, vcc, v9, v3, vcc
	;; [unrolled: 2-line block ×4, first 2 shown]
	global_load_ushort v15, v[16:17], off
	global_load_ushort v24, v[18:19], off
	;; [unrolled: 1-line block ×4, first 2 shown]
	v_add_co_u32_e32 v16, vcc, s25, v2
	v_addc_co_u32_e32 v17, vcc, v12, v3, vcc
	v_add_co_u32_e32 v0, vcc, s22, v0
	v_addc_co_u32_e32 v1, vcc, v1, v13, vcc
	v_add_co_u32_e32 v2, vcc, s2, v2
	v_addc_co_u32_e32 v3, vcc, v3, v14, vcc
	v_cmp_le_i64_e32 vcc, s[12:13], v[0:1]
	s_or_b64 s[0:1], vcc, s[0:1]
	s_waitcnt vmcnt(3)
	v_lshrrev_b16_e32 v18, 8, v15
	v_and_b32_e32 v15, 0xff, v15
	s_waitcnt vmcnt(2)
	v_and_b32_e32 v20, 0xff, v24
	s_waitcnt vmcnt(1)
	v_and_b32_e32 v22, 0xff, v25
	v_lshlrev_b32_e32 v15, 16, v15
	v_lshrrev_b16_e32 v19, 8, v24
	v_lshrrev_b16_e32 v21, 8, v25
	v_lshlrev_b32_e32 v20, 16, v20
	v_lshlrev_b32_e32 v22, 16, v22
	v_lshl_or_b32 v15, v18, 24, v15
	v_lshl_or_b32 v18, v19, 24, v20
	;; [unrolled: 1-line block ×3, first 2 shown]
	v_add_f32_e32 v21, 0, v15
	v_bfe_u32 v22, v21, 16, 1
	v_add3_u32 v21, v21, v22, s3
	v_lshrrev_b32_e32 v21, 16, v21
	v_cmp_o_f32_e32 vcc, v15, v15
	v_cndmask_b32_e32 v15, v11, v21, vcc
	v_lshrrev_b16_e32 v21, 8, v15
	v_and_b32_e32 v15, 0xff, v15
	v_lshlrev_b32_e32 v15, 16, v15
	v_lshl_or_b32 v15, v21, 24, v15
	v_add_f32_e32 v15, v15, v18
	v_bfe_u32 v18, v15, 16, 1
	v_add3_u32 v18, v15, v18, s3
	v_lshrrev_b32_e32 v18, 16, v18
	v_cmp_o_f32_e32 vcc, v15, v15
	v_cndmask_b32_e32 v15, v11, v18, vcc
	v_lshrrev_b16_e32 v18, 8, v15
	v_and_b32_e32 v15, 0xff, v15
	v_lshlrev_b32_e32 v15, 16, v15
	v_lshl_or_b32 v15, v18, 24, v15
	v_add_f32_e32 v15, v15, v19
	v_bfe_u32 v18, v15, 16, 1
	v_add3_u32 v18, v15, v18, s3
	v_lshrrev_b32_e32 v18, 16, v18
	v_cmp_o_f32_e32 vcc, v15, v15
	v_cndmask_b32_e32 v15, v11, v18, vcc
	s_waitcnt vmcnt(0)
	v_and_b32_e32 v24, 0xff, v26
	v_lshrrev_b16_e32 v18, 8, v15
	v_and_b32_e32 v15, 0xff, v15
	v_lshrrev_b16_e32 v23, 8, v26
	v_lshlrev_b32_e32 v24, 16, v24
	v_lshlrev_b32_e32 v15, 16, v15
	v_lshl_or_b32 v20, v23, 24, v24
	v_lshl_or_b32 v15, v18, 24, v15
	v_add_f32_e32 v15, v15, v20
	v_bfe_u32 v18, v15, 16, 1
	v_add3_u32 v18, v15, v18, s3
	v_lshrrev_b32_e32 v18, 16, v18
	v_cmp_o_f32_e32 vcc, v15, v15
	v_cndmask_b32_e32 v15, v11, v18, vcc
	global_store_short v[16:17], v15, off
	s_andn2_b64 exec, exec, s[0:1]
	s_cbranch_execnz .LBB315_13
.LBB315_14:
	s_endpgm
	.section	.rodata,"a",@progbits
	.p2align	6, 0x0
	.amdhsa_kernel _ZN4vllm3moe14moe_sum_kernelIN3c108BFloat16ELi4EEEvPT_PKS4_i
		.amdhsa_group_segment_fixed_size 0
		.amdhsa_private_segment_fixed_size 0
		.amdhsa_kernarg_size 280
		.amdhsa_user_sgpr_count 6
		.amdhsa_user_sgpr_private_segment_buffer 1
		.amdhsa_user_sgpr_dispatch_ptr 0
		.amdhsa_user_sgpr_queue_ptr 0
		.amdhsa_user_sgpr_kernarg_segment_ptr 1
		.amdhsa_user_sgpr_dispatch_id 0
		.amdhsa_user_sgpr_flat_scratch_init 0
		.amdhsa_user_sgpr_kernarg_preload_length 0
		.amdhsa_user_sgpr_kernarg_preload_offset 0
		.amdhsa_user_sgpr_private_segment_size 0
		.amdhsa_uses_dynamic_stack 0
		.amdhsa_system_sgpr_private_segment_wavefront_offset 0
		.amdhsa_system_sgpr_workgroup_id_x 1
		.amdhsa_system_sgpr_workgroup_id_y 0
		.amdhsa_system_sgpr_workgroup_id_z 0
		.amdhsa_system_sgpr_workgroup_info 0
		.amdhsa_system_vgpr_workitem_id 0
		.amdhsa_next_free_vgpr 51
		.amdhsa_next_free_sgpr 37
		.amdhsa_accum_offset 52
		.amdhsa_reserve_vcc 1
		.amdhsa_reserve_flat_scratch 0
		.amdhsa_float_round_mode_32 0
		.amdhsa_float_round_mode_16_64 0
		.amdhsa_float_denorm_mode_32 3
		.amdhsa_float_denorm_mode_16_64 3
		.amdhsa_dx10_clamp 1
		.amdhsa_ieee_mode 1
		.amdhsa_fp16_overflow 0
		.amdhsa_tg_split 0
		.amdhsa_exception_fp_ieee_invalid_op 0
		.amdhsa_exception_fp_denorm_src 0
		.amdhsa_exception_fp_ieee_div_zero 0
		.amdhsa_exception_fp_ieee_overflow 0
		.amdhsa_exception_fp_ieee_underflow 0
		.amdhsa_exception_fp_ieee_inexact 0
		.amdhsa_exception_int_div_zero 0
	.end_amdhsa_kernel
	.section	.text._ZN4vllm3moe14moe_sum_kernelIN3c108BFloat16ELi4EEEvPT_PKS4_i,"axG",@progbits,_ZN4vllm3moe14moe_sum_kernelIN3c108BFloat16ELi4EEEvPT_PKS4_i,comdat
.Lfunc_end315:
	.size	_ZN4vllm3moe14moe_sum_kernelIN3c108BFloat16ELi4EEEvPT_PKS4_i, .Lfunc_end315-_ZN4vllm3moe14moe_sum_kernelIN3c108BFloat16ELi4EEEvPT_PKS4_i
                                        ; -- End function
	.section	.AMDGPU.csdata,"",@progbits
; Kernel info:
; codeLenInByte = 3308
; NumSgprs: 41
; NumVgprs: 51
; NumAgprs: 0
; TotalNumVgprs: 51
; ScratchSize: 0
; MemoryBound: 0
; FloatMode: 240
; IeeeMode: 1
; LDSByteSize: 0 bytes/workgroup (compile time only)
; SGPRBlocks: 5
; VGPRBlocks: 6
; NumSGPRsForWavesPerEU: 41
; NumVGPRsForWavesPerEU: 51
; AccumOffset: 52
; Occupancy: 8
; WaveLimiterHint : 0
; COMPUTE_PGM_RSRC2:SCRATCH_EN: 0
; COMPUTE_PGM_RSRC2:USER_SGPR: 6
; COMPUTE_PGM_RSRC2:TRAP_HANDLER: 0
; COMPUTE_PGM_RSRC2:TGID_X_EN: 1
; COMPUTE_PGM_RSRC2:TGID_Y_EN: 0
; COMPUTE_PGM_RSRC2:TGID_Z_EN: 0
; COMPUTE_PGM_RSRC2:TIDIG_COMP_CNT: 0
; COMPUTE_PGM_RSRC3_GFX90A:ACCUM_OFFSET: 12
; COMPUTE_PGM_RSRC3_GFX90A:TG_SPLIT: 0
	.section	.text._ZN4vllm3moe14moe_sum_kernelIfLi5EEEvPT_PKS2_i,"axG",@progbits,_ZN4vllm3moe14moe_sum_kernelIfLi5EEEvPT_PKS2_i,comdat
	.protected	_ZN4vllm3moe14moe_sum_kernelIfLi5EEEvPT_PKS2_i ; -- Begin function _ZN4vllm3moe14moe_sum_kernelIfLi5EEEvPT_PKS2_i
	.globl	_ZN4vllm3moe14moe_sum_kernelIfLi5EEEvPT_PKS2_i
	.p2align	8
	.type	_ZN4vllm3moe14moe_sum_kernelIfLi5EEEvPT_PKS2_i,@function
_ZN4vllm3moe14moe_sum_kernelIfLi5EEEvPT_PKS2_i: ; @_ZN4vllm3moe14moe_sum_kernelIfLi5EEEvPT_PKS2_i
; %bb.0:
	s_load_dword s2, s[4:5], 0x10
	s_waitcnt lgkmcnt(0)
	v_cmp_gt_i32_e32 vcc, s2, v0
	s_and_saveexec_b64 s[0:1], vcc
	s_cbranch_execz .LBB316_14
; %bb.1:
	s_load_dword s0, s[4:5], 0x24
	s_load_dwordx4 s[8:11], s[4:5], 0x0
	s_ashr_i32 s3, s2, 31
	v_mov_b32_e32 v2, s3
	v_mov_b32_e32 v1, 0
	s_waitcnt lgkmcnt(0)
	s_and_b32 s12, s0, 0xffff
	v_add_co_u32_e32 v4, vcc, s12, v0
	v_addc_co_u32_e64 v5, s[0:1], 0, 0, vcc
	v_cmp_lt_i64_e32 vcc, s[2:3], v[4:5]
	v_cndmask_b32_e32 v6, v2, v5, vcc
	v_mov_b32_e32 v2, s2
	v_cndmask_b32_e32 v3, v2, v4, vcc
	v_cmp_gt_i64_e32 vcc, s[2:3], v[4:5]
	v_cndmask_b32_e64 v2, 0, 1, vcc
	v_add_co_u32_e32 v4, vcc, v4, v2
	v_addc_co_u32_e32 v5, vcc, 0, v5, vcc
	v_sub_co_u32_e32 v3, vcc, v3, v4
	v_subb_co_u32_e32 v5, vcc, v6, v5, vcc
	v_mov_b32_e32 v4, v1
	s_mov_b32 s13, 0
	v_cmp_ne_u64_e32 vcc, 0, v[4:5]
                                        ; implicit-def: $vgpr6_vgpr7
	s_and_saveexec_b64 s[0:1], vcc
	s_xor_b64 s[4:5], exec, s[0:1]
	s_cbranch_execz .LBB316_3
; %bb.2:
	v_cvt_f32_u32_e32 v4, s12
	v_mov_b32_e32 v6, 0x4f800000
	s_sub_u32 s0, 0, s12
	s_subb_u32 s1, 0, 0
	v_mac_f32_e32 v4, 0, v6
	v_rcp_f32_e32 v4, v4
	v_mul_f32_e32 v4, 0x5f7ffffc, v4
	v_mul_f32_e32 v6, 0x2f800000, v4
	v_trunc_f32_e32 v6, v6
	v_madmk_f32 v4, v6, 0xcf800000, v4
	v_cvt_u32_f32_e32 v6, v6
	v_cvt_u32_f32_e32 v4, v4
	v_mul_lo_u32 v7, s0, v6
	v_mul_hi_u32 v9, s0, v4
	v_mul_lo_u32 v8, s1, v4
	v_add_u32_e32 v7, v9, v7
	v_mul_lo_u32 v10, s0, v4
	v_add_u32_e32 v7, v7, v8
	v_mul_hi_u32 v9, v4, v10
	v_mul_lo_u32 v11, v4, v7
	v_mul_hi_u32 v8, v4, v7
	v_add_co_u32_e32 v9, vcc, v9, v11
	v_addc_co_u32_e32 v8, vcc, 0, v8, vcc
	v_mul_hi_u32 v12, v6, v10
	v_mul_lo_u32 v10, v6, v10
	v_add_co_u32_e32 v9, vcc, v9, v10
	v_mul_hi_u32 v11, v6, v7
	v_addc_co_u32_e32 v8, vcc, v8, v12, vcc
	v_addc_co_u32_e32 v9, vcc, 0, v11, vcc
	v_mul_lo_u32 v7, v6, v7
	v_add_co_u32_e32 v7, vcc, v8, v7
	v_addc_co_u32_e32 v8, vcc, 0, v9, vcc
	v_add_co_u32_e32 v4, vcc, v4, v7
	v_addc_co_u32_e32 v6, vcc, v6, v8, vcc
	v_mul_lo_u32 v7, s0, v6
	v_mul_hi_u32 v8, s0, v4
	v_add_u32_e32 v7, v8, v7
	v_mul_lo_u32 v8, s1, v4
	v_add_u32_e32 v7, v7, v8
	v_mul_lo_u32 v9, s0, v4
	v_mul_hi_u32 v10, v6, v9
	v_mul_lo_u32 v11, v6, v9
	v_mul_lo_u32 v13, v4, v7
	v_mul_hi_u32 v9, v4, v9
	v_mul_hi_u32 v12, v4, v7
	v_add_co_u32_e32 v9, vcc, v9, v13
	v_addc_co_u32_e32 v12, vcc, 0, v12, vcc
	v_add_co_u32_e32 v9, vcc, v9, v11
	v_mul_hi_u32 v8, v6, v7
	v_addc_co_u32_e32 v9, vcc, v12, v10, vcc
	v_addc_co_u32_e32 v8, vcc, 0, v8, vcc
	v_mul_lo_u32 v7, v6, v7
	v_add_co_u32_e32 v7, vcc, v9, v7
	v_addc_co_u32_e32 v8, vcc, 0, v8, vcc
	v_add_co_u32_e32 v4, vcc, v4, v7
	v_addc_co_u32_e32 v8, vcc, v6, v8, vcc
	v_mad_u64_u32 v[6:7], s[0:1], v3, v8, 0
	v_mul_hi_u32 v9, v3, v4
	v_add_co_u32_e32 v10, vcc, v9, v6
	v_addc_co_u32_e32 v11, vcc, 0, v7, vcc
	v_mad_u64_u32 v[6:7], s[0:1], v5, v8, 0
	v_mad_u64_u32 v[8:9], s[0:1], v5, v4, 0
	v_add_co_u32_e32 v4, vcc, v10, v8
	v_addc_co_u32_e32 v4, vcc, v11, v9, vcc
	v_addc_co_u32_e32 v7, vcc, 0, v7, vcc
	v_add_co_u32_e32 v10, vcc, v4, v6
	v_addc_co_u32_e32 v11, vcc, 0, v7, vcc
	v_mad_u64_u32 v[6:7], s[0:1], s12, v10, 0
	v_mov_b32_e32 v4, v7
	v_mad_u64_u32 v[8:9], s[0:1], s12, v11, v[4:5]
	v_sub_co_u32_e32 v3, vcc, v3, v6
	v_subb_co_u32_e32 v4, vcc, v5, v8, vcc
	v_subrev_co_u32_e32 v5, vcc, s12, v3
	v_subbrev_co_u32_e32 v6, vcc, 0, v4, vcc
	v_cmp_le_u32_e32 vcc, s12, v5
	v_cndmask_b32_e64 v5, 0, -1, vcc
	v_cmp_eq_u32_e32 vcc, 0, v6
	v_cndmask_b32_e32 v5, -1, v5, vcc
	v_add_co_u32_e32 v6, vcc, 2, v10
	v_addc_co_u32_e32 v7, vcc, 0, v11, vcc
	v_add_co_u32_e32 v8, vcc, 1, v10
	v_cmp_le_u32_e64 s[0:1], s12, v3
	v_addc_co_u32_e32 v9, vcc, 0, v11, vcc
	v_cndmask_b32_e64 v3, 0, -1, s[0:1]
	v_cmp_eq_u32_e64 s[0:1], 0, v4
	v_cmp_ne_u32_e32 vcc, 0, v5
	v_cndmask_b32_e64 v3, -1, v3, s[0:1]
	v_cndmask_b32_e32 v5, v9, v7, vcc
	v_cmp_ne_u32_e64 s[0:1], 0, v3
	v_cndmask_b32_e32 v3, v8, v6, vcc
	v_cndmask_b32_e64 v7, v11, v5, s[0:1]
	v_cndmask_b32_e64 v6, v10, v3, s[0:1]
                                        ; implicit-def: $vgpr3
.LBB316_3:
	s_andn2_saveexec_b64 s[0:1], s[4:5]
	s_cbranch_execz .LBB316_5
; %bb.4:
	v_cvt_f32_u32_e32 v4, s12
	s_sub_i32 s4, 0, s12
	v_mov_b32_e32 v7, 0
	v_rcp_iflag_f32_e32 v4, v4
	v_mul_f32_e32 v4, 0x4f7ffffe, v4
	v_cvt_u32_f32_e32 v4, v4
	v_mul_lo_u32 v5, s4, v4
	v_mul_hi_u32 v5, v4, v5
	v_add_u32_e32 v4, v4, v5
	v_mul_hi_u32 v4, v3, v4
	v_mul_lo_u32 v5, v4, s12
	v_sub_u32_e32 v3, v3, v5
	v_add_u32_e32 v6, 1, v4
	v_subrev_u32_e32 v5, s12, v3
	v_cmp_le_u32_e32 vcc, s12, v3
	v_cndmask_b32_e32 v3, v3, v5, vcc
	v_cndmask_b32_e32 v4, v4, v6, vcc
	v_add_u32_e32 v5, 1, v4
	v_cmp_le_u32_e32 vcc, s12, v3
	v_cndmask_b32_e32 v6, v4, v5, vcc
.LBB316_5:
	s_or_b64 exec, exec, s[0:1]
	s_mul_i32 s0, s6, s3
	s_mul_hi_u32 s1, s6, s2
	s_add_i32 s1, s1, s0
	s_mul_i32 s0, s6, s2
	s_mul_i32 s4, s1, 20
	s_mul_hi_u32 s5, s0, 20
	s_add_i32 s5, s5, s4
	s_mul_i32 s4, s0, 20
	v_add_co_u32_e32 v2, vcc, v6, v2
	s_add_u32 s10, s10, s4
	v_addc_co_u32_e32 v3, vcc, 0, v7, vcc
	s_addc_u32 s14, s11, s5
	s_lshl_b64 s[0:1], s[0:1], 2
	v_add_co_u32_e32 v2, vcc, 1, v2
	s_add_u32 s11, s8, s0
	v_addc_co_u32_e32 v3, vcc, 0, v3, vcc
	s_addc_u32 s15, s9, s1
	v_cmp_gt_u64_e32 vcc, 2, v[2:3]
	v_cmp_ne_u16_e64 s[0:1], s12, 1
	s_or_b64 s[4:5], vcc, s[0:1]
	s_mov_b64 s[0:1], 0
                                        ; kill: def $vgpr4_vgpr5 killed $sgpr0_sgpr1 killed $exec
                                        ; implicit-def: $sgpr6_sgpr7
	v_mov_b32_e32 v5, v3
	s_and_saveexec_b64 s[8:9], s[4:5]
	s_xor_b64 s[4:5], exec, s[8:9]
	s_cbranch_execnz .LBB316_8
; %bb.6:
	s_or_saveexec_b64 s[4:5], s[4:5]
	v_pk_mov_b32 v[6:7], s[6:7], s[6:7] op_sel:[0,1]
	s_xor_b64 exec, exec, s[4:5]
	s_cbranch_execnz .LBB316_9
.LBB316_7:
	s_or_b64 exec, exec, s[4:5]
	s_and_b64 exec, exec, s[0:1]
	s_cbranch_execnz .LBB316_12
	s_branch .LBB316_14
.LBB316_8:
	s_mov_b64 s[0:1], exec
	s_lshl_b64 s[6:7], s[2:3], 2
                                        ; implicit-def: $vgpr2_vgpr3
                                        ; implicit-def: $vgpr5
	s_or_saveexec_b64 s[4:5], s[4:5]
	v_pk_mov_b32 v[6:7], s[6:7], s[6:7] op_sel:[0,1]
	s_xor_b64 exec, exec, s[4:5]
	s_cbranch_execz .LBB316_7
.LBB316_9:
	v_and_b32_e32 v4, -2, v2
	s_lshl_b64 s[6:7], s[2:3], 2
	s_mov_b32 s17, 0
	v_lshlrev_b32_e32 v6, 2, v0
	v_mov_b32_e32 v7, 0
	s_lshl_b32 s16, s12, 3
	s_mov_b64 s[8:9], 0
	v_mov_b32_e32 v10, s14
	v_mov_b32_e32 v11, s7
	;; [unrolled: 1-line block ×4, first 2 shown]
	v_pk_mov_b32 v[8:9], v[4:5], v[4:5] op_sel:[0,1]
.LBB316_10:                             ; =>This Inner Loop Header: Depth=1
	v_add_co_u32_e32 v14, vcc, s10, v6
	v_addc_co_u32_e32 v15, vcc, v10, v7, vcc
	v_add_co_u32_e32 v16, vcc, s6, v14
	v_addc_co_u32_e32 v17, vcc, v15, v11, vcc
	global_load_dwordx2 v[18:19], v[14:15], off
	global_load_dwordx2 v[20:21], v[16:17], off
	v_add_co_u32_e32 v14, vcc, s6, v16
	v_addc_co_u32_e32 v15, vcc, v17, v11, vcc
	v_add_co_u32_e32 v16, vcc, s6, v14
	v_addc_co_u32_e32 v17, vcc, v15, v11, vcc
	global_load_dwordx2 v[22:23], v[14:15], off
	global_load_dwordx2 v[24:25], v[16:17], off
	v_add_co_u32_e32 v14, vcc, s6, v16
	v_addc_co_u32_e32 v15, vcc, v17, v11, vcc
	global_load_dwordx2 v[14:15], v[14:15], off
	v_add_co_u32_e32 v16, vcc, s11, v6
	v_addc_co_u32_e32 v17, vcc, v12, v7, vcc
	v_add_co_u32_e32 v8, vcc, -2, v8
	v_addc_co_u32_e32 v9, vcc, -1, v9, vcc
	v_add_co_u32_e32 v6, vcc, s16, v6
	v_addc_co_u32_e32 v7, vcc, v7, v13, vcc
	v_cmp_eq_u64_e32 vcc, 0, v[8:9]
	s_or_b64 s[8:9], vcc, s[8:9]
	s_waitcnt vmcnt(4)
	v_pk_add_f32 v[18:19], v[18:19], 0 op_sel_hi:[1,0]
	s_waitcnt vmcnt(3)
	v_pk_add_f32 v[18:19], v[18:19], v[20:21]
	s_waitcnt vmcnt(2)
	v_pk_add_f32 v[18:19], v[18:19], v[22:23]
	;; [unrolled: 2-line block ×4, first 2 shown]
	global_store_dwordx2 v[16:17], v[14:15], off
	s_andn2_b64 exec, exec, s[8:9]
	s_cbranch_execnz .LBB316_10
; %bb.11:
	s_or_b64 exec, exec, s[8:9]
	v_mad_u64_u32 v[0:1], s[8:9], v4, s12, v[0:1]
	v_mov_b32_e32 v6, v1
	v_mad_u64_u32 v[6:7], s[8:9], v5, s12, v[6:7]
	v_cmp_ne_u64_e32 vcc, v[2:3], v[4:5]
	v_mov_b32_e32 v1, v6
	v_pk_mov_b32 v[6:7], s[6:7], s[6:7] op_sel:[0,1]
	s_andn2_b64 s[0:1], s[0:1], exec
	s_and_b64 s[6:7], vcc, exec
	s_or_b64 s[0:1], s[0:1], s[6:7]
	s_or_b64 exec, exec, s[4:5]
	s_and_b64 exec, exec, s[0:1]
	s_cbranch_execz .LBB316_14
.LBB316_12:
	s_mov_b32 s5, 0
	v_lshlrev_b64 v[2:3], 2, v[0:1]
	s_lshl_b32 s4, s12, 2
	s_mov_b64 s[0:1], 0
	v_mov_b32_e32 v4, s14
	v_mov_b32_e32 v5, s15
	v_mov_b32_e32 v8, s13
	v_mov_b32_e32 v9, s5
.LBB316_13:                             ; =>This Inner Loop Header: Depth=1
	v_add_co_u32_e32 v10, vcc, s10, v2
	v_addc_co_u32_e32 v11, vcc, v4, v3, vcc
	global_load_dword v14, v[10:11], off
	v_add_co_u32_e32 v10, vcc, v10, v6
	v_addc_co_u32_e32 v11, vcc, v11, v7, vcc
	v_add_co_u32_e32 v12, vcc, v10, v6
	v_addc_co_u32_e32 v13, vcc, v11, v7, vcc
	global_load_dword v15, v[10:11], off
	global_load_dword v16, v[12:13], off
	v_add_co_u32_e32 v10, vcc, v12, v6
	v_addc_co_u32_e32 v11, vcc, v13, v7, vcc
	v_add_co_u32_e32 v12, vcc, v10, v6
	v_addc_co_u32_e32 v13, vcc, v11, v7, vcc
	global_load_dword v17, v[10:11], off
	global_load_dword v18, v[12:13], off
	v_add_co_u32_e32 v10, vcc, s11, v2
	v_addc_co_u32_e32 v11, vcc, v5, v3, vcc
	v_add_co_u32_e32 v0, vcc, s12, v0
	v_addc_co_u32_e32 v1, vcc, v1, v8, vcc
	;; [unrolled: 2-line block ×3, first 2 shown]
	v_cmp_le_i64_e32 vcc, s[2:3], v[0:1]
	s_or_b64 s[0:1], vcc, s[0:1]
	s_waitcnt vmcnt(4)
	v_add_f32_e32 v12, 0, v14
	s_waitcnt vmcnt(3)
	v_add_f32_e32 v12, v12, v15
	;; [unrolled: 2-line block ×5, first 2 shown]
	global_store_dword v[10:11], v12, off
	s_andn2_b64 exec, exec, s[0:1]
	s_cbranch_execnz .LBB316_13
.LBB316_14:
	s_endpgm
	.section	.rodata,"a",@progbits
	.p2align	6, 0x0
	.amdhsa_kernel _ZN4vllm3moe14moe_sum_kernelIfLi5EEEvPT_PKS2_i
		.amdhsa_group_segment_fixed_size 0
		.amdhsa_private_segment_fixed_size 0
		.amdhsa_kernarg_size 280
		.amdhsa_user_sgpr_count 6
		.amdhsa_user_sgpr_private_segment_buffer 1
		.amdhsa_user_sgpr_dispatch_ptr 0
		.amdhsa_user_sgpr_queue_ptr 0
		.amdhsa_user_sgpr_kernarg_segment_ptr 1
		.amdhsa_user_sgpr_dispatch_id 0
		.amdhsa_user_sgpr_flat_scratch_init 0
		.amdhsa_user_sgpr_kernarg_preload_length 0
		.amdhsa_user_sgpr_kernarg_preload_offset 0
		.amdhsa_user_sgpr_private_segment_size 0
		.amdhsa_uses_dynamic_stack 0
		.amdhsa_system_sgpr_private_segment_wavefront_offset 0
		.amdhsa_system_sgpr_workgroup_id_x 1
		.amdhsa_system_sgpr_workgroup_id_y 0
		.amdhsa_system_sgpr_workgroup_id_z 0
		.amdhsa_system_sgpr_workgroup_info 0
		.amdhsa_system_vgpr_workitem_id 0
		.amdhsa_next_free_vgpr 26
		.amdhsa_next_free_sgpr 18
		.amdhsa_accum_offset 28
		.amdhsa_reserve_vcc 1
		.amdhsa_reserve_flat_scratch 0
		.amdhsa_float_round_mode_32 0
		.amdhsa_float_round_mode_16_64 0
		.amdhsa_float_denorm_mode_32 3
		.amdhsa_float_denorm_mode_16_64 3
		.amdhsa_dx10_clamp 1
		.amdhsa_ieee_mode 1
		.amdhsa_fp16_overflow 0
		.amdhsa_tg_split 0
		.amdhsa_exception_fp_ieee_invalid_op 0
		.amdhsa_exception_fp_denorm_src 0
		.amdhsa_exception_fp_ieee_div_zero 0
		.amdhsa_exception_fp_ieee_overflow 0
		.amdhsa_exception_fp_ieee_underflow 0
		.amdhsa_exception_fp_ieee_inexact 0
		.amdhsa_exception_int_div_zero 0
	.end_amdhsa_kernel
	.section	.text._ZN4vllm3moe14moe_sum_kernelIfLi5EEEvPT_PKS2_i,"axG",@progbits,_ZN4vllm3moe14moe_sum_kernelIfLi5EEEvPT_PKS2_i,comdat
.Lfunc_end316:
	.size	_ZN4vllm3moe14moe_sum_kernelIfLi5EEEvPT_PKS2_i, .Lfunc_end316-_ZN4vllm3moe14moe_sum_kernelIfLi5EEEvPT_PKS2_i
                                        ; -- End function
	.section	.AMDGPU.csdata,"",@progbits
; Kernel info:
; codeLenInByte = 1468
; NumSgprs: 22
; NumVgprs: 26
; NumAgprs: 0
; TotalNumVgprs: 26
; ScratchSize: 0
; MemoryBound: 0
; FloatMode: 240
; IeeeMode: 1
; LDSByteSize: 0 bytes/workgroup (compile time only)
; SGPRBlocks: 2
; VGPRBlocks: 3
; NumSGPRsForWavesPerEU: 22
; NumVGPRsForWavesPerEU: 26
; AccumOffset: 28
; Occupancy: 8
; WaveLimiterHint : 0
; COMPUTE_PGM_RSRC2:SCRATCH_EN: 0
; COMPUTE_PGM_RSRC2:USER_SGPR: 6
; COMPUTE_PGM_RSRC2:TRAP_HANDLER: 0
; COMPUTE_PGM_RSRC2:TGID_X_EN: 1
; COMPUTE_PGM_RSRC2:TGID_Y_EN: 0
; COMPUTE_PGM_RSRC2:TGID_Z_EN: 0
; COMPUTE_PGM_RSRC2:TIDIG_COMP_CNT: 0
; COMPUTE_PGM_RSRC3_GFX90A:ACCUM_OFFSET: 6
; COMPUTE_PGM_RSRC3_GFX90A:TG_SPLIT: 0
	.section	.text._ZN4vllm3moe14moe_sum_kernelIN3c104HalfELi5EEEvPT_PKS4_i,"axG",@progbits,_ZN4vllm3moe14moe_sum_kernelIN3c104HalfELi5EEEvPT_PKS4_i,comdat
	.protected	_ZN4vllm3moe14moe_sum_kernelIN3c104HalfELi5EEEvPT_PKS4_i ; -- Begin function _ZN4vllm3moe14moe_sum_kernelIN3c104HalfELi5EEEvPT_PKS4_i
	.globl	_ZN4vllm3moe14moe_sum_kernelIN3c104HalfELi5EEEvPT_PKS4_i
	.p2align	8
	.type	_ZN4vllm3moe14moe_sum_kernelIN3c104HalfELi5EEEvPT_PKS4_i,@function
_ZN4vllm3moe14moe_sum_kernelIN3c104HalfELi5EEEvPT_PKS4_i: ; @_ZN4vllm3moe14moe_sum_kernelIN3c104HalfELi5EEEvPT_PKS4_i
; %bb.0:
	s_load_dword s2, s[4:5], 0x10
	s_waitcnt lgkmcnt(0)
	v_cmp_gt_i32_e32 vcc, s2, v0
	s_and_saveexec_b64 s[0:1], vcc
	s_cbranch_execz .LBB317_14
; %bb.1:
	s_load_dword s0, s[4:5], 0x24
	s_load_dwordx4 s[8:11], s[4:5], 0x0
	s_ashr_i32 s3, s2, 31
	v_mov_b32_e32 v2, s3
	v_mov_b32_e32 v1, 0
	s_waitcnt lgkmcnt(0)
	s_and_b32 s12, s0, 0xffff
	v_add_co_u32_e32 v4, vcc, s12, v0
	v_addc_co_u32_e64 v5, s[0:1], 0, 0, vcc
	v_cmp_lt_i64_e32 vcc, s[2:3], v[4:5]
	v_cndmask_b32_e32 v6, v2, v5, vcc
	v_mov_b32_e32 v2, s2
	v_cndmask_b32_e32 v3, v2, v4, vcc
	v_cmp_gt_i64_e32 vcc, s[2:3], v[4:5]
	v_cndmask_b32_e64 v2, 0, 1, vcc
	v_add_co_u32_e32 v4, vcc, v4, v2
	v_addc_co_u32_e32 v5, vcc, 0, v5, vcc
	v_sub_co_u32_e32 v3, vcc, v3, v4
	v_subb_co_u32_e32 v5, vcc, v6, v5, vcc
	v_mov_b32_e32 v4, v1
	s_mov_b32 s13, 0
	v_cmp_ne_u64_e32 vcc, 0, v[4:5]
                                        ; implicit-def: $vgpr6_vgpr7
	s_and_saveexec_b64 s[0:1], vcc
	s_xor_b64 s[4:5], exec, s[0:1]
	s_cbranch_execz .LBB317_3
; %bb.2:
	v_cvt_f32_u32_e32 v4, s12
	v_mov_b32_e32 v6, 0x4f800000
	s_sub_u32 s0, 0, s12
	s_subb_u32 s1, 0, 0
	v_mac_f32_e32 v4, 0, v6
	v_rcp_f32_e32 v4, v4
	v_mul_f32_e32 v4, 0x5f7ffffc, v4
	v_mul_f32_e32 v6, 0x2f800000, v4
	v_trunc_f32_e32 v6, v6
	v_madmk_f32 v4, v6, 0xcf800000, v4
	v_cvt_u32_f32_e32 v6, v6
	v_cvt_u32_f32_e32 v4, v4
	v_mul_lo_u32 v7, s0, v6
	v_mul_hi_u32 v9, s0, v4
	v_mul_lo_u32 v8, s1, v4
	v_add_u32_e32 v7, v9, v7
	v_mul_lo_u32 v10, s0, v4
	v_add_u32_e32 v7, v7, v8
	v_mul_hi_u32 v9, v4, v10
	v_mul_lo_u32 v11, v4, v7
	v_mul_hi_u32 v8, v4, v7
	v_add_co_u32_e32 v9, vcc, v9, v11
	v_addc_co_u32_e32 v8, vcc, 0, v8, vcc
	v_mul_hi_u32 v12, v6, v10
	v_mul_lo_u32 v10, v6, v10
	v_add_co_u32_e32 v9, vcc, v9, v10
	v_mul_hi_u32 v11, v6, v7
	v_addc_co_u32_e32 v8, vcc, v8, v12, vcc
	v_addc_co_u32_e32 v9, vcc, 0, v11, vcc
	v_mul_lo_u32 v7, v6, v7
	v_add_co_u32_e32 v7, vcc, v8, v7
	v_addc_co_u32_e32 v8, vcc, 0, v9, vcc
	v_add_co_u32_e32 v4, vcc, v4, v7
	v_addc_co_u32_e32 v6, vcc, v6, v8, vcc
	v_mul_lo_u32 v7, s0, v6
	v_mul_hi_u32 v8, s0, v4
	v_add_u32_e32 v7, v8, v7
	v_mul_lo_u32 v8, s1, v4
	v_add_u32_e32 v7, v7, v8
	v_mul_lo_u32 v9, s0, v4
	v_mul_hi_u32 v10, v6, v9
	v_mul_lo_u32 v11, v6, v9
	v_mul_lo_u32 v13, v4, v7
	v_mul_hi_u32 v9, v4, v9
	v_mul_hi_u32 v12, v4, v7
	v_add_co_u32_e32 v9, vcc, v9, v13
	v_addc_co_u32_e32 v12, vcc, 0, v12, vcc
	v_add_co_u32_e32 v9, vcc, v9, v11
	v_mul_hi_u32 v8, v6, v7
	v_addc_co_u32_e32 v9, vcc, v12, v10, vcc
	v_addc_co_u32_e32 v8, vcc, 0, v8, vcc
	v_mul_lo_u32 v7, v6, v7
	v_add_co_u32_e32 v7, vcc, v9, v7
	v_addc_co_u32_e32 v8, vcc, 0, v8, vcc
	v_add_co_u32_e32 v4, vcc, v4, v7
	v_addc_co_u32_e32 v8, vcc, v6, v8, vcc
	v_mad_u64_u32 v[6:7], s[0:1], v3, v8, 0
	v_mul_hi_u32 v9, v3, v4
	v_add_co_u32_e32 v10, vcc, v9, v6
	v_addc_co_u32_e32 v11, vcc, 0, v7, vcc
	v_mad_u64_u32 v[6:7], s[0:1], v5, v8, 0
	v_mad_u64_u32 v[8:9], s[0:1], v5, v4, 0
	v_add_co_u32_e32 v4, vcc, v10, v8
	v_addc_co_u32_e32 v4, vcc, v11, v9, vcc
	v_addc_co_u32_e32 v7, vcc, 0, v7, vcc
	v_add_co_u32_e32 v10, vcc, v4, v6
	v_addc_co_u32_e32 v11, vcc, 0, v7, vcc
	v_mad_u64_u32 v[6:7], s[0:1], s12, v10, 0
	v_mov_b32_e32 v4, v7
	v_mad_u64_u32 v[8:9], s[0:1], s12, v11, v[4:5]
	v_sub_co_u32_e32 v3, vcc, v3, v6
	v_subb_co_u32_e32 v4, vcc, v5, v8, vcc
	v_subrev_co_u32_e32 v5, vcc, s12, v3
	v_subbrev_co_u32_e32 v6, vcc, 0, v4, vcc
	v_cmp_le_u32_e32 vcc, s12, v5
	v_cndmask_b32_e64 v5, 0, -1, vcc
	v_cmp_eq_u32_e32 vcc, 0, v6
	v_cndmask_b32_e32 v5, -1, v5, vcc
	v_add_co_u32_e32 v6, vcc, 2, v10
	v_addc_co_u32_e32 v7, vcc, 0, v11, vcc
	v_add_co_u32_e32 v8, vcc, 1, v10
	v_cmp_le_u32_e64 s[0:1], s12, v3
	v_addc_co_u32_e32 v9, vcc, 0, v11, vcc
	v_cndmask_b32_e64 v3, 0, -1, s[0:1]
	v_cmp_eq_u32_e64 s[0:1], 0, v4
	v_cmp_ne_u32_e32 vcc, 0, v5
	v_cndmask_b32_e64 v3, -1, v3, s[0:1]
	v_cndmask_b32_e32 v5, v9, v7, vcc
	v_cmp_ne_u32_e64 s[0:1], 0, v3
	v_cndmask_b32_e32 v3, v8, v6, vcc
	v_cndmask_b32_e64 v7, v11, v5, s[0:1]
	v_cndmask_b32_e64 v6, v10, v3, s[0:1]
                                        ; implicit-def: $vgpr3
.LBB317_3:
	s_andn2_saveexec_b64 s[0:1], s[4:5]
	s_cbranch_execz .LBB317_5
; %bb.4:
	v_cvt_f32_u32_e32 v4, s12
	s_sub_i32 s4, 0, s12
	v_mov_b32_e32 v7, 0
	v_rcp_iflag_f32_e32 v4, v4
	v_mul_f32_e32 v4, 0x4f7ffffe, v4
	v_cvt_u32_f32_e32 v4, v4
	v_mul_lo_u32 v5, s4, v4
	v_mul_hi_u32 v5, v4, v5
	v_add_u32_e32 v4, v4, v5
	v_mul_hi_u32 v4, v3, v4
	v_mul_lo_u32 v5, v4, s12
	v_sub_u32_e32 v3, v3, v5
	v_add_u32_e32 v6, 1, v4
	v_subrev_u32_e32 v5, s12, v3
	v_cmp_le_u32_e32 vcc, s12, v3
	v_cndmask_b32_e32 v3, v3, v5, vcc
	v_cndmask_b32_e32 v4, v4, v6, vcc
	v_add_u32_e32 v5, 1, v4
	v_cmp_le_u32_e32 vcc, s12, v3
	v_cndmask_b32_e32 v6, v4, v5, vcc
.LBB317_5:
	s_or_b64 exec, exec, s[0:1]
	s_mul_i32 s0, s6, s3
	s_mul_hi_u32 s1, s6, s2
	s_add_i32 s1, s1, s0
	s_mul_i32 s0, s6, s2
	s_mul_i32 s4, s1, 10
	s_mul_hi_u32 s5, s0, 10
	s_add_i32 s5, s5, s4
	s_mul_i32 s4, s0, 10
	v_add_co_u32_e32 v2, vcc, v6, v2
	s_add_u32 s10, s10, s4
	v_addc_co_u32_e32 v3, vcc, 0, v7, vcc
	s_addc_u32 s14, s11, s5
	s_lshl_b64 s[0:1], s[0:1], 1
	v_add_co_u32_e32 v2, vcc, 1, v2
	s_add_u32 s11, s8, s0
	v_addc_co_u32_e32 v3, vcc, 0, v3, vcc
	s_addc_u32 s15, s9, s1
	v_cmp_gt_u64_e32 vcc, 4, v[2:3]
	v_cmp_ne_u16_e64 s[0:1], s12, 1
	s_or_b64 s[4:5], vcc, s[0:1]
	s_mov_b64 s[0:1], 0
                                        ; kill: def $vgpr4_vgpr5 killed $sgpr0_sgpr1 killed $exec
                                        ; implicit-def: $sgpr6_sgpr7
	v_mov_b32_e32 v5, v3
	s_and_saveexec_b64 s[8:9], s[4:5]
	s_xor_b64 s[4:5], exec, s[8:9]
	s_cbranch_execnz .LBB317_8
; %bb.6:
	s_or_saveexec_b64 s[4:5], s[4:5]
	v_pk_mov_b32 v[6:7], s[6:7], s[6:7] op_sel:[0,1]
	s_xor_b64 exec, exec, s[4:5]
	s_cbranch_execnz .LBB317_9
.LBB317_7:
	s_or_b64 exec, exec, s[4:5]
	s_and_b64 exec, exec, s[0:1]
	s_cbranch_execnz .LBB317_12
	s_branch .LBB317_14
.LBB317_8:
	s_mov_b64 s[0:1], exec
	s_lshl_b64 s[6:7], s[2:3], 1
                                        ; implicit-def: $vgpr2_vgpr3
                                        ; implicit-def: $vgpr5
	s_or_saveexec_b64 s[4:5], s[4:5]
	v_pk_mov_b32 v[6:7], s[6:7], s[6:7] op_sel:[0,1]
	s_xor_b64 exec, exec, s[4:5]
	s_cbranch_execz .LBB317_7
.LBB317_9:
	v_and_b32_e32 v4, -4, v2
	s_lshl_b64 s[6:7], s[2:3], 1
	s_mov_b32 s17, 0
	v_lshlrev_b32_e32 v6, 1, v0
	v_mov_b32_e32 v7, 0
	s_lshl_b32 s16, s12, 3
	s_mov_b64 s[8:9], 0
	v_mov_b32_e32 v10, s14
	v_mov_b32_e32 v11, s7
	v_mov_b32_e32 v12, s15
	v_mov_b32_e32 v13, s17
	v_pk_mov_b32 v[8:9], v[4:5], v[4:5] op_sel:[0,1]
.LBB317_10:                             ; =>This Inner Loop Header: Depth=1
	v_add_co_u32_e32 v14, vcc, s10, v6
	v_addc_co_u32_e32 v15, vcc, v10, v7, vcc
	v_add_co_u32_e32 v16, vcc, s6, v14
	v_addc_co_u32_e32 v17, vcc, v15, v11, vcc
	global_load_dwordx2 v[18:19], v[14:15], off
	global_load_dwordx2 v[20:21], v[16:17], off
	v_add_co_u32_e32 v14, vcc, s6, v16
	v_addc_co_u32_e32 v15, vcc, v17, v11, vcc
	v_add_co_u32_e32 v16, vcc, s6, v14
	v_addc_co_u32_e32 v17, vcc, v15, v11, vcc
	global_load_dwordx2 v[22:23], v[14:15], off
	global_load_dwordx2 v[24:25], v[16:17], off
	v_add_co_u32_e32 v14, vcc, s6, v16
	v_addc_co_u32_e32 v15, vcc, v17, v11, vcc
	global_load_dwordx2 v[14:15], v[14:15], off
	v_add_co_u32_e32 v16, vcc, s11, v6
	v_addc_co_u32_e32 v17, vcc, v12, v7, vcc
	v_add_co_u32_e32 v8, vcc, -4, v8
	v_addc_co_u32_e32 v9, vcc, -1, v9, vcc
	v_add_co_u32_e32 v6, vcc, s16, v6
	v_addc_co_u32_e32 v7, vcc, v7, v13, vcc
	v_cmp_eq_u64_e32 vcc, 0, v[8:9]
	s_or_b64 s[8:9], vcc, s[8:9]
	s_waitcnt vmcnt(4)
	v_pk_add_f16 v19, v19, 0
	v_pk_add_f16 v18, v18, 0
	s_waitcnt vmcnt(3)
	v_pk_add_f16 v18, v18, v20
	v_pk_add_f16 v19, v19, v21
	;; [unrolled: 3-line block ×5, first 2 shown]
	global_store_dwordx2 v[16:17], v[14:15], off
	s_andn2_b64 exec, exec, s[8:9]
	s_cbranch_execnz .LBB317_10
; %bb.11:
	s_or_b64 exec, exec, s[8:9]
	v_mad_u64_u32 v[0:1], s[8:9], v4, s12, v[0:1]
	v_mov_b32_e32 v6, v1
	v_mad_u64_u32 v[6:7], s[8:9], v5, s12, v[6:7]
	v_cmp_ne_u64_e32 vcc, v[2:3], v[4:5]
	v_mov_b32_e32 v1, v6
	v_pk_mov_b32 v[6:7], s[6:7], s[6:7] op_sel:[0,1]
	s_andn2_b64 s[0:1], s[0:1], exec
	s_and_b64 s[6:7], vcc, exec
	s_or_b64 s[0:1], s[0:1], s[6:7]
	s_or_b64 exec, exec, s[4:5]
	s_and_b64 exec, exec, s[0:1]
	s_cbranch_execz .LBB317_14
.LBB317_12:
	s_mov_b32 s5, 0
	v_lshlrev_b64 v[2:3], 1, v[0:1]
	s_lshl_b32 s4, s12, 1
	s_mov_b64 s[0:1], 0
	v_mov_b32_e32 v4, s14
	v_mov_b32_e32 v5, s15
	;; [unrolled: 1-line block ×4, first 2 shown]
.LBB317_13:                             ; =>This Inner Loop Header: Depth=1
	v_add_co_u32_e32 v10, vcc, s10, v2
	v_addc_co_u32_e32 v11, vcc, v4, v3, vcc
	global_load_ushort v14, v[10:11], off
	v_add_co_u32_e32 v10, vcc, v10, v6
	v_addc_co_u32_e32 v11, vcc, v11, v7, vcc
	v_add_co_u32_e32 v12, vcc, v10, v6
	v_addc_co_u32_e32 v13, vcc, v11, v7, vcc
	global_load_ushort v15, v[10:11], off
	global_load_ushort v16, v[12:13], off
	v_add_co_u32_e32 v10, vcc, v12, v6
	v_addc_co_u32_e32 v11, vcc, v13, v7, vcc
	v_add_co_u32_e32 v12, vcc, v10, v6
	v_addc_co_u32_e32 v13, vcc, v11, v7, vcc
	global_load_ushort v17, v[10:11], off
	global_load_ushort v18, v[12:13], off
	v_add_co_u32_e32 v10, vcc, s11, v2
	v_addc_co_u32_e32 v11, vcc, v5, v3, vcc
	v_add_co_u32_e32 v0, vcc, s12, v0
	v_addc_co_u32_e32 v1, vcc, v1, v8, vcc
	;; [unrolled: 2-line block ×3, first 2 shown]
	v_cmp_le_i64_e32 vcc, s[2:3], v[0:1]
	s_or_b64 s[0:1], vcc, s[0:1]
	s_waitcnt vmcnt(4)
	v_add_f16_e32 v12, 0, v14
	s_waitcnt vmcnt(3)
	v_add_f16_e32 v12, v12, v15
	;; [unrolled: 2-line block ×5, first 2 shown]
	global_store_short v[10:11], v12, off
	s_andn2_b64 exec, exec, s[0:1]
	s_cbranch_execnz .LBB317_13
.LBB317_14:
	s_endpgm
	.section	.rodata,"a",@progbits
	.p2align	6, 0x0
	.amdhsa_kernel _ZN4vllm3moe14moe_sum_kernelIN3c104HalfELi5EEEvPT_PKS4_i
		.amdhsa_group_segment_fixed_size 0
		.amdhsa_private_segment_fixed_size 0
		.amdhsa_kernarg_size 280
		.amdhsa_user_sgpr_count 6
		.amdhsa_user_sgpr_private_segment_buffer 1
		.amdhsa_user_sgpr_dispatch_ptr 0
		.amdhsa_user_sgpr_queue_ptr 0
		.amdhsa_user_sgpr_kernarg_segment_ptr 1
		.amdhsa_user_sgpr_dispatch_id 0
		.amdhsa_user_sgpr_flat_scratch_init 0
		.amdhsa_user_sgpr_kernarg_preload_length 0
		.amdhsa_user_sgpr_kernarg_preload_offset 0
		.amdhsa_user_sgpr_private_segment_size 0
		.amdhsa_uses_dynamic_stack 0
		.amdhsa_system_sgpr_private_segment_wavefront_offset 0
		.amdhsa_system_sgpr_workgroup_id_x 1
		.amdhsa_system_sgpr_workgroup_id_y 0
		.amdhsa_system_sgpr_workgroup_id_z 0
		.amdhsa_system_sgpr_workgroup_info 0
		.amdhsa_system_vgpr_workitem_id 0
		.amdhsa_next_free_vgpr 26
		.amdhsa_next_free_sgpr 18
		.amdhsa_accum_offset 28
		.amdhsa_reserve_vcc 1
		.amdhsa_reserve_flat_scratch 0
		.amdhsa_float_round_mode_32 0
		.amdhsa_float_round_mode_16_64 0
		.amdhsa_float_denorm_mode_32 3
		.amdhsa_float_denorm_mode_16_64 3
		.amdhsa_dx10_clamp 1
		.amdhsa_ieee_mode 1
		.amdhsa_fp16_overflow 0
		.amdhsa_tg_split 0
		.amdhsa_exception_fp_ieee_invalid_op 0
		.amdhsa_exception_fp_denorm_src 0
		.amdhsa_exception_fp_ieee_div_zero 0
		.amdhsa_exception_fp_ieee_overflow 0
		.amdhsa_exception_fp_ieee_underflow 0
		.amdhsa_exception_fp_ieee_inexact 0
		.amdhsa_exception_int_div_zero 0
	.end_amdhsa_kernel
	.section	.text._ZN4vllm3moe14moe_sum_kernelIN3c104HalfELi5EEEvPT_PKS4_i,"axG",@progbits,_ZN4vllm3moe14moe_sum_kernelIN3c104HalfELi5EEEvPT_PKS4_i,comdat
.Lfunc_end317:
	.size	_ZN4vllm3moe14moe_sum_kernelIN3c104HalfELi5EEEvPT_PKS4_i, .Lfunc_end317-_ZN4vllm3moe14moe_sum_kernelIN3c104HalfELi5EEEvPT_PKS4_i
                                        ; -- End function
	.section	.AMDGPU.csdata,"",@progbits
; Kernel info:
; codeLenInByte = 1508
; NumSgprs: 22
; NumVgprs: 26
; NumAgprs: 0
; TotalNumVgprs: 26
; ScratchSize: 0
; MemoryBound: 0
; FloatMode: 240
; IeeeMode: 1
; LDSByteSize: 0 bytes/workgroup (compile time only)
; SGPRBlocks: 2
; VGPRBlocks: 3
; NumSGPRsForWavesPerEU: 22
; NumVGPRsForWavesPerEU: 26
; AccumOffset: 28
; Occupancy: 8
; WaveLimiterHint : 0
; COMPUTE_PGM_RSRC2:SCRATCH_EN: 0
; COMPUTE_PGM_RSRC2:USER_SGPR: 6
; COMPUTE_PGM_RSRC2:TRAP_HANDLER: 0
; COMPUTE_PGM_RSRC2:TGID_X_EN: 1
; COMPUTE_PGM_RSRC2:TGID_Y_EN: 0
; COMPUTE_PGM_RSRC2:TGID_Z_EN: 0
; COMPUTE_PGM_RSRC2:TIDIG_COMP_CNT: 0
; COMPUTE_PGM_RSRC3_GFX90A:ACCUM_OFFSET: 6
; COMPUTE_PGM_RSRC3_GFX90A:TG_SPLIT: 0
	.section	.text._ZN4vllm3moe14moe_sum_kernelIN3c108BFloat16ELi5EEEvPT_PKS4_i,"axG",@progbits,_ZN4vllm3moe14moe_sum_kernelIN3c108BFloat16ELi5EEEvPT_PKS4_i,comdat
	.protected	_ZN4vllm3moe14moe_sum_kernelIN3c108BFloat16ELi5EEEvPT_PKS4_i ; -- Begin function _ZN4vllm3moe14moe_sum_kernelIN3c108BFloat16ELi5EEEvPT_PKS4_i
	.globl	_ZN4vllm3moe14moe_sum_kernelIN3c108BFloat16ELi5EEEvPT_PKS4_i
	.p2align	8
	.type	_ZN4vllm3moe14moe_sum_kernelIN3c108BFloat16ELi5EEEvPT_PKS4_i,@function
_ZN4vllm3moe14moe_sum_kernelIN3c108BFloat16ELi5EEEvPT_PKS4_i: ; @_ZN4vllm3moe14moe_sum_kernelIN3c108BFloat16ELi5EEEvPT_PKS4_i
; %bb.0:
	s_load_dword s12, s[4:5], 0x10
	s_waitcnt lgkmcnt(0)
	v_cmp_gt_i32_e32 vcc, s12, v0
	s_and_saveexec_b64 s[0:1], vcc
	s_cbranch_execz .LBB318_14
; %bb.1:
	s_load_dword s0, s[4:5], 0x24
	s_load_dwordx4 s[8:11], s[4:5], 0x0
	s_ashr_i32 s13, s12, 31
	v_mov_b32_e32 v2, s13
	v_mov_b32_e32 v1, 0
	s_waitcnt lgkmcnt(0)
	s_and_b32 s16, s0, 0xffff
	v_add_co_u32_e32 v4, vcc, s16, v0
	v_addc_co_u32_e64 v5, s[0:1], 0, 0, vcc
	v_cmp_lt_i64_e32 vcc, s[12:13], v[4:5]
	v_cndmask_b32_e32 v6, v2, v5, vcc
	v_mov_b32_e32 v2, s12
	v_cndmask_b32_e32 v3, v2, v4, vcc
	v_cmp_gt_i64_e32 vcc, s[12:13], v[4:5]
	v_cndmask_b32_e64 v2, 0, 1, vcc
	v_add_co_u32_e32 v4, vcc, v4, v2
	v_addc_co_u32_e32 v5, vcc, 0, v5, vcc
	v_sub_co_u32_e32 v3, vcc, v3, v4
	v_subb_co_u32_e32 v5, vcc, v6, v5, vcc
	v_mov_b32_e32 v4, v1
	s_mov_b32 s17, 0
	v_cmp_ne_u64_e32 vcc, 0, v[4:5]
                                        ; implicit-def: $vgpr6_vgpr7
	s_and_saveexec_b64 s[0:1], vcc
	s_xor_b64 s[2:3], exec, s[0:1]
	s_cbranch_execz .LBB318_3
; %bb.2:
	v_cvt_f32_u32_e32 v4, s16
	v_mov_b32_e32 v6, 0x4f800000
	s_sub_u32 s0, 0, s16
	s_subb_u32 s1, 0, 0
	v_mac_f32_e32 v4, 0, v6
	v_rcp_f32_e32 v4, v4
	v_mul_f32_e32 v4, 0x5f7ffffc, v4
	v_mul_f32_e32 v6, 0x2f800000, v4
	v_trunc_f32_e32 v6, v6
	v_madmk_f32 v4, v6, 0xcf800000, v4
	v_cvt_u32_f32_e32 v6, v6
	v_cvt_u32_f32_e32 v4, v4
	v_mul_lo_u32 v7, s0, v6
	v_mul_hi_u32 v9, s0, v4
	v_mul_lo_u32 v8, s1, v4
	v_add_u32_e32 v7, v9, v7
	v_mul_lo_u32 v10, s0, v4
	v_add_u32_e32 v7, v7, v8
	v_mul_hi_u32 v9, v4, v10
	v_mul_lo_u32 v11, v4, v7
	v_mul_hi_u32 v8, v4, v7
	v_add_co_u32_e32 v9, vcc, v9, v11
	v_addc_co_u32_e32 v8, vcc, 0, v8, vcc
	v_mul_hi_u32 v12, v6, v10
	v_mul_lo_u32 v10, v6, v10
	v_add_co_u32_e32 v9, vcc, v9, v10
	v_mul_hi_u32 v11, v6, v7
	v_addc_co_u32_e32 v8, vcc, v8, v12, vcc
	v_addc_co_u32_e32 v9, vcc, 0, v11, vcc
	v_mul_lo_u32 v7, v6, v7
	v_add_co_u32_e32 v7, vcc, v8, v7
	v_addc_co_u32_e32 v8, vcc, 0, v9, vcc
	v_add_co_u32_e32 v4, vcc, v4, v7
	v_addc_co_u32_e32 v6, vcc, v6, v8, vcc
	v_mul_lo_u32 v7, s0, v6
	v_mul_hi_u32 v8, s0, v4
	v_add_u32_e32 v7, v8, v7
	v_mul_lo_u32 v8, s1, v4
	v_add_u32_e32 v7, v7, v8
	v_mul_lo_u32 v9, s0, v4
	v_mul_hi_u32 v10, v6, v9
	v_mul_lo_u32 v11, v6, v9
	v_mul_lo_u32 v13, v4, v7
	v_mul_hi_u32 v9, v4, v9
	v_mul_hi_u32 v12, v4, v7
	v_add_co_u32_e32 v9, vcc, v9, v13
	v_addc_co_u32_e32 v12, vcc, 0, v12, vcc
	v_add_co_u32_e32 v9, vcc, v9, v11
	v_mul_hi_u32 v8, v6, v7
	v_addc_co_u32_e32 v9, vcc, v12, v10, vcc
	v_addc_co_u32_e32 v8, vcc, 0, v8, vcc
	v_mul_lo_u32 v7, v6, v7
	v_add_co_u32_e32 v7, vcc, v9, v7
	v_addc_co_u32_e32 v8, vcc, 0, v8, vcc
	v_add_co_u32_e32 v4, vcc, v4, v7
	v_addc_co_u32_e32 v8, vcc, v6, v8, vcc
	v_mad_u64_u32 v[6:7], s[0:1], v3, v8, 0
	v_mul_hi_u32 v9, v3, v4
	v_add_co_u32_e32 v10, vcc, v9, v6
	v_addc_co_u32_e32 v11, vcc, 0, v7, vcc
	v_mad_u64_u32 v[6:7], s[0:1], v5, v8, 0
	v_mad_u64_u32 v[8:9], s[0:1], v5, v4, 0
	v_add_co_u32_e32 v4, vcc, v10, v8
	v_addc_co_u32_e32 v4, vcc, v11, v9, vcc
	v_addc_co_u32_e32 v7, vcc, 0, v7, vcc
	v_add_co_u32_e32 v10, vcc, v4, v6
	v_addc_co_u32_e32 v11, vcc, 0, v7, vcc
	v_mad_u64_u32 v[6:7], s[0:1], s16, v10, 0
	v_mov_b32_e32 v4, v7
	v_mad_u64_u32 v[8:9], s[0:1], s16, v11, v[4:5]
	v_sub_co_u32_e32 v3, vcc, v3, v6
	v_subb_co_u32_e32 v4, vcc, v5, v8, vcc
	v_subrev_co_u32_e32 v5, vcc, s16, v3
	v_subbrev_co_u32_e32 v6, vcc, 0, v4, vcc
	v_cmp_le_u32_e32 vcc, s16, v5
	v_cndmask_b32_e64 v5, 0, -1, vcc
	v_cmp_eq_u32_e32 vcc, 0, v6
	v_cndmask_b32_e32 v5, -1, v5, vcc
	v_add_co_u32_e32 v6, vcc, 2, v10
	v_addc_co_u32_e32 v7, vcc, 0, v11, vcc
	v_add_co_u32_e32 v8, vcc, 1, v10
	v_cmp_le_u32_e64 s[0:1], s16, v3
	v_addc_co_u32_e32 v9, vcc, 0, v11, vcc
	v_cndmask_b32_e64 v3, 0, -1, s[0:1]
	v_cmp_eq_u32_e64 s[0:1], 0, v4
	v_cmp_ne_u32_e32 vcc, 0, v5
	v_cndmask_b32_e64 v3, -1, v3, s[0:1]
	v_cndmask_b32_e32 v5, v9, v7, vcc
	v_cmp_ne_u32_e64 s[0:1], 0, v3
	v_cndmask_b32_e32 v3, v8, v6, vcc
	v_cndmask_b32_e64 v7, v11, v5, s[0:1]
	v_cndmask_b32_e64 v6, v10, v3, s[0:1]
                                        ; implicit-def: $vgpr3
.LBB318_3:
	s_andn2_saveexec_b64 s[0:1], s[2:3]
	s_cbranch_execz .LBB318_5
; %bb.4:
	v_cvt_f32_u32_e32 v4, s16
	s_sub_i32 s2, 0, s16
	v_mov_b32_e32 v7, 0
	v_rcp_iflag_f32_e32 v4, v4
	v_mul_f32_e32 v4, 0x4f7ffffe, v4
	v_cvt_u32_f32_e32 v4, v4
	v_mul_lo_u32 v5, s2, v4
	v_mul_hi_u32 v5, v4, v5
	v_add_u32_e32 v4, v4, v5
	v_mul_hi_u32 v4, v3, v4
	v_mul_lo_u32 v5, v4, s16
	v_sub_u32_e32 v3, v3, v5
	v_add_u32_e32 v6, 1, v4
	v_subrev_u32_e32 v5, s16, v3
	v_cmp_le_u32_e32 vcc, s16, v3
	v_cndmask_b32_e32 v3, v3, v5, vcc
	v_cndmask_b32_e32 v4, v4, v6, vcc
	v_add_u32_e32 v5, 1, v4
	v_cmp_le_u32_e32 vcc, s16, v3
	v_cndmask_b32_e32 v6, v4, v5, vcc
.LBB318_5:
	s_or_b64 exec, exec, s[0:1]
	s_mul_i32 s0, s6, s13
	s_mul_hi_u32 s1, s6, s12
	s_add_i32 s1, s1, s0
	s_mul_i32 s0, s6, s12
	s_mul_i32 s2, s1, 10
	s_mul_hi_u32 s3, s0, 10
	s_add_i32 s3, s3, s2
	s_mul_i32 s2, s0, 10
	v_add_co_u32_e32 v2, vcc, v6, v2
	s_add_u32 s18, s10, s2
	v_addc_co_u32_e32 v3, vcc, 0, v7, vcc
	s_addc_u32 s20, s11, s3
	s_lshl_b64 s[0:1], s[0:1], 1
	v_add_co_u32_e32 v2, vcc, 1, v2
	s_add_u32 s19, s8, s0
	v_addc_co_u32_e32 v3, vcc, 0, v3, vcc
	s_addc_u32 s21, s9, s1
	v_cmp_gt_u64_e32 vcc, 4, v[2:3]
	v_cmp_ne_u16_e64 s[0:1], s16, 1
                                        ; kill: def $vgpr4_vgpr5 killed $sgpr0_sgpr1 killed $exec
	s_or_b64 s[2:3], vcc, s[0:1]
	s_mov_b64 s[6:7], 0
	v_mov_b32_e32 v5, v3
                                        ; implicit-def: $sgpr0_sgpr1
	s_and_saveexec_b64 s[4:5], s[2:3]
	s_xor_b64 s[2:3], exec, s[4:5]
	s_cbranch_execnz .LBB318_8
; %bb.6:
	s_or_saveexec_b64 s[8:9], s[2:3]
	v_pk_mov_b32 v[6:7], s[0:1], s[0:1] op_sel:[0,1]
	s_xor_b64 exec, exec, s[8:9]
	s_cbranch_execnz .LBB318_9
.LBB318_7:
	s_or_b64 exec, exec, s[8:9]
	s_and_b64 exec, exec, s[6:7]
	s_cbranch_execnz .LBB318_12
	s_branch .LBB318_14
.LBB318_8:
	s_mov_b64 s[6:7], exec
	s_lshl_b64 s[0:1], s[12:13], 1
                                        ; implicit-def: $vgpr2_vgpr3
                                        ; implicit-def: $vgpr5
	s_or_saveexec_b64 s[8:9], s[2:3]
	v_pk_mov_b32 v[6:7], s[0:1], s[0:1] op_sel:[0,1]
	s_xor_b64 exec, exec, s[8:9]
	s_cbranch_execz .LBB318_7
.LBB318_9:
	v_and_b32_e32 v4, -4, v2
	s_lshl_b64 s[10:11], s[12:13], 1
	s_mov_b32 s0, 0
	v_lshlrev_b32_e32 v6, 1, v0
	v_mov_b32_e32 v7, 0
	s_lshl_b32 s22, s16, 3
	s_mov_b64 s[14:15], 0
	v_mov_b32_e32 v16, s20
	s_movk_i32 s23, 0xff
	s_mov_b32 s24, 0xff000000
	s_movk_i32 s25, 0x7fff
	v_mov_b32_e32 v17, 0x7fc0
	v_mov_b32_e32 v18, s11
	s_mov_b32 s26, 0x5040100
	v_mov_b32_e32 v19, s21
	v_mov_b32_e32 v20, s0
	v_pk_mov_b32 v[8:9], v[4:5], v[4:5] op_sel:[0,1]
.LBB318_10:                             ; =>This Inner Loop Header: Depth=1
	v_add_co_u32_e32 v10, vcc, s18, v6
	v_addc_co_u32_e32 v11, vcc, v16, v7, vcc
	v_add_co_u32_e32 v12, vcc, s19, v6
	v_addc_co_u32_e32 v13, vcc, v19, v7, vcc
	v_add_co_u32_e32 v8, vcc, -4, v8
	v_addc_co_u32_e32 v9, vcc, -1, v9, vcc
	v_add_co_u32_e32 v6, vcc, s22, v6
	v_addc_co_u32_e32 v7, vcc, v7, v20, vcc
	global_load_dwordx2 v[14:15], v[10:11], off
	v_add_co_u32_e32 v10, vcc, s10, v10
	v_addc_co_u32_e32 v11, vcc, v11, v18, vcc
	global_load_dwordx2 v[22:23], v[10:11], off
	v_add_co_u32_e64 v10, s[0:1], s10, v10
	v_cmp_eq_u64_e32 vcc, 0, v[8:9]
	v_addc_co_u32_e64 v11, s[0:1], v11, v18, s[0:1]
	s_or_b64 s[14:15], vcc, s[14:15]
	global_load_dwordx2 v[24:25], v[10:11], off
	v_add_co_u32_e32 v10, vcc, s10, v10
	v_addc_co_u32_e32 v11, vcc, v11, v18, vcc
	global_load_dwordx2 v[26:27], v[10:11], off
	v_add_co_u32_e32 v10, vcc, s10, v10
	v_addc_co_u32_e32 v11, vcc, v11, v18, vcc
	global_load_dwordx2 v[10:11], v[10:11], off
	s_waitcnt vmcnt(4)
	v_pk_lshrrev_b16 v21, 8, v15 op_sel_hi:[0,1]
	v_pk_lshrrev_b16 v28, 8, v14 op_sel_hi:[0,1]
	v_and_b32_e32 v29, 0xff, v15
	v_and_b32_sdwa v15, v15, s23 dst_sel:DWORD dst_unused:UNUSED_PAD src0_sel:WORD_1 src1_sel:DWORD
	v_and_b32_e32 v30, 0xff, v14
	v_and_b32_sdwa v14, v14, s23 dst_sel:DWORD dst_unused:UNUSED_PAD src0_sel:WORD_1 src1_sel:DWORD
	v_lshlrev_b32_e32 v31, 16, v14
	v_lshlrev_b32_e32 v14, 16, v30
	;; [unrolled: 1-line block ×6, first 2 shown]
	s_waitcnt vmcnt(3)
	v_pk_lshrrev_b16 v33, 8, v22 op_sel_hi:[0,1]
	v_pk_lshrrev_b16 v34, 8, v23 op_sel_hi:[0,1]
	v_and_b32_e32 v35, 0xff, v22
	v_and_b32_sdwa v36, v22, s23 dst_sel:DWORD dst_unused:UNUSED_PAD src0_sel:WORD_1 src1_sel:DWORD
	v_and_b32_e32 v37, 0xff, v23
	v_and_b32_sdwa v38, v23, s23 dst_sel:DWORD dst_unused:UNUSED_PAD src0_sel:WORD_1 src1_sel:DWORD
	v_lshl_or_b32 v22, v21, 24, v29
	v_and_or_b32 v23, v32, s24, v15
	v_lshl_or_b32 v14, v28, 24, v14
	v_and_or_b32 v15, v30, s24, v31
	v_lshlrev_b32_e32 v21, 16, v38
	v_lshlrev_b32_e32 v32, 16, v37
	;; [unrolled: 1-line block ×6, first 2 shown]
	s_waitcnt vmcnt(2)
	v_pk_lshrrev_b16 v37, 8, v24 op_sel_hi:[0,1]
	v_pk_lshrrev_b16 v38, 8, v25 op_sel_hi:[0,1]
	v_and_b32_e32 v39, 0xff, v24
	v_and_b32_sdwa v40, v24, s23 dst_sel:DWORD dst_unused:UNUSED_PAD src0_sel:WORD_1 src1_sel:DWORD
	v_and_b32_e32 v41, 0xff, v25
	v_and_b32_sdwa v42, v25, s23 dst_sel:DWORD dst_unused:UNUSED_PAD src0_sel:WORD_1 src1_sel:DWORD
	v_pk_add_f32 v[24:25], v[14:15], 0 op_sel_hi:[1,0]
	v_pk_add_f32 v[28:29], v[22:23], 0 op_sel_hi:[1,0]
	v_lshl_or_b32 v30, v33, 24, v30
	v_and_or_b32 v31, v36, s24, v31
	v_lshl_or_b32 v32, v34, 24, v32
	v_and_or_b32 v33, v35, s24, v21
	v_lshlrev_b32_e32 v21, 16, v42
	v_lshlrev_b32_e32 v34, 16, v41
	;; [unrolled: 1-line block ×6, first 2 shown]
	s_waitcnt vmcnt(1)
	v_pk_lshrrev_b16 v41, 8, v26 op_sel_hi:[0,1]
	v_pk_lshrrev_b16 v42, 8, v27 op_sel_hi:[0,1]
	v_and_b32_e32 v43, 0xff, v26
	v_and_b32_sdwa v44, v26, s23 dst_sel:DWORD dst_unused:UNUSED_PAD src0_sel:WORD_1 src1_sel:DWORD
	v_and_b32_e32 v45, 0xff, v27
	v_and_b32_sdwa v46, v27, s23 dst_sel:DWORD dst_unused:UNUSED_PAD src0_sel:WORD_1 src1_sel:DWORD
	v_bfe_u32 v47, v28, 16, 1
	v_bfe_u32 v48, v29, 16, 1
	;; [unrolled: 1-line block ×4, first 2 shown]
	v_lshl_or_b32 v26, v37, 24, v36
	v_and_or_b32 v27, v40, s24, v35
	v_lshl_or_b32 v34, v38, 24, v34
	v_and_or_b32 v35, v39, s24, v21
	v_lshlrev_b32_e32 v21, 16, v46
	v_lshlrev_b32_e32 v36, 16, v45
	;; [unrolled: 1-line block ×6, first 2 shown]
	s_waitcnt vmcnt(0)
	v_pk_lshrrev_b16 v44, 8, v11 op_sel_hi:[0,1]
	v_and_b32_e32 v46, 0xff, v11
	v_and_b32_sdwa v11, v11, s23 dst_sel:DWORD dst_unused:UNUSED_PAD src0_sel:WORD_1 src1_sel:DWORD
	v_add3_u32 v50, v25, v50, s25
	v_add3_u32 v49, v24, v49, s25
	;; [unrolled: 1-line block ×4, first 2 shown]
	v_pk_lshrrev_b16 v43, 8, v10 op_sel_hi:[0,1]
	v_and_b32_e32 v45, 0xff, v10
	v_and_b32_sdwa v10, v10, s23 dst_sel:DWORD dst_unused:UNUSED_PAD src0_sel:WORD_1 src1_sel:DWORD
	v_lshl_or_b32 v24, v41, 24, v38
	v_and_or_b32 v25, v40, s24, v37
	v_lshl_or_b32 v28, v42, 24, v36
	v_and_or_b32 v29, v39, s24, v21
	v_lshlrev_b32_e32 v21, 16, v11
	v_lshlrev_b32_e32 v36, 16, v46
	;; [unrolled: 1-line block ×3, first 2 shown]
	v_lshrrev_b32_e32 v39, 16, v47
	v_lshrrev_b32_e32 v40, 16, v48
	;; [unrolled: 1-line block ×4, first 2 shown]
	v_cmp_o_f32_e32 vcc, v23, v23
	v_cmp_o_f32_e64 s[0:1], v14, v14
	v_cmp_o_f32_e64 s[2:3], v15, v15
	v_cmp_o_f32_e64 s[4:5], v22, v22
	v_lshlrev_b32_e32 v11, 16, v10
	v_lshlrev_b32_e32 v38, 8, v43
	v_lshl_or_b32 v14, v44, 24, v36
	v_and_or_b32 v15, v37, s24, v21
	v_cndmask_b32_e64 v21, v17, v39, s[4:5]
	v_cndmask_b32_e32 v22, v17, v40, vcc
	v_cndmask_b32_e64 v23, v17, v41, s[0:1]
	v_cndmask_b32_e64 v36, v17, v42, s[2:3]
	v_and_or_b32 v11, v38, s24, v11
	v_perm_b32 v37, v36, v23, s26
	v_perm_b32 v38, v22, v21, s26
	v_and_b32_e32 v23, 0xff, v23
	v_and_b32_e32 v36, 0xff, v36
	v_and_b32_e32 v21, 0xff, v21
	v_and_b32_e32 v22, 0xff, v22
	v_pk_lshrrev_b16 v37, 8, v37 op_sel_hi:[0,1]
	v_pk_lshrrev_b16 v38, 8, v38 op_sel_hi:[0,1]
	v_lshlrev_b32_e32 v39, 16, v22
	v_lshlrev_b32_e32 v21, 16, v21
	v_lshlrev_b32_e32 v40, 16, v36
	v_lshlrev_b32_e32 v22, 16, v23
	v_lshlrev_b32_e32 v41, 8, v38
	v_lshlrev_b32_e32 v23, 8, v37
	v_lshl_or_b32 v22, v37, 24, v22
	v_lshl_or_b32 v36, v38, 24, v21
	v_and_or_b32 v23, v23, s24, v40
	v_and_or_b32 v37, v41, s24, v39
	v_pk_add_f32 v[32:33], v[36:37], v[32:33]
	v_pk_add_f32 v[22:23], v[22:23], v[30:31]
	v_bfe_u32 v21, v32, 16, 1
	v_bfe_u32 v30, v33, 16, 1
	v_bfe_u32 v31, v22, 16, 1
	v_bfe_u32 v36, v23, 16, 1
	v_add3_u32 v36, v23, v36, s25
	v_add3_u32 v31, v22, v31, s25
	v_add3_u32 v30, v33, v30, s25
	v_add3_u32 v21, v32, v21, s25
	v_lshrrev_b32_e32 v21, 16, v21
	v_lshrrev_b32_e32 v30, 16, v30
	v_lshrrev_b32_e32 v31, 16, v31
	v_lshrrev_b32_e32 v36, 16, v36
	v_cmp_o_f32_e32 vcc, v33, v33
	v_cmp_o_f32_e64 s[0:1], v22, v22
	v_cmp_o_f32_e64 s[2:3], v23, v23
	v_cmp_o_f32_e64 s[4:5], v32, v32
	v_cndmask_b32_e64 v21, v17, v21, s[4:5]
	v_cndmask_b32_e32 v22, v17, v30, vcc
	v_cndmask_b32_e64 v23, v17, v31, s[0:1]
	v_cndmask_b32_e64 v30, v17, v36, s[2:3]
	v_perm_b32 v31, v30, v23, s26
	v_perm_b32 v32, v22, v21, s26
	v_and_b32_e32 v23, 0xff, v23
	v_and_b32_e32 v30, 0xff, v30
	v_and_b32_e32 v21, 0xff, v21
	v_and_b32_e32 v22, 0xff, v22
	v_pk_lshrrev_b16 v31, 8, v31 op_sel_hi:[0,1]
	v_pk_lshrrev_b16 v32, 8, v32 op_sel_hi:[0,1]
	v_lshlrev_b32_e32 v33, 16, v22
	v_lshlrev_b32_e32 v21, 16, v21
	v_lshlrev_b32_e32 v36, 16, v30
	v_lshlrev_b32_e32 v22, 16, v23
	v_lshlrev_b32_e32 v37, 8, v32
	v_lshlrev_b32_e32 v23, 8, v31
	v_lshl_or_b32 v22, v31, 24, v22
	v_lshl_or_b32 v30, v32, 24, v21
	v_and_or_b32 v23, v23, s24, v36
	v_and_or_b32 v31, v37, s24, v33
	v_pk_add_f32 v[30:31], v[30:31], v[34:35]
	v_pk_add_f32 v[22:23], v[22:23], v[26:27]
	v_bfe_u32 v21, v30, 16, 1
	v_bfe_u32 v26, v31, 16, 1
	v_bfe_u32 v27, v22, 16, 1
	v_bfe_u32 v32, v23, 16, 1
	v_add3_u32 v32, v23, v32, s25
	v_add3_u32 v27, v22, v27, s25
	v_add3_u32 v26, v31, v26, s25
	v_add3_u32 v21, v30, v21, s25
	v_lshrrev_b32_e32 v21, 16, v21
	v_lshrrev_b32_e32 v26, 16, v26
	v_lshrrev_b32_e32 v27, 16, v27
	v_lshrrev_b32_e32 v32, 16, v32
	v_cmp_o_f32_e32 vcc, v31, v31
	v_cmp_o_f32_e64 s[0:1], v22, v22
	v_cmp_o_f32_e64 s[2:3], v23, v23
	v_cmp_o_f32_e64 s[4:5], v30, v30
	v_cndmask_b32_e64 v21, v17, v21, s[4:5]
	v_cndmask_b32_e32 v22, v17, v26, vcc
	v_cndmask_b32_e64 v23, v17, v27, s[0:1]
	v_cndmask_b32_e64 v26, v17, v32, s[2:3]
	;; [unrolled: 40-line block ×3, first 2 shown]
	v_perm_b32 v25, v24, v23, s26
	v_perm_b32 v26, v22, v21, s26
	v_and_b32_e32 v23, 0xff, v23
	v_and_b32_e32 v24, 0xff, v24
	;; [unrolled: 1-line block ×4, first 2 shown]
	v_pk_lshrrev_b16 v25, 8, v25 op_sel_hi:[0,1]
	v_pk_lshrrev_b16 v26, 8, v26 op_sel_hi:[0,1]
	v_lshlrev_b32_e32 v10, 16, v45
	v_lshlrev_b32_e32 v27, 16, v22
	;; [unrolled: 1-line block ×7, first 2 shown]
	v_lshl_or_b32 v10, v43, 24, v10
	v_lshl_or_b32 v22, v25, 24, v22
	;; [unrolled: 1-line block ×3, first 2 shown]
	v_and_or_b32 v23, v23, s24, v28
	v_and_or_b32 v25, v29, s24, v27
	v_pk_add_f32 v[14:15], v[24:25], v[14:15]
	v_pk_add_f32 v[10:11], v[22:23], v[10:11]
	v_bfe_u32 v21, v14, 16, 1
	v_bfe_u32 v22, v15, 16, 1
	;; [unrolled: 1-line block ×4, first 2 shown]
	v_add3_u32 v24, v11, v24, s25
	v_add3_u32 v23, v10, v23, s25
	;; [unrolled: 1-line block ×4, first 2 shown]
	v_lshrrev_b32_e32 v21, 16, v21
	v_lshrrev_b32_e32 v22, 16, v22
	;; [unrolled: 1-line block ×4, first 2 shown]
	v_cmp_o_f32_e32 vcc, v15, v15
	v_cmp_o_f32_e64 s[0:1], v10, v10
	v_cmp_o_f32_e64 s[2:3], v11, v11
	;; [unrolled: 1-line block ×3, first 2 shown]
	v_cndmask_b32_e64 v10, v17, v21, s[4:5]
	v_cndmask_b32_e32 v11, v17, v22, vcc
	v_cndmask_b32_e64 v14, v17, v23, s[0:1]
	v_cndmask_b32_e64 v15, v17, v24, s[2:3]
	v_perm_b32 v11, v11, v10, s26
	v_perm_b32 v10, v15, v14, s26
	global_store_dwordx2 v[12:13], v[10:11], off
	s_andn2_b64 exec, exec, s[14:15]
	s_cbranch_execnz .LBB318_10
; %bb.11:
	s_or_b64 exec, exec, s[14:15]
	v_mad_u64_u32 v[0:1], s[0:1], v4, s16, v[0:1]
	v_mov_b32_e32 v6, v1
	v_mad_u64_u32 v[6:7], s[0:1], v5, s16, v[6:7]
	v_cmp_ne_u64_e32 vcc, v[2:3], v[4:5]
	s_andn2_b64 s[0:1], s[6:7], exec
	s_and_b64 s[2:3], vcc, exec
	v_mov_b32_e32 v1, v6
	v_pk_mov_b32 v[6:7], s[10:11], s[10:11] op_sel:[0,1]
	s_or_b64 s[6:7], s[0:1], s[2:3]
	s_or_b64 exec, exec, s[8:9]
	s_and_b64 exec, exec, s[6:7]
	s_cbranch_execz .LBB318_14
.LBB318_12:
	s_mov_b32 s4, 0
	v_lshlrev_b64 v[2:3], 1, v[0:1]
	s_lshl_b32 s2, s16, 1
	s_mov_b64 s[0:1], 0
	v_mov_b32_e32 v4, s20
	s_movk_i32 s3, 0x7fff
	v_mov_b32_e32 v5, 0x7fc0
	v_mov_b32_e32 v8, s21
	;; [unrolled: 1-line block ×4, first 2 shown]
.LBB318_13:                             ; =>This Inner Loop Header: Depth=1
	v_add_co_u32_e32 v12, vcc, s18, v2
	v_addc_co_u32_e32 v13, vcc, v4, v3, vcc
	global_load_ushort v11, v[12:13], off
	v_add_co_u32_e32 v12, vcc, v12, v6
	v_addc_co_u32_e32 v13, vcc, v13, v7, vcc
	global_load_ushort v14, v[12:13], off
	;; [unrolled: 3-line block ×5, first 2 shown]
	v_add_co_u32_e32 v12, vcc, s19, v2
	v_addc_co_u32_e32 v13, vcc, v8, v3, vcc
	v_add_co_u32_e32 v0, vcc, s16, v0
	v_addc_co_u32_e32 v1, vcc, v1, v9, vcc
	;; [unrolled: 2-line block ×3, first 2 shown]
	v_cmp_le_i64_e32 vcc, s[12:13], v[0:1]
	s_or_b64 s[0:1], vcc, s[0:1]
	s_waitcnt vmcnt(4)
	v_lshrrev_b16_e32 v18, 8, v11
	v_and_b32_e32 v11, 0xff, v11
	v_lshlrev_b32_e32 v11, 16, v11
	v_lshl_or_b32 v11, v18, 24, v11
	v_add_f32_e32 v20, 0, v11
	s_waitcnt vmcnt(3)
	v_lshrrev_b16_e32 v19, 8, v14
	v_and_b32_e32 v14, 0xff, v14
	v_lshlrev_b32_e32 v14, 16, v14
	v_lshl_or_b32 v14, v19, 24, v14
	v_bfe_u32 v21, v20, 16, 1
	s_waitcnt vmcnt(2)
	v_lshrrev_b16_e32 v18, 8, v15
	v_and_b32_e32 v15, 0xff, v15
	v_lshlrev_b32_e32 v15, 16, v15
	v_add3_u32 v20, v20, v21, s3
	v_lshl_or_b32 v15, v18, 24, v15
	s_waitcnt vmcnt(1)
	v_lshrrev_b16_e32 v19, 8, v16
	v_and_b32_e32 v16, 0xff, v16
	v_lshlrev_b32_e32 v16, 16, v16
	v_lshl_or_b32 v16, v19, 24, v16
	v_lshrrev_b32_e32 v19, 16, v20
	s_waitcnt vmcnt(0)
	v_lshrrev_b16_e32 v18, 8, v17
	v_and_b32_e32 v17, 0xff, v17
	v_cmp_o_f32_e32 vcc, v11, v11
	v_lshlrev_b32_e32 v17, 16, v17
	v_cndmask_b32_e32 v11, v5, v19, vcc
	v_lshl_or_b32 v17, v18, 24, v17
	v_lshrrev_b16_e32 v18, 8, v11
	v_and_b32_e32 v11, 0xff, v11
	v_lshlrev_b32_e32 v11, 16, v11
	v_lshl_or_b32 v11, v18, 24, v11
	v_add_f32_e32 v11, v11, v14
	v_bfe_u32 v14, v11, 16, 1
	v_add3_u32 v14, v11, v14, s3
	v_lshrrev_b32_e32 v14, 16, v14
	v_cmp_o_f32_e32 vcc, v11, v11
	v_cndmask_b32_e32 v11, v5, v14, vcc
	v_lshrrev_b16_e32 v14, 8, v11
	v_and_b32_e32 v11, 0xff, v11
	v_lshlrev_b32_e32 v11, 16, v11
	v_lshl_or_b32 v11, v14, 24, v11
	v_add_f32_e32 v11, v11, v15
	v_bfe_u32 v14, v11, 16, 1
	v_add3_u32 v14, v11, v14, s3
	v_lshrrev_b32_e32 v14, 16, v14
	v_cmp_o_f32_e32 vcc, v11, v11
	v_cndmask_b32_e32 v11, v5, v14, vcc
	;; [unrolled: 10-line block ×4, first 2 shown]
	global_store_short v[12:13], v11, off
	s_andn2_b64 exec, exec, s[0:1]
	s_cbranch_execnz .LBB318_13
.LBB318_14:
	s_endpgm
	.section	.rodata,"a",@progbits
	.p2align	6, 0x0
	.amdhsa_kernel _ZN4vllm3moe14moe_sum_kernelIN3c108BFloat16ELi5EEEvPT_PKS4_i
		.amdhsa_group_segment_fixed_size 0
		.amdhsa_private_segment_fixed_size 0
		.amdhsa_kernarg_size 280
		.amdhsa_user_sgpr_count 6
		.amdhsa_user_sgpr_private_segment_buffer 1
		.amdhsa_user_sgpr_dispatch_ptr 0
		.amdhsa_user_sgpr_queue_ptr 0
		.amdhsa_user_sgpr_kernarg_segment_ptr 1
		.amdhsa_user_sgpr_dispatch_id 0
		.amdhsa_user_sgpr_flat_scratch_init 0
		.amdhsa_user_sgpr_kernarg_preload_length 0
		.amdhsa_user_sgpr_kernarg_preload_offset 0
		.amdhsa_user_sgpr_private_segment_size 0
		.amdhsa_uses_dynamic_stack 0
		.amdhsa_system_sgpr_private_segment_wavefront_offset 0
		.amdhsa_system_sgpr_workgroup_id_x 1
		.amdhsa_system_sgpr_workgroup_id_y 0
		.amdhsa_system_sgpr_workgroup_id_z 0
		.amdhsa_system_sgpr_workgroup_info 0
		.amdhsa_system_vgpr_workitem_id 0
		.amdhsa_next_free_vgpr 51
		.amdhsa_next_free_sgpr 27
		.amdhsa_accum_offset 52
		.amdhsa_reserve_vcc 1
		.amdhsa_reserve_flat_scratch 0
		.amdhsa_float_round_mode_32 0
		.amdhsa_float_round_mode_16_64 0
		.amdhsa_float_denorm_mode_32 3
		.amdhsa_float_denorm_mode_16_64 3
		.amdhsa_dx10_clamp 1
		.amdhsa_ieee_mode 1
		.amdhsa_fp16_overflow 0
		.amdhsa_tg_split 0
		.amdhsa_exception_fp_ieee_invalid_op 0
		.amdhsa_exception_fp_denorm_src 0
		.amdhsa_exception_fp_ieee_div_zero 0
		.amdhsa_exception_fp_ieee_overflow 0
		.amdhsa_exception_fp_ieee_underflow 0
		.amdhsa_exception_fp_ieee_inexact 0
		.amdhsa_exception_int_div_zero 0
	.end_amdhsa_kernel
	.section	.text._ZN4vllm3moe14moe_sum_kernelIN3c108BFloat16ELi5EEEvPT_PKS4_i,"axG",@progbits,_ZN4vllm3moe14moe_sum_kernelIN3c108BFloat16ELi5EEEvPT_PKS4_i,comdat
.Lfunc_end318:
	.size	_ZN4vllm3moe14moe_sum_kernelIN3c108BFloat16ELi5EEEvPT_PKS4_i, .Lfunc_end318-_ZN4vllm3moe14moe_sum_kernelIN3c108BFloat16ELi5EEEvPT_PKS4_i
                                        ; -- End function
	.section	.AMDGPU.csdata,"",@progbits
; Kernel info:
; codeLenInByte = 3612
; NumSgprs: 31
; NumVgprs: 51
; NumAgprs: 0
; TotalNumVgprs: 51
; ScratchSize: 0
; MemoryBound: 0
; FloatMode: 240
; IeeeMode: 1
; LDSByteSize: 0 bytes/workgroup (compile time only)
; SGPRBlocks: 3
; VGPRBlocks: 6
; NumSGPRsForWavesPerEU: 31
; NumVGPRsForWavesPerEU: 51
; AccumOffset: 52
; Occupancy: 8
; WaveLimiterHint : 0
; COMPUTE_PGM_RSRC2:SCRATCH_EN: 0
; COMPUTE_PGM_RSRC2:USER_SGPR: 6
; COMPUTE_PGM_RSRC2:TRAP_HANDLER: 0
; COMPUTE_PGM_RSRC2:TGID_X_EN: 1
; COMPUTE_PGM_RSRC2:TGID_Y_EN: 0
; COMPUTE_PGM_RSRC2:TGID_Z_EN: 0
; COMPUTE_PGM_RSRC2:TIDIG_COMP_CNT: 0
; COMPUTE_PGM_RSRC3_GFX90A:ACCUM_OFFSET: 12
; COMPUTE_PGM_RSRC3_GFX90A:TG_SPLIT: 0
	.text
	.p2alignl 6, 3212836864
	.fill 256, 4, 3212836864
	.type	__const.__assert_fail.fmt,@object ; @__const.__assert_fail.fmt
	.section	.rodata.str1.16,"aMS",@progbits,1
	.p2align	4, 0x0
__const.__assert_fail.fmt:
	.asciz	"%s:%u: %s: Device-side assertion `%s' failed.\n"
	.size	__const.__assert_fail.fmt, 47

	.type	.str.1,@object                  ; @.str.1
	.section	.rodata.str1.1,"aMS",@progbits,1
.str.1:
	.asciz	"indices[idx] >= 0"
	.size	.str.1, 18

	.type	.str.2,@object                  ; @.str.2
.str.2:
	.asciz	"/root/src/amdgpu-assembly/repos/ROCm__aiter/csrc/kernels/topk_softmax_kernels.cu"
	.size	.str.2, 81

	.type	__PRETTY_FUNCTION__._ZN4vllm3moe7moeTopKILi256EEEvPKfPKbPfPiS7_iiiib,@object ; @__PRETTY_FUNCTION__._ZN4vllm3moe7moeTopKILi256EEEvPKfPKbPfPiS7_iiiib
__PRETTY_FUNCTION__._ZN4vllm3moe7moeTopKILi256EEEvPKfPKbPfPiS7_iiiib:
	.asciz	"void vllm::moe::moeTopK(const float *, const bool *, float *, int *, int *, const int, const int, const int, const int, const bool) [TPB = 256]"
	.size	__PRETTY_FUNCTION__._ZN4vllm3moe7moeTopKILi256EEEvPKfPKbPfPiS7_iiiib, 144

	.type	__hip_cuid_62afb703323a345b,@object ; @__hip_cuid_62afb703323a345b
	.section	.bss,"aw",@nobits
	.globl	__hip_cuid_62afb703323a345b
__hip_cuid_62afb703323a345b:
	.byte	0                               ; 0x0
	.size	__hip_cuid_62afb703323a345b, 1

	.ident	"AMD clang version 19.0.0git (https://github.com/RadeonOpenCompute/llvm-project roc-6.4.0 25133 c7fe45cf4b819c5991fe208aaa96edf142730f1d)"
	.section	".note.GNU-stack","",@progbits
	.addrsig
	.addrsig_sym __hip_cuid_62afb703323a345b
	.amdgpu_metadata
---
amdhsa.kernels:
  - .agpr_count:     0
    .args:           []
    .group_segment_fixed_size: 0
    .kernarg_segment_align: 4
    .kernarg_segment_size: 0
    .language:       OpenCL C
    .language_version:
      - 2
      - 0
    .max_flat_workgroup_size: 1024
    .name:           _ZN7ck_tileL11flush_cacheEv
    .private_segment_fixed_size: 0
    .sgpr_count:     4
    .sgpr_spill_count: 0
    .symbol:         _ZN7ck_tileL11flush_cacheEv.kd
    .uniform_work_group_size: 1
    .uses_dynamic_stack: false
    .vgpr_count:     0
    .vgpr_spill_count: 0
    .wavefront_size: 64
  - .agpr_count:     0
    .args:
      - .address_space:  global
        .offset:         0
        .size:           8
        .value_kind:     global_buffer
      - .address_space:  global
        .offset:         8
        .size:           8
        .value_kind:     global_buffer
      - .address_space:  global
        .offset:         16
        .size:           8
        .value_kind:     global_buffer
      - .offset:         24
        .size:           4
        .value_kind:     by_value
      - .address_space:  global
        .offset:         32
        .size:           8
        .value_kind:     global_buffer
      - .address_space:  global
        .offset:         40
        .size:           8
        .value_kind:     global_buffer
      - .offset:         48
        .size:           4
        .value_kind:     by_value
      - .offset:         52
        .size:           4
        .value_kind:     by_value
      - .offset:         56
        .size:           4
        .value_kind:     by_value
      - .offset:         60
        .size:           4
        .value_kind:     by_value
      - .offset:         64
        .size:           4
        .value_kind:     by_value
      - .offset:         68
        .size:           4
        .value_kind:     by_value
    .group_segment_fixed_size: 0
    .kernarg_segment_align: 8
    .kernarg_segment_size: 72
    .language:       OpenCL C
    .language_version:
      - 2
      - 0
    .max_flat_workgroup_size: 512
    .name:           _ZN4vllm3moe17topkGatingSoftmaxIfLi1ELi1ELi8ELi4ELb1ELi0ELNS0_23SharedExpertScoringFuncE0EEEvPKT_PKbPfiPiS9_iiiiii
    .private_segment_fixed_size: 0
    .sgpr_count:     30
    .sgpr_spill_count: 0
    .symbol:         _ZN4vllm3moe17topkGatingSoftmaxIfLi1ELi1ELi8ELi4ELb1ELi0ELNS0_23SharedExpertScoringFuncE0EEEvPKT_PKbPfiPiS9_iiiiii.kd
    .uniform_work_group_size: 1
    .uses_dynamic_stack: false
    .vgpr_count:     21
    .vgpr_spill_count: 0
    .wavefront_size: 64
  - .agpr_count:     0
    .args:
      - .address_space:  global
        .offset:         0
        .size:           8
        .value_kind:     global_buffer
      - .address_space:  global
        .offset:         8
        .size:           8
        .value_kind:     global_buffer
      - .address_space:  global
        .offset:         16
        .size:           8
        .value_kind:     global_buffer
      - .offset:         24
        .size:           4
        .value_kind:     by_value
      - .address_space:  global
        .offset:         32
        .size:           8
        .value_kind:     global_buffer
      - .address_space:  global
        .offset:         40
        .size:           8
        .value_kind:     global_buffer
      - .offset:         48
        .size:           4
        .value_kind:     by_value
      - .offset:         52
        .size:           4
        .value_kind:     by_value
      - .offset:         56
        .size:           4
        .value_kind:     by_value
      - .offset:         60
        .size:           4
        .value_kind:     by_value
      - .offset:         64
        .size:           4
        .value_kind:     by_value
      - .offset:         68
        .size:           4
        .value_kind:     by_value
    .group_segment_fixed_size: 0
    .kernarg_segment_align: 8
    .kernarg_segment_size: 72
    .language:       OpenCL C
    .language_version:
      - 2
      - 0
    .max_flat_workgroup_size: 512
    .name:           _ZN4vllm3moe17topkGatingSoftmaxIfLi1ELi1ELi8ELi4ELb0ELi0ELNS0_23SharedExpertScoringFuncE0EEEvPKT_PKbPfiPiS9_iiiiii
    .private_segment_fixed_size: 0
    .sgpr_count:     26
    .sgpr_spill_count: 0
    .symbol:         _ZN4vllm3moe17topkGatingSoftmaxIfLi1ELi1ELi8ELi4ELb0ELi0ELNS0_23SharedExpertScoringFuncE0EEEvPKT_PKbPfiPiS9_iiiiii.kd
    .uniform_work_group_size: 1
    .uses_dynamic_stack: false
    .vgpr_count:     17
    .vgpr_spill_count: 0
    .wavefront_size: 64
  - .agpr_count:     0
    .args:
      - .address_space:  global
        .offset:         0
        .size:           8
        .value_kind:     global_buffer
      - .address_space:  global
        .offset:         8
        .size:           8
        .value_kind:     global_buffer
      - .address_space:  global
        .offset:         16
        .size:           8
        .value_kind:     global_buffer
      - .offset:         24
        .size:           4
        .value_kind:     by_value
      - .address_space:  global
        .offset:         32
        .size:           8
        .value_kind:     global_buffer
      - .address_space:  global
        .offset:         40
        .size:           8
        .value_kind:     global_buffer
      - .offset:         48
        .size:           4
        .value_kind:     by_value
      - .offset:         52
        .size:           4
        .value_kind:     by_value
      - .offset:         56
        .size:           4
        .value_kind:     by_value
      - .offset:         60
        .size:           4
        .value_kind:     by_value
      - .offset:         64
        .size:           4
        .value_kind:     by_value
      - .offset:         68
        .size:           4
        .value_kind:     by_value
    .group_segment_fixed_size: 0
    .kernarg_segment_align: 8
    .kernarg_segment_size: 72
    .language:       OpenCL C
    .language_version:
      - 2
      - 0
    .max_flat_workgroup_size: 512
    .name:           _ZN4vllm3moe17topkGatingSoftmaxIfLi1ELi1ELi8ELi4ELb1ELi1ELNS0_23SharedExpertScoringFuncE1EEEvPKT_PKbPfiPiS9_iiiiii
    .private_segment_fixed_size: 0
    .sgpr_count:     26
    .sgpr_spill_count: 0
    .symbol:         _ZN4vllm3moe17topkGatingSoftmaxIfLi1ELi1ELi8ELi4ELb1ELi1ELNS0_23SharedExpertScoringFuncE1EEEvPKT_PKbPfiPiS9_iiiiii.kd
    .uniform_work_group_size: 1
    .uses_dynamic_stack: false
    .vgpr_count:     18
    .vgpr_spill_count: 0
    .wavefront_size: 64
  - .agpr_count:     0
    .args:
      - .address_space:  global
        .offset:         0
        .size:           8
        .value_kind:     global_buffer
      - .address_space:  global
        .offset:         8
        .size:           8
        .value_kind:     global_buffer
      - .address_space:  global
        .offset:         16
        .size:           8
        .value_kind:     global_buffer
      - .offset:         24
        .size:           4
        .value_kind:     by_value
      - .address_space:  global
        .offset:         32
        .size:           8
        .value_kind:     global_buffer
      - .address_space:  global
        .offset:         40
        .size:           8
        .value_kind:     global_buffer
      - .offset:         48
        .size:           4
        .value_kind:     by_value
      - .offset:         52
        .size:           4
        .value_kind:     by_value
      - .offset:         56
        .size:           4
        .value_kind:     by_value
      - .offset:         60
        .size:           4
        .value_kind:     by_value
      - .offset:         64
        .size:           4
        .value_kind:     by_value
      - .offset:         68
        .size:           4
        .value_kind:     by_value
    .group_segment_fixed_size: 0
    .kernarg_segment_align: 8
    .kernarg_segment_size: 72
    .language:       OpenCL C
    .language_version:
      - 2
      - 0
    .max_flat_workgroup_size: 512
    .name:           _ZN4vllm3moe17topkGatingSoftmaxIfLi1ELi1ELi8ELi4ELb0ELi1ELNS0_23SharedExpertScoringFuncE1EEEvPKT_PKbPfiPiS9_iiiiii
    .private_segment_fixed_size: 0
    .sgpr_count:     26
    .sgpr_spill_count: 0
    .symbol:         _ZN4vllm3moe17topkGatingSoftmaxIfLi1ELi1ELi8ELi4ELb0ELi1ELNS0_23SharedExpertScoringFuncE1EEEvPKT_PKbPfiPiS9_iiiiii.kd
    .uniform_work_group_size: 1
    .uses_dynamic_stack: false
    .vgpr_count:     20
    .vgpr_spill_count: 0
    .wavefront_size: 64
  - .agpr_count:     0
    .args:
      - .address_space:  global
        .offset:         0
        .size:           8
        .value_kind:     global_buffer
      - .address_space:  global
        .offset:         8
        .size:           8
        .value_kind:     global_buffer
      - .address_space:  global
        .offset:         16
        .size:           8
        .value_kind:     global_buffer
      - .offset:         24
        .size:           4
        .value_kind:     by_value
      - .address_space:  global
        .offset:         32
        .size:           8
        .value_kind:     global_buffer
      - .address_space:  global
        .offset:         40
        .size:           8
        .value_kind:     global_buffer
      - .offset:         48
        .size:           4
        .value_kind:     by_value
      - .offset:         52
        .size:           4
        .value_kind:     by_value
      - .offset:         56
        .size:           4
        .value_kind:     by_value
      - .offset:         60
        .size:           4
        .value_kind:     by_value
      - .offset:         64
        .size:           4
        .value_kind:     by_value
      - .offset:         68
        .size:           4
        .value_kind:     by_value
    .group_segment_fixed_size: 0
    .kernarg_segment_align: 8
    .kernarg_segment_size: 72
    .language:       OpenCL C
    .language_version:
      - 2
      - 0
    .max_flat_workgroup_size: 512
    .name:           _ZN4vllm3moe17topkGatingSoftmaxIfLi1ELi1ELi8ELi4ELb1ELi2ELNS0_23SharedExpertScoringFuncE1EEEvPKT_PKbPfiPiS9_iiiiii
    .private_segment_fixed_size: 0
    .sgpr_count:     26
    .sgpr_spill_count: 0
    .symbol:         _ZN4vllm3moe17topkGatingSoftmaxIfLi1ELi1ELi8ELi4ELb1ELi2ELNS0_23SharedExpertScoringFuncE1EEEvPKT_PKbPfiPiS9_iiiiii.kd
    .uniform_work_group_size: 1
    .uses_dynamic_stack: false
    .vgpr_count:     18
    .vgpr_spill_count: 0
    .wavefront_size: 64
  - .agpr_count:     0
    .args:
      - .address_space:  global
        .offset:         0
        .size:           8
        .value_kind:     global_buffer
      - .address_space:  global
        .offset:         8
        .size:           8
        .value_kind:     global_buffer
      - .address_space:  global
        .offset:         16
        .size:           8
        .value_kind:     global_buffer
      - .offset:         24
        .size:           4
        .value_kind:     by_value
      - .address_space:  global
        .offset:         32
        .size:           8
        .value_kind:     global_buffer
      - .address_space:  global
        .offset:         40
        .size:           8
        .value_kind:     global_buffer
      - .offset:         48
        .size:           4
        .value_kind:     by_value
      - .offset:         52
        .size:           4
        .value_kind:     by_value
      - .offset:         56
        .size:           4
        .value_kind:     by_value
      - .offset:         60
        .size:           4
        .value_kind:     by_value
      - .offset:         64
        .size:           4
        .value_kind:     by_value
      - .offset:         68
        .size:           4
        .value_kind:     by_value
    .group_segment_fixed_size: 0
    .kernarg_segment_align: 8
    .kernarg_segment_size: 72
    .language:       OpenCL C
    .language_version:
      - 2
      - 0
    .max_flat_workgroup_size: 512
    .name:           _ZN4vllm3moe17topkGatingSoftmaxIfLi1ELi1ELi8ELi4ELb0ELi2ELNS0_23SharedExpertScoringFuncE1EEEvPKT_PKbPfiPiS9_iiiiii
    .private_segment_fixed_size: 0
    .sgpr_count:     26
    .sgpr_spill_count: 0
    .symbol:         _ZN4vllm3moe17topkGatingSoftmaxIfLi1ELi1ELi8ELi4ELb0ELi2ELNS0_23SharedExpertScoringFuncE1EEEvPKT_PKbPfiPiS9_iiiiii.kd
    .uniform_work_group_size: 1
    .uses_dynamic_stack: false
    .vgpr_count:     18
    .vgpr_spill_count: 0
    .wavefront_size: 64
  - .agpr_count:     0
    .args:
      - .address_space:  global
        .offset:         0
        .size:           8
        .value_kind:     global_buffer
      - .address_space:  global
        .offset:         8
        .size:           8
        .value_kind:     global_buffer
      - .address_space:  global
        .offset:         16
        .size:           8
        .value_kind:     global_buffer
      - .offset:         24
        .size:           4
        .value_kind:     by_value
      - .address_space:  global
        .offset:         32
        .size:           8
        .value_kind:     global_buffer
      - .address_space:  global
        .offset:         40
        .size:           8
        .value_kind:     global_buffer
      - .offset:         48
        .size:           4
        .value_kind:     by_value
      - .offset:         52
        .size:           4
        .value_kind:     by_value
      - .offset:         56
        .size:           4
        .value_kind:     by_value
      - .offset:         60
        .size:           4
        .value_kind:     by_value
      - .offset:         64
        .size:           4
        .value_kind:     by_value
      - .offset:         68
        .size:           4
        .value_kind:     by_value
    .group_segment_fixed_size: 0
    .kernarg_segment_align: 8
    .kernarg_segment_size: 72
    .language:       OpenCL C
    .language_version:
      - 2
      - 0
    .max_flat_workgroup_size: 512
    .name:           _ZN4vllm3moe17topkGatingSoftmaxIfLi1ELi1ELi8ELi4ELb1ELi4ELNS0_23SharedExpertScoringFuncE1EEEvPKT_PKbPfiPiS9_iiiiii
    .private_segment_fixed_size: 0
    .sgpr_count:     26
    .sgpr_spill_count: 0
    .symbol:         _ZN4vllm3moe17topkGatingSoftmaxIfLi1ELi1ELi8ELi4ELb1ELi4ELNS0_23SharedExpertScoringFuncE1EEEvPKT_PKbPfiPiS9_iiiiii.kd
    .uniform_work_group_size: 1
    .uses_dynamic_stack: false
    .vgpr_count:     18
    .vgpr_spill_count: 0
    .wavefront_size: 64
  - .agpr_count:     0
    .args:
      - .address_space:  global
        .offset:         0
        .size:           8
        .value_kind:     global_buffer
      - .address_space:  global
        .offset:         8
        .size:           8
        .value_kind:     global_buffer
      - .address_space:  global
        .offset:         16
        .size:           8
        .value_kind:     global_buffer
      - .offset:         24
        .size:           4
        .value_kind:     by_value
      - .address_space:  global
        .offset:         32
        .size:           8
        .value_kind:     global_buffer
      - .address_space:  global
        .offset:         40
        .size:           8
        .value_kind:     global_buffer
      - .offset:         48
        .size:           4
        .value_kind:     by_value
      - .offset:         52
        .size:           4
        .value_kind:     by_value
      - .offset:         56
        .size:           4
        .value_kind:     by_value
      - .offset:         60
        .size:           4
        .value_kind:     by_value
      - .offset:         64
        .size:           4
        .value_kind:     by_value
      - .offset:         68
        .size:           4
        .value_kind:     by_value
    .group_segment_fixed_size: 0
    .kernarg_segment_align: 8
    .kernarg_segment_size: 72
    .language:       OpenCL C
    .language_version:
      - 2
      - 0
    .max_flat_workgroup_size: 512
    .name:           _ZN4vllm3moe17topkGatingSoftmaxIfLi1ELi1ELi8ELi4ELb0ELi4ELNS0_23SharedExpertScoringFuncE1EEEvPKT_PKbPfiPiS9_iiiiii
    .private_segment_fixed_size: 0
    .sgpr_count:     26
    .sgpr_spill_count: 0
    .symbol:         _ZN4vllm3moe17topkGatingSoftmaxIfLi1ELi1ELi8ELi4ELb0ELi4ELNS0_23SharedExpertScoringFuncE1EEEvPKT_PKbPfiPiS9_iiiiii.kd
    .uniform_work_group_size: 1
    .uses_dynamic_stack: false
    .vgpr_count:     18
    .vgpr_spill_count: 0
    .wavefront_size: 64
  - .agpr_count:     0
    .args:
      - .address_space:  global
        .offset:         0
        .size:           8
        .value_kind:     global_buffer
      - .address_space:  global
        .offset:         8
        .size:           8
        .value_kind:     global_buffer
      - .address_space:  global
        .offset:         16
        .size:           8
        .value_kind:     global_buffer
      - .offset:         24
        .size:           4
        .value_kind:     by_value
      - .address_space:  global
        .offset:         32
        .size:           8
        .value_kind:     global_buffer
      - .address_space:  global
        .offset:         40
        .size:           8
        .value_kind:     global_buffer
      - .offset:         48
        .size:           4
        .value_kind:     by_value
      - .offset:         52
        .size:           4
        .value_kind:     by_value
      - .offset:         56
        .size:           4
        .value_kind:     by_value
      - .offset:         60
        .size:           4
        .value_kind:     by_value
      - .offset:         64
        .size:           4
        .value_kind:     by_value
      - .offset:         68
        .size:           4
        .value_kind:     by_value
    .group_segment_fixed_size: 0
    .kernarg_segment_align: 8
    .kernarg_segment_size: 72
    .language:       OpenCL C
    .language_version:
      - 2
      - 0
    .max_flat_workgroup_size: 512
    .name:           _ZN4vllm3moe17topkGatingSoftmaxIfLi1ELi1ELi8ELi4ELb1ELi8ELNS0_23SharedExpertScoringFuncE1EEEvPKT_PKbPfiPiS9_iiiiii
    .private_segment_fixed_size: 0
    .sgpr_count:     26
    .sgpr_spill_count: 0
    .symbol:         _ZN4vllm3moe17topkGatingSoftmaxIfLi1ELi1ELi8ELi4ELb1ELi8ELNS0_23SharedExpertScoringFuncE1EEEvPKT_PKbPfiPiS9_iiiiii.kd
    .uniform_work_group_size: 1
    .uses_dynamic_stack: false
    .vgpr_count:     18
    .vgpr_spill_count: 0
    .wavefront_size: 64
  - .agpr_count:     0
    .args:
      - .address_space:  global
        .offset:         0
        .size:           8
        .value_kind:     global_buffer
      - .address_space:  global
        .offset:         8
        .size:           8
        .value_kind:     global_buffer
      - .address_space:  global
        .offset:         16
        .size:           8
        .value_kind:     global_buffer
      - .offset:         24
        .size:           4
        .value_kind:     by_value
      - .address_space:  global
        .offset:         32
        .size:           8
        .value_kind:     global_buffer
      - .address_space:  global
        .offset:         40
        .size:           8
        .value_kind:     global_buffer
      - .offset:         48
        .size:           4
        .value_kind:     by_value
      - .offset:         52
        .size:           4
        .value_kind:     by_value
      - .offset:         56
        .size:           4
        .value_kind:     by_value
      - .offset:         60
        .size:           4
        .value_kind:     by_value
      - .offset:         64
        .size:           4
        .value_kind:     by_value
      - .offset:         68
        .size:           4
        .value_kind:     by_value
    .group_segment_fixed_size: 0
    .kernarg_segment_align: 8
    .kernarg_segment_size: 72
    .language:       OpenCL C
    .language_version:
      - 2
      - 0
    .max_flat_workgroup_size: 512
    .name:           _ZN4vllm3moe17topkGatingSoftmaxIfLi1ELi1ELi8ELi4ELb0ELi8ELNS0_23SharedExpertScoringFuncE1EEEvPKT_PKbPfiPiS9_iiiiii
    .private_segment_fixed_size: 0
    .sgpr_count:     26
    .sgpr_spill_count: 0
    .symbol:         _ZN4vllm3moe17topkGatingSoftmaxIfLi1ELi1ELi8ELi4ELb0ELi8ELNS0_23SharedExpertScoringFuncE1EEEvPKT_PKbPfiPiS9_iiiiii.kd
    .uniform_work_group_size: 1
    .uses_dynamic_stack: false
    .vgpr_count:     18
    .vgpr_spill_count: 0
    .wavefront_size: 64
  - .agpr_count:     0
    .args:
      - .address_space:  global
        .offset:         0
        .size:           8
        .value_kind:     global_buffer
      - .address_space:  global
        .offset:         8
        .size:           8
        .value_kind:     global_buffer
      - .address_space:  global
        .offset:         16
        .size:           8
        .value_kind:     global_buffer
      - .offset:         24
        .size:           4
        .value_kind:     by_value
      - .address_space:  global
        .offset:         32
        .size:           8
        .value_kind:     global_buffer
      - .address_space:  global
        .offset:         40
        .size:           8
        .value_kind:     global_buffer
      - .offset:         48
        .size:           4
        .value_kind:     by_value
      - .offset:         52
        .size:           4
        .value_kind:     by_value
      - .offset:         56
        .size:           4
        .value_kind:     by_value
      - .offset:         60
        .size:           4
        .value_kind:     by_value
      - .offset:         64
        .size:           4
        .value_kind:     by_value
      - .offset:         68
        .size:           4
        .value_kind:     by_value
    .group_segment_fixed_size: 0
    .kernarg_segment_align: 8
    .kernarg_segment_size: 72
    .language:       OpenCL C
    .language_version:
      - 2
      - 0
    .max_flat_workgroup_size: 512
    .name:           _ZN4vllm3moe17topkGatingSoftmaxIfLi2ELi2ELi8ELi8ELb1ELi0ELNS0_23SharedExpertScoringFuncE0EEEvPKT_PKbPfiPiS9_iiiiii
    .private_segment_fixed_size: 0
    .sgpr_count:     29
    .sgpr_spill_count: 0
    .symbol:         _ZN4vllm3moe17topkGatingSoftmaxIfLi2ELi2ELi8ELi8ELb1ELi0ELNS0_23SharedExpertScoringFuncE0EEEvPKT_PKbPfiPiS9_iiiiii.kd
    .uniform_work_group_size: 1
    .uses_dynamic_stack: false
    .vgpr_count:     24
    .vgpr_spill_count: 0
    .wavefront_size: 64
  - .agpr_count:     0
    .args:
      - .address_space:  global
        .offset:         0
        .size:           8
        .value_kind:     global_buffer
      - .address_space:  global
        .offset:         8
        .size:           8
        .value_kind:     global_buffer
      - .address_space:  global
        .offset:         16
        .size:           8
        .value_kind:     global_buffer
      - .offset:         24
        .size:           4
        .value_kind:     by_value
      - .address_space:  global
        .offset:         32
        .size:           8
        .value_kind:     global_buffer
      - .address_space:  global
        .offset:         40
        .size:           8
        .value_kind:     global_buffer
      - .offset:         48
        .size:           4
        .value_kind:     by_value
      - .offset:         52
        .size:           4
        .value_kind:     by_value
      - .offset:         56
        .size:           4
        .value_kind:     by_value
      - .offset:         60
        .size:           4
        .value_kind:     by_value
      - .offset:         64
        .size:           4
        .value_kind:     by_value
      - .offset:         68
        .size:           4
        .value_kind:     by_value
    .group_segment_fixed_size: 0
    .kernarg_segment_align: 8
    .kernarg_segment_size: 72
    .language:       OpenCL C
    .language_version:
      - 2
      - 0
    .max_flat_workgroup_size: 512
    .name:           _ZN4vllm3moe17topkGatingSoftmaxIfLi2ELi2ELi8ELi8ELb0ELi0ELNS0_23SharedExpertScoringFuncE0EEEvPKT_PKbPfiPiS9_iiiiii
    .private_segment_fixed_size: 0
    .sgpr_count:     30
    .sgpr_spill_count: 0
    .symbol:         _ZN4vllm3moe17topkGatingSoftmaxIfLi2ELi2ELi8ELi8ELb0ELi0ELNS0_23SharedExpertScoringFuncE0EEEvPKT_PKbPfiPiS9_iiiiii.kd
    .uniform_work_group_size: 1
    .uses_dynamic_stack: false
    .vgpr_count:     19
    .vgpr_spill_count: 0
    .wavefront_size: 64
  - .agpr_count:     0
    .args:
      - .address_space:  global
        .offset:         0
        .size:           8
        .value_kind:     global_buffer
      - .address_space:  global
        .offset:         8
        .size:           8
        .value_kind:     global_buffer
      - .address_space:  global
        .offset:         16
        .size:           8
        .value_kind:     global_buffer
      - .offset:         24
        .size:           4
        .value_kind:     by_value
      - .address_space:  global
        .offset:         32
        .size:           8
        .value_kind:     global_buffer
      - .address_space:  global
        .offset:         40
        .size:           8
        .value_kind:     global_buffer
      - .offset:         48
        .size:           4
        .value_kind:     by_value
      - .offset:         52
        .size:           4
        .value_kind:     by_value
      - .offset:         56
        .size:           4
        .value_kind:     by_value
      - .offset:         60
        .size:           4
        .value_kind:     by_value
      - .offset:         64
        .size:           4
        .value_kind:     by_value
      - .offset:         68
        .size:           4
        .value_kind:     by_value
    .group_segment_fixed_size: 0
    .kernarg_segment_align: 8
    .kernarg_segment_size: 72
    .language:       OpenCL C
    .language_version:
      - 2
      - 0
    .max_flat_workgroup_size: 512
    .name:           _ZN4vllm3moe17topkGatingSoftmaxIfLi2ELi2ELi8ELi8ELb1ELi1ELNS0_23SharedExpertScoringFuncE1EEEvPKT_PKbPfiPiS9_iiiiii
    .private_segment_fixed_size: 0
    .sgpr_count:     28
    .sgpr_spill_count: 0
    .symbol:         _ZN4vllm3moe17topkGatingSoftmaxIfLi2ELi2ELi8ELi8ELb1ELi1ELNS0_23SharedExpertScoringFuncE1EEEvPKT_PKbPfiPiS9_iiiiii.kd
    .uniform_work_group_size: 1
    .uses_dynamic_stack: false
    .vgpr_count:     20
    .vgpr_spill_count: 0
    .wavefront_size: 64
  - .agpr_count:     0
    .args:
      - .address_space:  global
        .offset:         0
        .size:           8
        .value_kind:     global_buffer
      - .address_space:  global
        .offset:         8
        .size:           8
        .value_kind:     global_buffer
      - .address_space:  global
        .offset:         16
        .size:           8
        .value_kind:     global_buffer
      - .offset:         24
        .size:           4
        .value_kind:     by_value
      - .address_space:  global
        .offset:         32
        .size:           8
        .value_kind:     global_buffer
      - .address_space:  global
        .offset:         40
        .size:           8
        .value_kind:     global_buffer
      - .offset:         48
        .size:           4
        .value_kind:     by_value
      - .offset:         52
        .size:           4
        .value_kind:     by_value
      - .offset:         56
        .size:           4
        .value_kind:     by_value
      - .offset:         60
        .size:           4
        .value_kind:     by_value
      - .offset:         64
        .size:           4
        .value_kind:     by_value
      - .offset:         68
        .size:           4
        .value_kind:     by_value
    .group_segment_fixed_size: 0
    .kernarg_segment_align: 8
    .kernarg_segment_size: 72
    .language:       OpenCL C
    .language_version:
      - 2
      - 0
    .max_flat_workgroup_size: 512
    .name:           _ZN4vllm3moe17topkGatingSoftmaxIfLi2ELi2ELi8ELi8ELb0ELi1ELNS0_23SharedExpertScoringFuncE1EEEvPKT_PKbPfiPiS9_iiiiii
    .private_segment_fixed_size: 0
    .sgpr_count:     28
    .sgpr_spill_count: 0
    .symbol:         _ZN4vllm3moe17topkGatingSoftmaxIfLi2ELi2ELi8ELi8ELb0ELi1ELNS0_23SharedExpertScoringFuncE1EEEvPKT_PKbPfiPiS9_iiiiii.kd
    .uniform_work_group_size: 1
    .uses_dynamic_stack: false
    .vgpr_count:     21
    .vgpr_spill_count: 0
    .wavefront_size: 64
  - .agpr_count:     0
    .args:
      - .address_space:  global
        .offset:         0
        .size:           8
        .value_kind:     global_buffer
      - .address_space:  global
        .offset:         8
        .size:           8
        .value_kind:     global_buffer
      - .address_space:  global
        .offset:         16
        .size:           8
        .value_kind:     global_buffer
      - .offset:         24
        .size:           4
        .value_kind:     by_value
      - .address_space:  global
        .offset:         32
        .size:           8
        .value_kind:     global_buffer
      - .address_space:  global
        .offset:         40
        .size:           8
        .value_kind:     global_buffer
      - .offset:         48
        .size:           4
        .value_kind:     by_value
      - .offset:         52
        .size:           4
        .value_kind:     by_value
      - .offset:         56
        .size:           4
        .value_kind:     by_value
      - .offset:         60
        .size:           4
        .value_kind:     by_value
      - .offset:         64
        .size:           4
        .value_kind:     by_value
      - .offset:         68
        .size:           4
        .value_kind:     by_value
    .group_segment_fixed_size: 0
    .kernarg_segment_align: 8
    .kernarg_segment_size: 72
    .language:       OpenCL C
    .language_version:
      - 2
      - 0
    .max_flat_workgroup_size: 512
    .name:           _ZN4vllm3moe17topkGatingSoftmaxIfLi2ELi2ELi8ELi8ELb1ELi2ELNS0_23SharedExpertScoringFuncE1EEEvPKT_PKbPfiPiS9_iiiiii
    .private_segment_fixed_size: 0
    .sgpr_count:     28
    .sgpr_spill_count: 0
    .symbol:         _ZN4vllm3moe17topkGatingSoftmaxIfLi2ELi2ELi8ELi8ELb1ELi2ELNS0_23SharedExpertScoringFuncE1EEEvPKT_PKbPfiPiS9_iiiiii.kd
    .uniform_work_group_size: 1
    .uses_dynamic_stack: false
    .vgpr_count:     20
    .vgpr_spill_count: 0
    .wavefront_size: 64
  - .agpr_count:     0
    .args:
      - .address_space:  global
        .offset:         0
        .size:           8
        .value_kind:     global_buffer
      - .address_space:  global
        .offset:         8
        .size:           8
        .value_kind:     global_buffer
      - .address_space:  global
        .offset:         16
        .size:           8
        .value_kind:     global_buffer
      - .offset:         24
        .size:           4
        .value_kind:     by_value
      - .address_space:  global
        .offset:         32
        .size:           8
        .value_kind:     global_buffer
      - .address_space:  global
        .offset:         40
        .size:           8
        .value_kind:     global_buffer
      - .offset:         48
        .size:           4
        .value_kind:     by_value
      - .offset:         52
        .size:           4
        .value_kind:     by_value
      - .offset:         56
        .size:           4
        .value_kind:     by_value
      - .offset:         60
        .size:           4
        .value_kind:     by_value
      - .offset:         64
        .size:           4
        .value_kind:     by_value
      - .offset:         68
        .size:           4
        .value_kind:     by_value
    .group_segment_fixed_size: 0
    .kernarg_segment_align: 8
    .kernarg_segment_size: 72
    .language:       OpenCL C
    .language_version:
      - 2
      - 0
    .max_flat_workgroup_size: 512
    .name:           _ZN4vllm3moe17topkGatingSoftmaxIfLi2ELi2ELi8ELi8ELb0ELi2ELNS0_23SharedExpertScoringFuncE1EEEvPKT_PKbPfiPiS9_iiiiii
    .private_segment_fixed_size: 0
    .sgpr_count:     28
    .sgpr_spill_count: 0
    .symbol:         _ZN4vllm3moe17topkGatingSoftmaxIfLi2ELi2ELi8ELi8ELb0ELi2ELNS0_23SharedExpertScoringFuncE1EEEvPKT_PKbPfiPiS9_iiiiii.kd
    .uniform_work_group_size: 1
    .uses_dynamic_stack: false
    .vgpr_count:     21
    .vgpr_spill_count: 0
    .wavefront_size: 64
  - .agpr_count:     0
    .args:
      - .address_space:  global
        .offset:         0
        .size:           8
        .value_kind:     global_buffer
      - .address_space:  global
        .offset:         8
        .size:           8
        .value_kind:     global_buffer
      - .address_space:  global
        .offset:         16
        .size:           8
        .value_kind:     global_buffer
      - .offset:         24
        .size:           4
        .value_kind:     by_value
      - .address_space:  global
        .offset:         32
        .size:           8
        .value_kind:     global_buffer
      - .address_space:  global
        .offset:         40
        .size:           8
        .value_kind:     global_buffer
      - .offset:         48
        .size:           4
        .value_kind:     by_value
      - .offset:         52
        .size:           4
        .value_kind:     by_value
      - .offset:         56
        .size:           4
        .value_kind:     by_value
      - .offset:         60
        .size:           4
        .value_kind:     by_value
      - .offset:         64
        .size:           4
        .value_kind:     by_value
      - .offset:         68
        .size:           4
        .value_kind:     by_value
    .group_segment_fixed_size: 0
    .kernarg_segment_align: 8
    .kernarg_segment_size: 72
    .language:       OpenCL C
    .language_version:
      - 2
      - 0
    .max_flat_workgroup_size: 512
    .name:           _ZN4vllm3moe17topkGatingSoftmaxIfLi2ELi2ELi8ELi8ELb1ELi4ELNS0_23SharedExpertScoringFuncE1EEEvPKT_PKbPfiPiS9_iiiiii
    .private_segment_fixed_size: 0
    .sgpr_count:     28
    .sgpr_spill_count: 0
    .symbol:         _ZN4vllm3moe17topkGatingSoftmaxIfLi2ELi2ELi8ELi8ELb1ELi4ELNS0_23SharedExpertScoringFuncE1EEEvPKT_PKbPfiPiS9_iiiiii.kd
    .uniform_work_group_size: 1
    .uses_dynamic_stack: false
    .vgpr_count:     20
    .vgpr_spill_count: 0
    .wavefront_size: 64
  - .agpr_count:     0
    .args:
      - .address_space:  global
        .offset:         0
        .size:           8
        .value_kind:     global_buffer
      - .address_space:  global
        .offset:         8
        .size:           8
        .value_kind:     global_buffer
      - .address_space:  global
        .offset:         16
        .size:           8
        .value_kind:     global_buffer
      - .offset:         24
        .size:           4
        .value_kind:     by_value
      - .address_space:  global
        .offset:         32
        .size:           8
        .value_kind:     global_buffer
      - .address_space:  global
        .offset:         40
        .size:           8
        .value_kind:     global_buffer
      - .offset:         48
        .size:           4
        .value_kind:     by_value
      - .offset:         52
        .size:           4
        .value_kind:     by_value
      - .offset:         56
        .size:           4
        .value_kind:     by_value
      - .offset:         60
        .size:           4
        .value_kind:     by_value
      - .offset:         64
        .size:           4
        .value_kind:     by_value
      - .offset:         68
        .size:           4
        .value_kind:     by_value
    .group_segment_fixed_size: 0
    .kernarg_segment_align: 8
    .kernarg_segment_size: 72
    .language:       OpenCL C
    .language_version:
      - 2
      - 0
    .max_flat_workgroup_size: 512
    .name:           _ZN4vllm3moe17topkGatingSoftmaxIfLi2ELi2ELi8ELi8ELb0ELi4ELNS0_23SharedExpertScoringFuncE1EEEvPKT_PKbPfiPiS9_iiiiii
    .private_segment_fixed_size: 0
    .sgpr_count:     28
    .sgpr_spill_count: 0
    .symbol:         _ZN4vllm3moe17topkGatingSoftmaxIfLi2ELi2ELi8ELi8ELb0ELi4ELNS0_23SharedExpertScoringFuncE1EEEvPKT_PKbPfiPiS9_iiiiii.kd
    .uniform_work_group_size: 1
    .uses_dynamic_stack: false
    .vgpr_count:     21
    .vgpr_spill_count: 0
    .wavefront_size: 64
  - .agpr_count:     0
    .args:
      - .address_space:  global
        .offset:         0
        .size:           8
        .value_kind:     global_buffer
      - .address_space:  global
        .offset:         8
        .size:           8
        .value_kind:     global_buffer
      - .address_space:  global
        .offset:         16
        .size:           8
        .value_kind:     global_buffer
      - .offset:         24
        .size:           4
        .value_kind:     by_value
      - .address_space:  global
        .offset:         32
        .size:           8
        .value_kind:     global_buffer
      - .address_space:  global
        .offset:         40
        .size:           8
        .value_kind:     global_buffer
      - .offset:         48
        .size:           4
        .value_kind:     by_value
      - .offset:         52
        .size:           4
        .value_kind:     by_value
      - .offset:         56
        .size:           4
        .value_kind:     by_value
      - .offset:         60
        .size:           4
        .value_kind:     by_value
      - .offset:         64
        .size:           4
        .value_kind:     by_value
      - .offset:         68
        .size:           4
        .value_kind:     by_value
    .group_segment_fixed_size: 0
    .kernarg_segment_align: 8
    .kernarg_segment_size: 72
    .language:       OpenCL C
    .language_version:
      - 2
      - 0
    .max_flat_workgroup_size: 512
    .name:           _ZN4vllm3moe17topkGatingSoftmaxIfLi2ELi2ELi8ELi8ELb1ELi8ELNS0_23SharedExpertScoringFuncE1EEEvPKT_PKbPfiPiS9_iiiiii
    .private_segment_fixed_size: 0
    .sgpr_count:     28
    .sgpr_spill_count: 0
    .symbol:         _ZN4vllm3moe17topkGatingSoftmaxIfLi2ELi2ELi8ELi8ELb1ELi8ELNS0_23SharedExpertScoringFuncE1EEEvPKT_PKbPfiPiS9_iiiiii.kd
    .uniform_work_group_size: 1
    .uses_dynamic_stack: false
    .vgpr_count:     20
    .vgpr_spill_count: 0
    .wavefront_size: 64
  - .agpr_count:     0
    .args:
      - .address_space:  global
        .offset:         0
        .size:           8
        .value_kind:     global_buffer
      - .address_space:  global
        .offset:         8
        .size:           8
        .value_kind:     global_buffer
      - .address_space:  global
        .offset:         16
        .size:           8
        .value_kind:     global_buffer
      - .offset:         24
        .size:           4
        .value_kind:     by_value
      - .address_space:  global
        .offset:         32
        .size:           8
        .value_kind:     global_buffer
      - .address_space:  global
        .offset:         40
        .size:           8
        .value_kind:     global_buffer
      - .offset:         48
        .size:           4
        .value_kind:     by_value
      - .offset:         52
        .size:           4
        .value_kind:     by_value
      - .offset:         56
        .size:           4
        .value_kind:     by_value
      - .offset:         60
        .size:           4
        .value_kind:     by_value
      - .offset:         64
        .size:           4
        .value_kind:     by_value
      - .offset:         68
        .size:           4
        .value_kind:     by_value
    .group_segment_fixed_size: 0
    .kernarg_segment_align: 8
    .kernarg_segment_size: 72
    .language:       OpenCL C
    .language_version:
      - 2
      - 0
    .max_flat_workgroup_size: 512
    .name:           _ZN4vllm3moe17topkGatingSoftmaxIfLi2ELi2ELi8ELi8ELb0ELi8ELNS0_23SharedExpertScoringFuncE1EEEvPKT_PKbPfiPiS9_iiiiii
    .private_segment_fixed_size: 0
    .sgpr_count:     28
    .sgpr_spill_count: 0
    .symbol:         _ZN4vllm3moe17topkGatingSoftmaxIfLi2ELi2ELi8ELi8ELb0ELi8ELNS0_23SharedExpertScoringFuncE1EEEvPKT_PKbPfiPiS9_iiiiii.kd
    .uniform_work_group_size: 1
    .uses_dynamic_stack: false
    .vgpr_count:     22
    .vgpr_spill_count: 0
    .wavefront_size: 64
  - .agpr_count:     0
    .args:
      - .address_space:  global
        .offset:         0
        .size:           8
        .value_kind:     global_buffer
      - .address_space:  global
        .offset:         8
        .size:           8
        .value_kind:     global_buffer
      - .address_space:  global
        .offset:         16
        .size:           8
        .value_kind:     global_buffer
      - .offset:         24
        .size:           4
        .value_kind:     by_value
      - .address_space:  global
        .offset:         32
        .size:           8
        .value_kind:     global_buffer
      - .address_space:  global
        .offset:         40
        .size:           8
        .value_kind:     global_buffer
      - .offset:         48
        .size:           4
        .value_kind:     by_value
      - .offset:         52
        .size:           4
        .value_kind:     by_value
      - .offset:         56
        .size:           4
        .value_kind:     by_value
      - .offset:         60
        .size:           4
        .value_kind:     by_value
      - .offset:         64
        .size:           4
        .value_kind:     by_value
      - .offset:         68
        .size:           4
        .value_kind:     by_value
    .group_segment_fixed_size: 0
    .kernarg_segment_align: 8
    .kernarg_segment_size: 72
    .language:       OpenCL C
    .language_version:
      - 2
      - 0
    .max_flat_workgroup_size: 512
    .name:           _ZN4vllm3moe17topkGatingSoftmaxIfLi4ELi4ELi8ELi16ELb1ELi0ELNS0_23SharedExpertScoringFuncE0EEEvPKT_PKbPfiPiS9_iiiiii
    .private_segment_fixed_size: 0
    .sgpr_count:     27
    .sgpr_spill_count: 0
    .symbol:         _ZN4vllm3moe17topkGatingSoftmaxIfLi4ELi4ELi8ELi16ELb1ELi0ELNS0_23SharedExpertScoringFuncE0EEEvPKT_PKbPfiPiS9_iiiiii.kd
    .uniform_work_group_size: 1
    .uses_dynamic_stack: false
    .vgpr_count:     26
    .vgpr_spill_count: 0
    .wavefront_size: 64
  - .agpr_count:     0
    .args:
      - .address_space:  global
        .offset:         0
        .size:           8
        .value_kind:     global_buffer
      - .address_space:  global
        .offset:         8
        .size:           8
        .value_kind:     global_buffer
      - .address_space:  global
        .offset:         16
        .size:           8
        .value_kind:     global_buffer
      - .offset:         24
        .size:           4
        .value_kind:     by_value
      - .address_space:  global
        .offset:         32
        .size:           8
        .value_kind:     global_buffer
      - .address_space:  global
        .offset:         40
        .size:           8
        .value_kind:     global_buffer
      - .offset:         48
        .size:           4
        .value_kind:     by_value
      - .offset:         52
        .size:           4
        .value_kind:     by_value
      - .offset:         56
        .size:           4
        .value_kind:     by_value
      - .offset:         60
        .size:           4
        .value_kind:     by_value
      - .offset:         64
        .size:           4
        .value_kind:     by_value
      - .offset:         68
        .size:           4
        .value_kind:     by_value
    .group_segment_fixed_size: 0
    .kernarg_segment_align: 8
    .kernarg_segment_size: 72
    .language:       OpenCL C
    .language_version:
      - 2
      - 0
    .max_flat_workgroup_size: 512
    .name:           _ZN4vllm3moe17topkGatingSoftmaxIfLi4ELi4ELi8ELi16ELb0ELi0ELNS0_23SharedExpertScoringFuncE0EEEvPKT_PKbPfiPiS9_iiiiii
    .private_segment_fixed_size: 0
    .sgpr_count:     27
    .sgpr_spill_count: 0
    .symbol:         _ZN4vllm3moe17topkGatingSoftmaxIfLi4ELi4ELi8ELi16ELb0ELi0ELNS0_23SharedExpertScoringFuncE0EEEvPKT_PKbPfiPiS9_iiiiii.kd
    .uniform_work_group_size: 1
    .uses_dynamic_stack: false
    .vgpr_count:     21
    .vgpr_spill_count: 0
    .wavefront_size: 64
  - .agpr_count:     0
    .args:
      - .address_space:  global
        .offset:         0
        .size:           8
        .value_kind:     global_buffer
      - .address_space:  global
        .offset:         8
        .size:           8
        .value_kind:     global_buffer
      - .address_space:  global
        .offset:         16
        .size:           8
        .value_kind:     global_buffer
      - .offset:         24
        .size:           4
        .value_kind:     by_value
      - .address_space:  global
        .offset:         32
        .size:           8
        .value_kind:     global_buffer
      - .address_space:  global
        .offset:         40
        .size:           8
        .value_kind:     global_buffer
      - .offset:         48
        .size:           4
        .value_kind:     by_value
      - .offset:         52
        .size:           4
        .value_kind:     by_value
      - .offset:         56
        .size:           4
        .value_kind:     by_value
      - .offset:         60
        .size:           4
        .value_kind:     by_value
      - .offset:         64
        .size:           4
        .value_kind:     by_value
      - .offset:         68
        .size:           4
        .value_kind:     by_value
    .group_segment_fixed_size: 0
    .kernarg_segment_align: 8
    .kernarg_segment_size: 72
    .language:       OpenCL C
    .language_version:
      - 2
      - 0
    .max_flat_workgroup_size: 512
    .name:           _ZN4vllm3moe17topkGatingSoftmaxIfLi4ELi4ELi8ELi16ELb1ELi1ELNS0_23SharedExpertScoringFuncE1EEEvPKT_PKbPfiPiS9_iiiiii
    .private_segment_fixed_size: 0
    .sgpr_count:     26
    .sgpr_spill_count: 0
    .symbol:         _ZN4vllm3moe17topkGatingSoftmaxIfLi4ELi4ELi8ELi16ELb1ELi1ELNS0_23SharedExpertScoringFuncE1EEEvPKT_PKbPfiPiS9_iiiiii.kd
    .uniform_work_group_size: 1
    .uses_dynamic_stack: false
    .vgpr_count:     22
    .vgpr_spill_count: 0
    .wavefront_size: 64
  - .agpr_count:     0
    .args:
      - .address_space:  global
        .offset:         0
        .size:           8
        .value_kind:     global_buffer
      - .address_space:  global
        .offset:         8
        .size:           8
        .value_kind:     global_buffer
      - .address_space:  global
        .offset:         16
        .size:           8
        .value_kind:     global_buffer
      - .offset:         24
        .size:           4
        .value_kind:     by_value
      - .address_space:  global
        .offset:         32
        .size:           8
        .value_kind:     global_buffer
      - .address_space:  global
        .offset:         40
        .size:           8
        .value_kind:     global_buffer
      - .offset:         48
        .size:           4
        .value_kind:     by_value
      - .offset:         52
        .size:           4
        .value_kind:     by_value
      - .offset:         56
        .size:           4
        .value_kind:     by_value
      - .offset:         60
        .size:           4
        .value_kind:     by_value
      - .offset:         64
        .size:           4
        .value_kind:     by_value
      - .offset:         68
        .size:           4
        .value_kind:     by_value
    .group_segment_fixed_size: 0
    .kernarg_segment_align: 8
    .kernarg_segment_size: 72
    .language:       OpenCL C
    .language_version:
      - 2
      - 0
    .max_flat_workgroup_size: 512
    .name:           _ZN4vllm3moe17topkGatingSoftmaxIfLi4ELi4ELi8ELi16ELb0ELi1ELNS0_23SharedExpertScoringFuncE1EEEvPKT_PKbPfiPiS9_iiiiii
    .private_segment_fixed_size: 0
    .sgpr_count:     26
    .sgpr_spill_count: 0
    .symbol:         _ZN4vllm3moe17topkGatingSoftmaxIfLi4ELi4ELi8ELi16ELb0ELi1ELNS0_23SharedExpertScoringFuncE1EEEvPKT_PKbPfiPiS9_iiiiii.kd
    .uniform_work_group_size: 1
    .uses_dynamic_stack: false
    .vgpr_count:     23
    .vgpr_spill_count: 0
    .wavefront_size: 64
  - .agpr_count:     0
    .args:
      - .address_space:  global
        .offset:         0
        .size:           8
        .value_kind:     global_buffer
      - .address_space:  global
        .offset:         8
        .size:           8
        .value_kind:     global_buffer
      - .address_space:  global
        .offset:         16
        .size:           8
        .value_kind:     global_buffer
      - .offset:         24
        .size:           4
        .value_kind:     by_value
      - .address_space:  global
        .offset:         32
        .size:           8
        .value_kind:     global_buffer
      - .address_space:  global
        .offset:         40
        .size:           8
        .value_kind:     global_buffer
      - .offset:         48
        .size:           4
        .value_kind:     by_value
      - .offset:         52
        .size:           4
        .value_kind:     by_value
      - .offset:         56
        .size:           4
        .value_kind:     by_value
      - .offset:         60
        .size:           4
        .value_kind:     by_value
      - .offset:         64
        .size:           4
        .value_kind:     by_value
      - .offset:         68
        .size:           4
        .value_kind:     by_value
    .group_segment_fixed_size: 0
    .kernarg_segment_align: 8
    .kernarg_segment_size: 72
    .language:       OpenCL C
    .language_version:
      - 2
      - 0
    .max_flat_workgroup_size: 512
    .name:           _ZN4vllm3moe17topkGatingSoftmaxIfLi4ELi4ELi8ELi16ELb1ELi2ELNS0_23SharedExpertScoringFuncE1EEEvPKT_PKbPfiPiS9_iiiiii
    .private_segment_fixed_size: 0
    .sgpr_count:     26
    .sgpr_spill_count: 0
    .symbol:         _ZN4vllm3moe17topkGatingSoftmaxIfLi4ELi4ELi8ELi16ELb1ELi2ELNS0_23SharedExpertScoringFuncE1EEEvPKT_PKbPfiPiS9_iiiiii.kd
    .uniform_work_group_size: 1
    .uses_dynamic_stack: false
    .vgpr_count:     22
    .vgpr_spill_count: 0
    .wavefront_size: 64
  - .agpr_count:     0
    .args:
      - .address_space:  global
        .offset:         0
        .size:           8
        .value_kind:     global_buffer
      - .address_space:  global
        .offset:         8
        .size:           8
        .value_kind:     global_buffer
      - .address_space:  global
        .offset:         16
        .size:           8
        .value_kind:     global_buffer
      - .offset:         24
        .size:           4
        .value_kind:     by_value
      - .address_space:  global
        .offset:         32
        .size:           8
        .value_kind:     global_buffer
      - .address_space:  global
        .offset:         40
        .size:           8
        .value_kind:     global_buffer
      - .offset:         48
        .size:           4
        .value_kind:     by_value
      - .offset:         52
        .size:           4
        .value_kind:     by_value
      - .offset:         56
        .size:           4
        .value_kind:     by_value
      - .offset:         60
        .size:           4
        .value_kind:     by_value
      - .offset:         64
        .size:           4
        .value_kind:     by_value
      - .offset:         68
        .size:           4
        .value_kind:     by_value
    .group_segment_fixed_size: 0
    .kernarg_segment_align: 8
    .kernarg_segment_size: 72
    .language:       OpenCL C
    .language_version:
      - 2
      - 0
    .max_flat_workgroup_size: 512
    .name:           _ZN4vllm3moe17topkGatingSoftmaxIfLi4ELi4ELi8ELi16ELb0ELi2ELNS0_23SharedExpertScoringFuncE1EEEvPKT_PKbPfiPiS9_iiiiii
    .private_segment_fixed_size: 0
    .sgpr_count:     26
    .sgpr_spill_count: 0
    .symbol:         _ZN4vllm3moe17topkGatingSoftmaxIfLi4ELi4ELi8ELi16ELb0ELi2ELNS0_23SharedExpertScoringFuncE1EEEvPKT_PKbPfiPiS9_iiiiii.kd
    .uniform_work_group_size: 1
    .uses_dynamic_stack: false
    .vgpr_count:     23
    .vgpr_spill_count: 0
    .wavefront_size: 64
  - .agpr_count:     0
    .args:
      - .address_space:  global
        .offset:         0
        .size:           8
        .value_kind:     global_buffer
      - .address_space:  global
        .offset:         8
        .size:           8
        .value_kind:     global_buffer
      - .address_space:  global
        .offset:         16
        .size:           8
        .value_kind:     global_buffer
      - .offset:         24
        .size:           4
        .value_kind:     by_value
      - .address_space:  global
        .offset:         32
        .size:           8
        .value_kind:     global_buffer
      - .address_space:  global
        .offset:         40
        .size:           8
        .value_kind:     global_buffer
      - .offset:         48
        .size:           4
        .value_kind:     by_value
      - .offset:         52
        .size:           4
        .value_kind:     by_value
      - .offset:         56
        .size:           4
        .value_kind:     by_value
      - .offset:         60
        .size:           4
        .value_kind:     by_value
      - .offset:         64
        .size:           4
        .value_kind:     by_value
      - .offset:         68
        .size:           4
        .value_kind:     by_value
    .group_segment_fixed_size: 0
    .kernarg_segment_align: 8
    .kernarg_segment_size: 72
    .language:       OpenCL C
    .language_version:
      - 2
      - 0
    .max_flat_workgroup_size: 512
    .name:           _ZN4vllm3moe17topkGatingSoftmaxIfLi4ELi4ELi8ELi16ELb1ELi4ELNS0_23SharedExpertScoringFuncE1EEEvPKT_PKbPfiPiS9_iiiiii
    .private_segment_fixed_size: 0
    .sgpr_count:     26
    .sgpr_spill_count: 0
    .symbol:         _ZN4vllm3moe17topkGatingSoftmaxIfLi4ELi4ELi8ELi16ELb1ELi4ELNS0_23SharedExpertScoringFuncE1EEEvPKT_PKbPfiPiS9_iiiiii.kd
    .uniform_work_group_size: 1
    .uses_dynamic_stack: false
    .vgpr_count:     22
    .vgpr_spill_count: 0
    .wavefront_size: 64
  - .agpr_count:     0
    .args:
      - .address_space:  global
        .offset:         0
        .size:           8
        .value_kind:     global_buffer
      - .address_space:  global
        .offset:         8
        .size:           8
        .value_kind:     global_buffer
      - .address_space:  global
        .offset:         16
        .size:           8
        .value_kind:     global_buffer
      - .offset:         24
        .size:           4
        .value_kind:     by_value
      - .address_space:  global
        .offset:         32
        .size:           8
        .value_kind:     global_buffer
      - .address_space:  global
        .offset:         40
        .size:           8
        .value_kind:     global_buffer
      - .offset:         48
        .size:           4
        .value_kind:     by_value
      - .offset:         52
        .size:           4
        .value_kind:     by_value
      - .offset:         56
        .size:           4
        .value_kind:     by_value
      - .offset:         60
        .size:           4
        .value_kind:     by_value
      - .offset:         64
        .size:           4
        .value_kind:     by_value
      - .offset:         68
        .size:           4
        .value_kind:     by_value
    .group_segment_fixed_size: 0
    .kernarg_segment_align: 8
    .kernarg_segment_size: 72
    .language:       OpenCL C
    .language_version:
      - 2
      - 0
    .max_flat_workgroup_size: 512
    .name:           _ZN4vllm3moe17topkGatingSoftmaxIfLi4ELi4ELi8ELi16ELb0ELi4ELNS0_23SharedExpertScoringFuncE1EEEvPKT_PKbPfiPiS9_iiiiii
    .private_segment_fixed_size: 0
    .sgpr_count:     26
    .sgpr_spill_count: 0
    .symbol:         _ZN4vllm3moe17topkGatingSoftmaxIfLi4ELi4ELi8ELi16ELb0ELi4ELNS0_23SharedExpertScoringFuncE1EEEvPKT_PKbPfiPiS9_iiiiii.kd
    .uniform_work_group_size: 1
    .uses_dynamic_stack: false
    .vgpr_count:     23
    .vgpr_spill_count: 0
    .wavefront_size: 64
  - .agpr_count:     0
    .args:
      - .address_space:  global
        .offset:         0
        .size:           8
        .value_kind:     global_buffer
      - .address_space:  global
        .offset:         8
        .size:           8
        .value_kind:     global_buffer
      - .address_space:  global
        .offset:         16
        .size:           8
        .value_kind:     global_buffer
      - .offset:         24
        .size:           4
        .value_kind:     by_value
      - .address_space:  global
        .offset:         32
        .size:           8
        .value_kind:     global_buffer
      - .address_space:  global
        .offset:         40
        .size:           8
        .value_kind:     global_buffer
      - .offset:         48
        .size:           4
        .value_kind:     by_value
      - .offset:         52
        .size:           4
        .value_kind:     by_value
      - .offset:         56
        .size:           4
        .value_kind:     by_value
      - .offset:         60
        .size:           4
        .value_kind:     by_value
      - .offset:         64
        .size:           4
        .value_kind:     by_value
      - .offset:         68
        .size:           4
        .value_kind:     by_value
    .group_segment_fixed_size: 0
    .kernarg_segment_align: 8
    .kernarg_segment_size: 72
    .language:       OpenCL C
    .language_version:
      - 2
      - 0
    .max_flat_workgroup_size: 512
    .name:           _ZN4vllm3moe17topkGatingSoftmaxIfLi4ELi4ELi8ELi16ELb1ELi8ELNS0_23SharedExpertScoringFuncE1EEEvPKT_PKbPfiPiS9_iiiiii
    .private_segment_fixed_size: 0
    .sgpr_count:     26
    .sgpr_spill_count: 0
    .symbol:         _ZN4vllm3moe17topkGatingSoftmaxIfLi4ELi4ELi8ELi16ELb1ELi8ELNS0_23SharedExpertScoringFuncE1EEEvPKT_PKbPfiPiS9_iiiiii.kd
    .uniform_work_group_size: 1
    .uses_dynamic_stack: false
    .vgpr_count:     22
    .vgpr_spill_count: 0
    .wavefront_size: 64
  - .agpr_count:     0
    .args:
      - .address_space:  global
        .offset:         0
        .size:           8
        .value_kind:     global_buffer
      - .address_space:  global
        .offset:         8
        .size:           8
        .value_kind:     global_buffer
      - .address_space:  global
        .offset:         16
        .size:           8
        .value_kind:     global_buffer
      - .offset:         24
        .size:           4
        .value_kind:     by_value
      - .address_space:  global
        .offset:         32
        .size:           8
        .value_kind:     global_buffer
      - .address_space:  global
        .offset:         40
        .size:           8
        .value_kind:     global_buffer
      - .offset:         48
        .size:           4
        .value_kind:     by_value
      - .offset:         52
        .size:           4
        .value_kind:     by_value
      - .offset:         56
        .size:           4
        .value_kind:     by_value
      - .offset:         60
        .size:           4
        .value_kind:     by_value
      - .offset:         64
        .size:           4
        .value_kind:     by_value
      - .offset:         68
        .size:           4
        .value_kind:     by_value
    .group_segment_fixed_size: 0
    .kernarg_segment_align: 8
    .kernarg_segment_size: 72
    .language:       OpenCL C
    .language_version:
      - 2
      - 0
    .max_flat_workgroup_size: 512
    .name:           _ZN4vllm3moe17topkGatingSoftmaxIfLi4ELi4ELi8ELi16ELb0ELi8ELNS0_23SharedExpertScoringFuncE1EEEvPKT_PKbPfiPiS9_iiiiii
    .private_segment_fixed_size: 0
    .sgpr_count:     26
    .sgpr_spill_count: 0
    .symbol:         _ZN4vllm3moe17topkGatingSoftmaxIfLi4ELi4ELi8ELi16ELb0ELi8ELNS0_23SharedExpertScoringFuncE1EEEvPKT_PKbPfiPiS9_iiiiii.kd
    .uniform_work_group_size: 1
    .uses_dynamic_stack: false
    .vgpr_count:     23
    .vgpr_spill_count: 0
    .wavefront_size: 64
  - .agpr_count:     0
    .args:
      - .address_space:  global
        .offset:         0
        .size:           8
        .value_kind:     global_buffer
      - .address_space:  global
        .offset:         8
        .size:           8
        .value_kind:     global_buffer
      - .address_space:  global
        .offset:         16
        .size:           8
        .value_kind:     global_buffer
      - .offset:         24
        .size:           4
        .value_kind:     by_value
      - .address_space:  global
        .offset:         32
        .size:           8
        .value_kind:     global_buffer
      - .address_space:  global
        .offset:         40
        .size:           8
        .value_kind:     global_buffer
      - .offset:         48
        .size:           4
        .value_kind:     by_value
      - .offset:         52
        .size:           4
        .value_kind:     by_value
      - .offset:         56
        .size:           4
        .value_kind:     by_value
      - .offset:         60
        .size:           4
        .value_kind:     by_value
      - .offset:         64
        .size:           4
        .value_kind:     by_value
      - .offset:         68
        .size:           4
        .value_kind:     by_value
    .group_segment_fixed_size: 0
    .kernarg_segment_align: 8
    .kernarg_segment_size: 72
    .language:       OpenCL C
    .language_version:
      - 2
      - 0
    .max_flat_workgroup_size: 512
    .name:           _ZN4vllm3moe17topkGatingSoftmaxIfLi8ELi8ELi8ELi32ELb1ELi0ELNS0_23SharedExpertScoringFuncE0EEEvPKT_PKbPfiPiS9_iiiiii
    .private_segment_fixed_size: 0
    .sgpr_count:     38
    .sgpr_spill_count: 0
    .symbol:         _ZN4vllm3moe17topkGatingSoftmaxIfLi8ELi8ELi8ELi32ELb1ELi0ELNS0_23SharedExpertScoringFuncE0EEEvPKT_PKbPfiPiS9_iiiiii.kd
    .uniform_work_group_size: 1
    .uses_dynamic_stack: false
    .vgpr_count:     30
    .vgpr_spill_count: 0
    .wavefront_size: 64
  - .agpr_count:     0
    .args:
      - .address_space:  global
        .offset:         0
        .size:           8
        .value_kind:     global_buffer
      - .address_space:  global
        .offset:         8
        .size:           8
        .value_kind:     global_buffer
      - .address_space:  global
        .offset:         16
        .size:           8
        .value_kind:     global_buffer
      - .offset:         24
        .size:           4
        .value_kind:     by_value
      - .address_space:  global
        .offset:         32
        .size:           8
        .value_kind:     global_buffer
      - .address_space:  global
        .offset:         40
        .size:           8
        .value_kind:     global_buffer
      - .offset:         48
        .size:           4
        .value_kind:     by_value
      - .offset:         52
        .size:           4
        .value_kind:     by_value
      - .offset:         56
        .size:           4
        .value_kind:     by_value
      - .offset:         60
        .size:           4
        .value_kind:     by_value
      - .offset:         64
        .size:           4
        .value_kind:     by_value
      - .offset:         68
        .size:           4
        .value_kind:     by_value
    .group_segment_fixed_size: 0
    .kernarg_segment_align: 8
    .kernarg_segment_size: 72
    .language:       OpenCL C
    .language_version:
      - 2
      - 0
    .max_flat_workgroup_size: 512
    .name:           _ZN4vllm3moe17topkGatingSoftmaxIfLi8ELi8ELi8ELi32ELb0ELi0ELNS0_23SharedExpertScoringFuncE0EEEvPKT_PKbPfiPiS9_iiiiii
    .private_segment_fixed_size: 0
    .sgpr_count:     36
    .sgpr_spill_count: 0
    .symbol:         _ZN4vllm3moe17topkGatingSoftmaxIfLi8ELi8ELi8ELi32ELb0ELi0ELNS0_23SharedExpertScoringFuncE0EEEvPKT_PKbPfiPiS9_iiiiii.kd
    .uniform_work_group_size: 1
    .uses_dynamic_stack: false
    .vgpr_count:     25
    .vgpr_spill_count: 0
    .wavefront_size: 64
  - .agpr_count:     0
    .args:
      - .address_space:  global
        .offset:         0
        .size:           8
        .value_kind:     global_buffer
      - .address_space:  global
        .offset:         8
        .size:           8
        .value_kind:     global_buffer
      - .address_space:  global
        .offset:         16
        .size:           8
        .value_kind:     global_buffer
      - .offset:         24
        .size:           4
        .value_kind:     by_value
      - .address_space:  global
        .offset:         32
        .size:           8
        .value_kind:     global_buffer
      - .address_space:  global
        .offset:         40
        .size:           8
        .value_kind:     global_buffer
      - .offset:         48
        .size:           4
        .value_kind:     by_value
      - .offset:         52
        .size:           4
        .value_kind:     by_value
      - .offset:         56
        .size:           4
        .value_kind:     by_value
      - .offset:         60
        .size:           4
        .value_kind:     by_value
      - .offset:         64
        .size:           4
        .value_kind:     by_value
      - .offset:         68
        .size:           4
        .value_kind:     by_value
    .group_segment_fixed_size: 0
    .kernarg_segment_align: 8
    .kernarg_segment_size: 72
    .language:       OpenCL C
    .language_version:
      - 2
      - 0
    .max_flat_workgroup_size: 512
    .name:           _ZN4vllm3moe17topkGatingSoftmaxIfLi8ELi8ELi8ELi32ELb1ELi1ELNS0_23SharedExpertScoringFuncE1EEEvPKT_PKbPfiPiS9_iiiiii
    .private_segment_fixed_size: 0
    .sgpr_count:     36
    .sgpr_spill_count: 0
    .symbol:         _ZN4vllm3moe17topkGatingSoftmaxIfLi8ELi8ELi8ELi32ELb1ELi1ELNS0_23SharedExpertScoringFuncE1EEEvPKT_PKbPfiPiS9_iiiiii.kd
    .uniform_work_group_size: 1
    .uses_dynamic_stack: false
    .vgpr_count:     26
    .vgpr_spill_count: 0
    .wavefront_size: 64
  - .agpr_count:     0
    .args:
      - .address_space:  global
        .offset:         0
        .size:           8
        .value_kind:     global_buffer
      - .address_space:  global
        .offset:         8
        .size:           8
        .value_kind:     global_buffer
      - .address_space:  global
        .offset:         16
        .size:           8
        .value_kind:     global_buffer
      - .offset:         24
        .size:           4
        .value_kind:     by_value
      - .address_space:  global
        .offset:         32
        .size:           8
        .value_kind:     global_buffer
      - .address_space:  global
        .offset:         40
        .size:           8
        .value_kind:     global_buffer
      - .offset:         48
        .size:           4
        .value_kind:     by_value
      - .offset:         52
        .size:           4
        .value_kind:     by_value
      - .offset:         56
        .size:           4
        .value_kind:     by_value
      - .offset:         60
        .size:           4
        .value_kind:     by_value
      - .offset:         64
        .size:           4
        .value_kind:     by_value
      - .offset:         68
        .size:           4
        .value_kind:     by_value
    .group_segment_fixed_size: 0
    .kernarg_segment_align: 8
    .kernarg_segment_size: 72
    .language:       OpenCL C
    .language_version:
      - 2
      - 0
    .max_flat_workgroup_size: 512
    .name:           _ZN4vllm3moe17topkGatingSoftmaxIfLi8ELi8ELi8ELi32ELb0ELi1ELNS0_23SharedExpertScoringFuncE1EEEvPKT_PKbPfiPiS9_iiiiii
    .private_segment_fixed_size: 0
    .sgpr_count:     36
    .sgpr_spill_count: 0
    .symbol:         _ZN4vllm3moe17topkGatingSoftmaxIfLi8ELi8ELi8ELi32ELb0ELi1ELNS0_23SharedExpertScoringFuncE1EEEvPKT_PKbPfiPiS9_iiiiii.kd
    .uniform_work_group_size: 1
    .uses_dynamic_stack: false
    .vgpr_count:     27
    .vgpr_spill_count: 0
    .wavefront_size: 64
  - .agpr_count:     0
    .args:
      - .address_space:  global
        .offset:         0
        .size:           8
        .value_kind:     global_buffer
      - .address_space:  global
        .offset:         8
        .size:           8
        .value_kind:     global_buffer
      - .address_space:  global
        .offset:         16
        .size:           8
        .value_kind:     global_buffer
      - .offset:         24
        .size:           4
        .value_kind:     by_value
      - .address_space:  global
        .offset:         32
        .size:           8
        .value_kind:     global_buffer
      - .address_space:  global
        .offset:         40
        .size:           8
        .value_kind:     global_buffer
      - .offset:         48
        .size:           4
        .value_kind:     by_value
      - .offset:         52
        .size:           4
        .value_kind:     by_value
      - .offset:         56
        .size:           4
        .value_kind:     by_value
      - .offset:         60
        .size:           4
        .value_kind:     by_value
      - .offset:         64
        .size:           4
        .value_kind:     by_value
      - .offset:         68
        .size:           4
        .value_kind:     by_value
    .group_segment_fixed_size: 0
    .kernarg_segment_align: 8
    .kernarg_segment_size: 72
    .language:       OpenCL C
    .language_version:
      - 2
      - 0
    .max_flat_workgroup_size: 512
    .name:           _ZN4vllm3moe17topkGatingSoftmaxIfLi8ELi8ELi8ELi32ELb1ELi2ELNS0_23SharedExpertScoringFuncE1EEEvPKT_PKbPfiPiS9_iiiiii
    .private_segment_fixed_size: 0
    .sgpr_count:     36
    .sgpr_spill_count: 0
    .symbol:         _ZN4vllm3moe17topkGatingSoftmaxIfLi8ELi8ELi8ELi32ELb1ELi2ELNS0_23SharedExpertScoringFuncE1EEEvPKT_PKbPfiPiS9_iiiiii.kd
    .uniform_work_group_size: 1
    .uses_dynamic_stack: false
    .vgpr_count:     26
    .vgpr_spill_count: 0
    .wavefront_size: 64
  - .agpr_count:     0
    .args:
      - .address_space:  global
        .offset:         0
        .size:           8
        .value_kind:     global_buffer
      - .address_space:  global
        .offset:         8
        .size:           8
        .value_kind:     global_buffer
      - .address_space:  global
        .offset:         16
        .size:           8
        .value_kind:     global_buffer
      - .offset:         24
        .size:           4
        .value_kind:     by_value
      - .address_space:  global
        .offset:         32
        .size:           8
        .value_kind:     global_buffer
      - .address_space:  global
        .offset:         40
        .size:           8
        .value_kind:     global_buffer
      - .offset:         48
        .size:           4
        .value_kind:     by_value
      - .offset:         52
        .size:           4
        .value_kind:     by_value
      - .offset:         56
        .size:           4
        .value_kind:     by_value
      - .offset:         60
        .size:           4
        .value_kind:     by_value
      - .offset:         64
        .size:           4
        .value_kind:     by_value
      - .offset:         68
        .size:           4
        .value_kind:     by_value
    .group_segment_fixed_size: 0
    .kernarg_segment_align: 8
    .kernarg_segment_size: 72
    .language:       OpenCL C
    .language_version:
      - 2
      - 0
    .max_flat_workgroup_size: 512
    .name:           _ZN4vllm3moe17topkGatingSoftmaxIfLi8ELi8ELi8ELi32ELb0ELi2ELNS0_23SharedExpertScoringFuncE1EEEvPKT_PKbPfiPiS9_iiiiii
    .private_segment_fixed_size: 0
    .sgpr_count:     36
    .sgpr_spill_count: 0
    .symbol:         _ZN4vllm3moe17topkGatingSoftmaxIfLi8ELi8ELi8ELi32ELb0ELi2ELNS0_23SharedExpertScoringFuncE1EEEvPKT_PKbPfiPiS9_iiiiii.kd
    .uniform_work_group_size: 1
    .uses_dynamic_stack: false
    .vgpr_count:     27
    .vgpr_spill_count: 0
    .wavefront_size: 64
  - .agpr_count:     0
    .args:
      - .address_space:  global
        .offset:         0
        .size:           8
        .value_kind:     global_buffer
      - .address_space:  global
        .offset:         8
        .size:           8
        .value_kind:     global_buffer
      - .address_space:  global
        .offset:         16
        .size:           8
        .value_kind:     global_buffer
      - .offset:         24
        .size:           4
        .value_kind:     by_value
      - .address_space:  global
        .offset:         32
        .size:           8
        .value_kind:     global_buffer
      - .address_space:  global
        .offset:         40
        .size:           8
        .value_kind:     global_buffer
      - .offset:         48
        .size:           4
        .value_kind:     by_value
      - .offset:         52
        .size:           4
        .value_kind:     by_value
      - .offset:         56
        .size:           4
        .value_kind:     by_value
      - .offset:         60
        .size:           4
        .value_kind:     by_value
      - .offset:         64
        .size:           4
        .value_kind:     by_value
      - .offset:         68
        .size:           4
        .value_kind:     by_value
    .group_segment_fixed_size: 0
    .kernarg_segment_align: 8
    .kernarg_segment_size: 72
    .language:       OpenCL C
    .language_version:
      - 2
      - 0
    .max_flat_workgroup_size: 512
    .name:           _ZN4vllm3moe17topkGatingSoftmaxIfLi8ELi8ELi8ELi32ELb1ELi4ELNS0_23SharedExpertScoringFuncE1EEEvPKT_PKbPfiPiS9_iiiiii
    .private_segment_fixed_size: 0
    .sgpr_count:     36
    .sgpr_spill_count: 0
    .symbol:         _ZN4vllm3moe17topkGatingSoftmaxIfLi8ELi8ELi8ELi32ELb1ELi4ELNS0_23SharedExpertScoringFuncE1EEEvPKT_PKbPfiPiS9_iiiiii.kd
    .uniform_work_group_size: 1
    .uses_dynamic_stack: false
    .vgpr_count:     26
    .vgpr_spill_count: 0
    .wavefront_size: 64
  - .agpr_count:     0
    .args:
      - .address_space:  global
        .offset:         0
        .size:           8
        .value_kind:     global_buffer
      - .address_space:  global
        .offset:         8
        .size:           8
        .value_kind:     global_buffer
      - .address_space:  global
        .offset:         16
        .size:           8
        .value_kind:     global_buffer
      - .offset:         24
        .size:           4
        .value_kind:     by_value
      - .address_space:  global
        .offset:         32
        .size:           8
        .value_kind:     global_buffer
      - .address_space:  global
        .offset:         40
        .size:           8
        .value_kind:     global_buffer
      - .offset:         48
        .size:           4
        .value_kind:     by_value
      - .offset:         52
        .size:           4
        .value_kind:     by_value
      - .offset:         56
        .size:           4
        .value_kind:     by_value
      - .offset:         60
        .size:           4
        .value_kind:     by_value
      - .offset:         64
        .size:           4
        .value_kind:     by_value
      - .offset:         68
        .size:           4
        .value_kind:     by_value
    .group_segment_fixed_size: 0
    .kernarg_segment_align: 8
    .kernarg_segment_size: 72
    .language:       OpenCL C
    .language_version:
      - 2
      - 0
    .max_flat_workgroup_size: 512
    .name:           _ZN4vllm3moe17topkGatingSoftmaxIfLi8ELi8ELi8ELi32ELb0ELi4ELNS0_23SharedExpertScoringFuncE1EEEvPKT_PKbPfiPiS9_iiiiii
    .private_segment_fixed_size: 0
    .sgpr_count:     36
    .sgpr_spill_count: 0
    .symbol:         _ZN4vllm3moe17topkGatingSoftmaxIfLi8ELi8ELi8ELi32ELb0ELi4ELNS0_23SharedExpertScoringFuncE1EEEvPKT_PKbPfiPiS9_iiiiii.kd
    .uniform_work_group_size: 1
    .uses_dynamic_stack: false
    .vgpr_count:     27
    .vgpr_spill_count: 0
    .wavefront_size: 64
  - .agpr_count:     0
    .args:
      - .address_space:  global
        .offset:         0
        .size:           8
        .value_kind:     global_buffer
      - .address_space:  global
        .offset:         8
        .size:           8
        .value_kind:     global_buffer
      - .address_space:  global
        .offset:         16
        .size:           8
        .value_kind:     global_buffer
      - .offset:         24
        .size:           4
        .value_kind:     by_value
      - .address_space:  global
        .offset:         32
        .size:           8
        .value_kind:     global_buffer
      - .address_space:  global
        .offset:         40
        .size:           8
        .value_kind:     global_buffer
      - .offset:         48
        .size:           4
        .value_kind:     by_value
      - .offset:         52
        .size:           4
        .value_kind:     by_value
      - .offset:         56
        .size:           4
        .value_kind:     by_value
      - .offset:         60
        .size:           4
        .value_kind:     by_value
      - .offset:         64
        .size:           4
        .value_kind:     by_value
      - .offset:         68
        .size:           4
        .value_kind:     by_value
    .group_segment_fixed_size: 0
    .kernarg_segment_align: 8
    .kernarg_segment_size: 72
    .language:       OpenCL C
    .language_version:
      - 2
      - 0
    .max_flat_workgroup_size: 512
    .name:           _ZN4vllm3moe17topkGatingSoftmaxIfLi8ELi8ELi8ELi32ELb1ELi8ELNS0_23SharedExpertScoringFuncE1EEEvPKT_PKbPfiPiS9_iiiiii
    .private_segment_fixed_size: 0
    .sgpr_count:     36
    .sgpr_spill_count: 0
    .symbol:         _ZN4vllm3moe17topkGatingSoftmaxIfLi8ELi8ELi8ELi32ELb1ELi8ELNS0_23SharedExpertScoringFuncE1EEEvPKT_PKbPfiPiS9_iiiiii.kd
    .uniform_work_group_size: 1
    .uses_dynamic_stack: false
    .vgpr_count:     26
    .vgpr_spill_count: 0
    .wavefront_size: 64
  - .agpr_count:     0
    .args:
      - .address_space:  global
        .offset:         0
        .size:           8
        .value_kind:     global_buffer
      - .address_space:  global
        .offset:         8
        .size:           8
        .value_kind:     global_buffer
      - .address_space:  global
        .offset:         16
        .size:           8
        .value_kind:     global_buffer
      - .offset:         24
        .size:           4
        .value_kind:     by_value
      - .address_space:  global
        .offset:         32
        .size:           8
        .value_kind:     global_buffer
      - .address_space:  global
        .offset:         40
        .size:           8
        .value_kind:     global_buffer
      - .offset:         48
        .size:           4
        .value_kind:     by_value
      - .offset:         52
        .size:           4
        .value_kind:     by_value
      - .offset:         56
        .size:           4
        .value_kind:     by_value
      - .offset:         60
        .size:           4
        .value_kind:     by_value
      - .offset:         64
        .size:           4
        .value_kind:     by_value
      - .offset:         68
        .size:           4
        .value_kind:     by_value
    .group_segment_fixed_size: 0
    .kernarg_segment_align: 8
    .kernarg_segment_size: 72
    .language:       OpenCL C
    .language_version:
      - 2
      - 0
    .max_flat_workgroup_size: 512
    .name:           _ZN4vllm3moe17topkGatingSoftmaxIfLi8ELi8ELi8ELi32ELb0ELi8ELNS0_23SharedExpertScoringFuncE1EEEvPKT_PKbPfiPiS9_iiiiii
    .private_segment_fixed_size: 0
    .sgpr_count:     36
    .sgpr_spill_count: 0
    .symbol:         _ZN4vllm3moe17topkGatingSoftmaxIfLi8ELi8ELi8ELi32ELb0ELi8ELNS0_23SharedExpertScoringFuncE1EEEvPKT_PKbPfiPiS9_iiiiii.kd
    .uniform_work_group_size: 1
    .uses_dynamic_stack: false
    .vgpr_count:     27
    .vgpr_spill_count: 0
    .wavefront_size: 64
  - .agpr_count:     0
    .args:
      - .address_space:  global
        .offset:         0
        .size:           8
        .value_kind:     global_buffer
      - .address_space:  global
        .offset:         8
        .size:           8
        .value_kind:     global_buffer
      - .address_space:  global
        .offset:         16
        .size:           8
        .value_kind:     global_buffer
      - .offset:         24
        .size:           4
        .value_kind:     by_value
      - .address_space:  global
        .offset:         32
        .size:           8
        .value_kind:     global_buffer
      - .address_space:  global
        .offset:         40
        .size:           8
        .value_kind:     global_buffer
      - .offset:         48
        .size:           4
        .value_kind:     by_value
      - .offset:         52
        .size:           4
        .value_kind:     by_value
      - .offset:         56
        .size:           4
        .value_kind:     by_value
      - .offset:         60
        .size:           4
        .value_kind:     by_value
      - .offset:         64
        .size:           4
        .value_kind:     by_value
      - .offset:         68
        .size:           4
        .value_kind:     by_value
    .group_segment_fixed_size: 0
    .kernarg_segment_align: 8
    .kernarg_segment_size: 72
    .language:       OpenCL C
    .language_version:
      - 2
      - 0
    .max_flat_workgroup_size: 512
    .name:           _ZN4vllm3moe17topkGatingSoftmaxIfLi8ELi16ELi8ELi32ELb1ELi0ELNS0_23SharedExpertScoringFuncE0EEEvPKT_PKbPfiPiS9_iiiiii
    .private_segment_fixed_size: 0
    .sgpr_count:     30
    .sgpr_spill_count: 0
    .symbol:         _ZN4vllm3moe17topkGatingSoftmaxIfLi8ELi16ELi8ELi32ELb1ELi0ELNS0_23SharedExpertScoringFuncE0EEEvPKT_PKbPfiPiS9_iiiiii.kd
    .uniform_work_group_size: 1
    .uses_dynamic_stack: false
    .vgpr_count:     33
    .vgpr_spill_count: 0
    .wavefront_size: 64
  - .agpr_count:     0
    .args:
      - .address_space:  global
        .offset:         0
        .size:           8
        .value_kind:     global_buffer
      - .address_space:  global
        .offset:         8
        .size:           8
        .value_kind:     global_buffer
      - .address_space:  global
        .offset:         16
        .size:           8
        .value_kind:     global_buffer
      - .offset:         24
        .size:           4
        .value_kind:     by_value
      - .address_space:  global
        .offset:         32
        .size:           8
        .value_kind:     global_buffer
      - .address_space:  global
        .offset:         40
        .size:           8
        .value_kind:     global_buffer
      - .offset:         48
        .size:           4
        .value_kind:     by_value
      - .offset:         52
        .size:           4
        .value_kind:     by_value
      - .offset:         56
        .size:           4
        .value_kind:     by_value
      - .offset:         60
        .size:           4
        .value_kind:     by_value
      - .offset:         64
        .size:           4
        .value_kind:     by_value
      - .offset:         68
        .size:           4
        .value_kind:     by_value
    .group_segment_fixed_size: 0
    .kernarg_segment_align: 8
    .kernarg_segment_size: 72
    .language:       OpenCL C
    .language_version:
      - 2
      - 0
    .max_flat_workgroup_size: 512
    .name:           _ZN4vllm3moe17topkGatingSoftmaxIfLi8ELi16ELi8ELi32ELb0ELi0ELNS0_23SharedExpertScoringFuncE0EEEvPKT_PKbPfiPiS9_iiiiii
    .private_segment_fixed_size: 0
    .sgpr_count:     29
    .sgpr_spill_count: 0
    .symbol:         _ZN4vllm3moe17topkGatingSoftmaxIfLi8ELi16ELi8ELi32ELb0ELi0ELNS0_23SharedExpertScoringFuncE0EEEvPKT_PKbPfiPiS9_iiiiii.kd
    .uniform_work_group_size: 1
    .uses_dynamic_stack: false
    .vgpr_count:     33
    .vgpr_spill_count: 0
    .wavefront_size: 64
  - .agpr_count:     0
    .args:
      - .address_space:  global
        .offset:         0
        .size:           8
        .value_kind:     global_buffer
      - .address_space:  global
        .offset:         8
        .size:           8
        .value_kind:     global_buffer
      - .address_space:  global
        .offset:         16
        .size:           8
        .value_kind:     global_buffer
      - .offset:         24
        .size:           4
        .value_kind:     by_value
      - .address_space:  global
        .offset:         32
        .size:           8
        .value_kind:     global_buffer
      - .address_space:  global
        .offset:         40
        .size:           8
        .value_kind:     global_buffer
      - .offset:         48
        .size:           4
        .value_kind:     by_value
      - .offset:         52
        .size:           4
        .value_kind:     by_value
      - .offset:         56
        .size:           4
        .value_kind:     by_value
      - .offset:         60
        .size:           4
        .value_kind:     by_value
      - .offset:         64
        .size:           4
        .value_kind:     by_value
      - .offset:         68
        .size:           4
        .value_kind:     by_value
    .group_segment_fixed_size: 0
    .kernarg_segment_align: 8
    .kernarg_segment_size: 72
    .language:       OpenCL C
    .language_version:
      - 2
      - 0
    .max_flat_workgroup_size: 512
    .name:           _ZN4vllm3moe17topkGatingSoftmaxIfLi8ELi16ELi8ELi32ELb1ELi1ELNS0_23SharedExpertScoringFuncE1EEEvPKT_PKbPfiPiS9_iiiiii
    .private_segment_fixed_size: 0
    .sgpr_count:     30
    .sgpr_spill_count: 0
    .symbol:         _ZN4vllm3moe17topkGatingSoftmaxIfLi8ELi16ELi8ELi32ELb1ELi1ELNS0_23SharedExpertScoringFuncE1EEEvPKT_PKbPfiPiS9_iiiiii.kd
    .uniform_work_group_size: 1
    .uses_dynamic_stack: false
    .vgpr_count:     33
    .vgpr_spill_count: 0
    .wavefront_size: 64
  - .agpr_count:     0
    .args:
      - .address_space:  global
        .offset:         0
        .size:           8
        .value_kind:     global_buffer
      - .address_space:  global
        .offset:         8
        .size:           8
        .value_kind:     global_buffer
      - .address_space:  global
        .offset:         16
        .size:           8
        .value_kind:     global_buffer
      - .offset:         24
        .size:           4
        .value_kind:     by_value
      - .address_space:  global
        .offset:         32
        .size:           8
        .value_kind:     global_buffer
      - .address_space:  global
        .offset:         40
        .size:           8
        .value_kind:     global_buffer
      - .offset:         48
        .size:           4
        .value_kind:     by_value
      - .offset:         52
        .size:           4
        .value_kind:     by_value
      - .offset:         56
        .size:           4
        .value_kind:     by_value
      - .offset:         60
        .size:           4
        .value_kind:     by_value
      - .offset:         64
        .size:           4
        .value_kind:     by_value
      - .offset:         68
        .size:           4
        .value_kind:     by_value
    .group_segment_fixed_size: 0
    .kernarg_segment_align: 8
    .kernarg_segment_size: 72
    .language:       OpenCL C
    .language_version:
      - 2
      - 0
    .max_flat_workgroup_size: 512
    .name:           _ZN4vllm3moe17topkGatingSoftmaxIfLi8ELi16ELi8ELi32ELb0ELi1ELNS0_23SharedExpertScoringFuncE1EEEvPKT_PKbPfiPiS9_iiiiii
    .private_segment_fixed_size: 0
    .sgpr_count:     29
    .sgpr_spill_count: 0
    .symbol:         _ZN4vllm3moe17topkGatingSoftmaxIfLi8ELi16ELi8ELi32ELb0ELi1ELNS0_23SharedExpertScoringFuncE1EEEvPKT_PKbPfiPiS9_iiiiii.kd
    .uniform_work_group_size: 1
    .uses_dynamic_stack: false
    .vgpr_count:     33
    .vgpr_spill_count: 0
    .wavefront_size: 64
  - .agpr_count:     0
    .args:
      - .address_space:  global
        .offset:         0
        .size:           8
        .value_kind:     global_buffer
      - .address_space:  global
        .offset:         8
        .size:           8
        .value_kind:     global_buffer
      - .address_space:  global
        .offset:         16
        .size:           8
        .value_kind:     global_buffer
      - .offset:         24
        .size:           4
        .value_kind:     by_value
      - .address_space:  global
        .offset:         32
        .size:           8
        .value_kind:     global_buffer
      - .address_space:  global
        .offset:         40
        .size:           8
        .value_kind:     global_buffer
      - .offset:         48
        .size:           4
        .value_kind:     by_value
      - .offset:         52
        .size:           4
        .value_kind:     by_value
      - .offset:         56
        .size:           4
        .value_kind:     by_value
      - .offset:         60
        .size:           4
        .value_kind:     by_value
      - .offset:         64
        .size:           4
        .value_kind:     by_value
      - .offset:         68
        .size:           4
        .value_kind:     by_value
    .group_segment_fixed_size: 0
    .kernarg_segment_align: 8
    .kernarg_segment_size: 72
    .language:       OpenCL C
    .language_version:
      - 2
      - 0
    .max_flat_workgroup_size: 512
    .name:           _ZN4vllm3moe17topkGatingSoftmaxIfLi8ELi16ELi8ELi32ELb1ELi2ELNS0_23SharedExpertScoringFuncE1EEEvPKT_PKbPfiPiS9_iiiiii
    .private_segment_fixed_size: 0
    .sgpr_count:     30
    .sgpr_spill_count: 0
    .symbol:         _ZN4vllm3moe17topkGatingSoftmaxIfLi8ELi16ELi8ELi32ELb1ELi2ELNS0_23SharedExpertScoringFuncE1EEEvPKT_PKbPfiPiS9_iiiiii.kd
    .uniform_work_group_size: 1
    .uses_dynamic_stack: false
    .vgpr_count:     34
    .vgpr_spill_count: 0
    .wavefront_size: 64
  - .agpr_count:     0
    .args:
      - .address_space:  global
        .offset:         0
        .size:           8
        .value_kind:     global_buffer
      - .address_space:  global
        .offset:         8
        .size:           8
        .value_kind:     global_buffer
      - .address_space:  global
        .offset:         16
        .size:           8
        .value_kind:     global_buffer
      - .offset:         24
        .size:           4
        .value_kind:     by_value
      - .address_space:  global
        .offset:         32
        .size:           8
        .value_kind:     global_buffer
      - .address_space:  global
        .offset:         40
        .size:           8
        .value_kind:     global_buffer
      - .offset:         48
        .size:           4
        .value_kind:     by_value
      - .offset:         52
        .size:           4
        .value_kind:     by_value
      - .offset:         56
        .size:           4
        .value_kind:     by_value
      - .offset:         60
        .size:           4
        .value_kind:     by_value
      - .offset:         64
        .size:           4
        .value_kind:     by_value
      - .offset:         68
        .size:           4
        .value_kind:     by_value
    .group_segment_fixed_size: 0
    .kernarg_segment_align: 8
    .kernarg_segment_size: 72
    .language:       OpenCL C
    .language_version:
      - 2
      - 0
    .max_flat_workgroup_size: 512
    .name:           _ZN4vllm3moe17topkGatingSoftmaxIfLi8ELi16ELi8ELi32ELb0ELi2ELNS0_23SharedExpertScoringFuncE1EEEvPKT_PKbPfiPiS9_iiiiii
    .private_segment_fixed_size: 0
    .sgpr_count:     28
    .sgpr_spill_count: 0
    .symbol:         _ZN4vllm3moe17topkGatingSoftmaxIfLi8ELi16ELi8ELi32ELb0ELi2ELNS0_23SharedExpertScoringFuncE1EEEvPKT_PKbPfiPiS9_iiiiii.kd
    .uniform_work_group_size: 1
    .uses_dynamic_stack: false
    .vgpr_count:     33
    .vgpr_spill_count: 0
    .wavefront_size: 64
  - .agpr_count:     0
    .args:
      - .address_space:  global
        .offset:         0
        .size:           8
        .value_kind:     global_buffer
      - .address_space:  global
        .offset:         8
        .size:           8
        .value_kind:     global_buffer
      - .address_space:  global
        .offset:         16
        .size:           8
        .value_kind:     global_buffer
      - .offset:         24
        .size:           4
        .value_kind:     by_value
      - .address_space:  global
        .offset:         32
        .size:           8
        .value_kind:     global_buffer
      - .address_space:  global
        .offset:         40
        .size:           8
        .value_kind:     global_buffer
      - .offset:         48
        .size:           4
        .value_kind:     by_value
      - .offset:         52
        .size:           4
        .value_kind:     by_value
      - .offset:         56
        .size:           4
        .value_kind:     by_value
      - .offset:         60
        .size:           4
        .value_kind:     by_value
      - .offset:         64
        .size:           4
        .value_kind:     by_value
      - .offset:         68
        .size:           4
        .value_kind:     by_value
    .group_segment_fixed_size: 0
    .kernarg_segment_align: 8
    .kernarg_segment_size: 72
    .language:       OpenCL C
    .language_version:
      - 2
      - 0
    .max_flat_workgroup_size: 512
    .name:           _ZN4vllm3moe17topkGatingSoftmaxIfLi8ELi16ELi8ELi32ELb1ELi4ELNS0_23SharedExpertScoringFuncE1EEEvPKT_PKbPfiPiS9_iiiiii
    .private_segment_fixed_size: 0
    .sgpr_count:     30
    .sgpr_spill_count: 0
    .symbol:         _ZN4vllm3moe17topkGatingSoftmaxIfLi8ELi16ELi8ELi32ELb1ELi4ELNS0_23SharedExpertScoringFuncE1EEEvPKT_PKbPfiPiS9_iiiiii.kd
    .uniform_work_group_size: 1
    .uses_dynamic_stack: false
    .vgpr_count:     33
    .vgpr_spill_count: 0
    .wavefront_size: 64
  - .agpr_count:     0
    .args:
      - .address_space:  global
        .offset:         0
        .size:           8
        .value_kind:     global_buffer
      - .address_space:  global
        .offset:         8
        .size:           8
        .value_kind:     global_buffer
      - .address_space:  global
        .offset:         16
        .size:           8
        .value_kind:     global_buffer
      - .offset:         24
        .size:           4
        .value_kind:     by_value
      - .address_space:  global
        .offset:         32
        .size:           8
        .value_kind:     global_buffer
      - .address_space:  global
        .offset:         40
        .size:           8
        .value_kind:     global_buffer
      - .offset:         48
        .size:           4
        .value_kind:     by_value
      - .offset:         52
        .size:           4
        .value_kind:     by_value
      - .offset:         56
        .size:           4
        .value_kind:     by_value
      - .offset:         60
        .size:           4
        .value_kind:     by_value
      - .offset:         64
        .size:           4
        .value_kind:     by_value
      - .offset:         68
        .size:           4
        .value_kind:     by_value
    .group_segment_fixed_size: 0
    .kernarg_segment_align: 8
    .kernarg_segment_size: 72
    .language:       OpenCL C
    .language_version:
      - 2
      - 0
    .max_flat_workgroup_size: 512
    .name:           _ZN4vllm3moe17topkGatingSoftmaxIfLi8ELi16ELi8ELi32ELb0ELi4ELNS0_23SharedExpertScoringFuncE1EEEvPKT_PKbPfiPiS9_iiiiii
    .private_segment_fixed_size: 0
    .sgpr_count:     28
    .sgpr_spill_count: 0
    .symbol:         _ZN4vllm3moe17topkGatingSoftmaxIfLi8ELi16ELi8ELi32ELb0ELi4ELNS0_23SharedExpertScoringFuncE1EEEvPKT_PKbPfiPiS9_iiiiii.kd
    .uniform_work_group_size: 1
    .uses_dynamic_stack: false
    .vgpr_count:     33
    .vgpr_spill_count: 0
    .wavefront_size: 64
  - .agpr_count:     0
    .args:
      - .address_space:  global
        .offset:         0
        .size:           8
        .value_kind:     global_buffer
      - .address_space:  global
        .offset:         8
        .size:           8
        .value_kind:     global_buffer
      - .address_space:  global
        .offset:         16
        .size:           8
        .value_kind:     global_buffer
      - .offset:         24
        .size:           4
        .value_kind:     by_value
      - .address_space:  global
        .offset:         32
        .size:           8
        .value_kind:     global_buffer
      - .address_space:  global
        .offset:         40
        .size:           8
        .value_kind:     global_buffer
      - .offset:         48
        .size:           4
        .value_kind:     by_value
      - .offset:         52
        .size:           4
        .value_kind:     by_value
      - .offset:         56
        .size:           4
        .value_kind:     by_value
      - .offset:         60
        .size:           4
        .value_kind:     by_value
      - .offset:         64
        .size:           4
        .value_kind:     by_value
      - .offset:         68
        .size:           4
        .value_kind:     by_value
    .group_segment_fixed_size: 0
    .kernarg_segment_align: 8
    .kernarg_segment_size: 72
    .language:       OpenCL C
    .language_version:
      - 2
      - 0
    .max_flat_workgroup_size: 512
    .name:           _ZN4vllm3moe17topkGatingSoftmaxIfLi8ELi16ELi8ELi32ELb1ELi8ELNS0_23SharedExpertScoringFuncE1EEEvPKT_PKbPfiPiS9_iiiiii
    .private_segment_fixed_size: 0
    .sgpr_count:     30
    .sgpr_spill_count: 0
    .symbol:         _ZN4vllm3moe17topkGatingSoftmaxIfLi8ELi16ELi8ELi32ELb1ELi8ELNS0_23SharedExpertScoringFuncE1EEEvPKT_PKbPfiPiS9_iiiiii.kd
    .uniform_work_group_size: 1
    .uses_dynamic_stack: false
    .vgpr_count:     33
    .vgpr_spill_count: 0
    .wavefront_size: 64
  - .agpr_count:     0
    .args:
      - .address_space:  global
        .offset:         0
        .size:           8
        .value_kind:     global_buffer
      - .address_space:  global
        .offset:         8
        .size:           8
        .value_kind:     global_buffer
      - .address_space:  global
        .offset:         16
        .size:           8
        .value_kind:     global_buffer
      - .offset:         24
        .size:           4
        .value_kind:     by_value
      - .address_space:  global
        .offset:         32
        .size:           8
        .value_kind:     global_buffer
      - .address_space:  global
        .offset:         40
        .size:           8
        .value_kind:     global_buffer
      - .offset:         48
        .size:           4
        .value_kind:     by_value
      - .offset:         52
        .size:           4
        .value_kind:     by_value
      - .offset:         56
        .size:           4
        .value_kind:     by_value
      - .offset:         60
        .size:           4
        .value_kind:     by_value
      - .offset:         64
        .size:           4
        .value_kind:     by_value
      - .offset:         68
        .size:           4
        .value_kind:     by_value
    .group_segment_fixed_size: 0
    .kernarg_segment_align: 8
    .kernarg_segment_size: 72
    .language:       OpenCL C
    .language_version:
      - 2
      - 0
    .max_flat_workgroup_size: 512
    .name:           _ZN4vllm3moe17topkGatingSoftmaxIfLi8ELi16ELi8ELi32ELb0ELi8ELNS0_23SharedExpertScoringFuncE1EEEvPKT_PKbPfiPiS9_iiiiii
    .private_segment_fixed_size: 0
    .sgpr_count:     28
    .sgpr_spill_count: 0
    .symbol:         _ZN4vllm3moe17topkGatingSoftmaxIfLi8ELi16ELi8ELi32ELb0ELi8ELNS0_23SharedExpertScoringFuncE1EEEvPKT_PKbPfiPiS9_iiiiii.kd
    .uniform_work_group_size: 1
    .uses_dynamic_stack: false
    .vgpr_count:     33
    .vgpr_spill_count: 0
    .wavefront_size: 64
  - .agpr_count:     0
    .args:
      - .address_space:  global
        .offset:         0
        .size:           8
        .value_kind:     global_buffer
      - .address_space:  global
        .offset:         8
        .size:           8
        .value_kind:     global_buffer
      - .address_space:  global
        .offset:         16
        .size:           8
        .value_kind:     global_buffer
      - .offset:         24
        .size:           4
        .value_kind:     by_value
      - .address_space:  global
        .offset:         32
        .size:           8
        .value_kind:     global_buffer
      - .address_space:  global
        .offset:         40
        .size:           8
        .value_kind:     global_buffer
      - .offset:         48
        .size:           4
        .value_kind:     by_value
      - .offset:         52
        .size:           4
        .value_kind:     by_value
      - .offset:         56
        .size:           4
        .value_kind:     by_value
      - .offset:         60
        .size:           4
        .value_kind:     by_value
      - .offset:         64
        .size:           4
        .value_kind:     by_value
      - .offset:         68
        .size:           4
        .value_kind:     by_value
    .group_segment_fixed_size: 0
    .kernarg_segment_align: 8
    .kernarg_segment_size: 72
    .language:       OpenCL C
    .language_version:
      - 2
      - 0
    .max_flat_workgroup_size: 512
    .name:           _ZN4vllm3moe17topkGatingSoftmaxIfLi8ELi32ELi8ELi32ELb1ELi0ELNS0_23SharedExpertScoringFuncE0EEEvPKT_PKbPfiPiS9_iiiiii
    .private_segment_fixed_size: 0
    .sgpr_count:     30
    .sgpr_spill_count: 0
    .symbol:         _ZN4vllm3moe17topkGatingSoftmaxIfLi8ELi32ELi8ELi32ELb1ELi0ELNS0_23SharedExpertScoringFuncE0EEEvPKT_PKbPfiPiS9_iiiiii.kd
    .uniform_work_group_size: 1
    .uses_dynamic_stack: false
    .vgpr_count:     33
    .vgpr_spill_count: 0
    .wavefront_size: 64
  - .agpr_count:     0
    .args:
      - .address_space:  global
        .offset:         0
        .size:           8
        .value_kind:     global_buffer
      - .address_space:  global
        .offset:         8
        .size:           8
        .value_kind:     global_buffer
      - .address_space:  global
        .offset:         16
        .size:           8
        .value_kind:     global_buffer
      - .offset:         24
        .size:           4
        .value_kind:     by_value
      - .address_space:  global
        .offset:         32
        .size:           8
        .value_kind:     global_buffer
      - .address_space:  global
        .offset:         40
        .size:           8
        .value_kind:     global_buffer
      - .offset:         48
        .size:           4
        .value_kind:     by_value
      - .offset:         52
        .size:           4
        .value_kind:     by_value
      - .offset:         56
        .size:           4
        .value_kind:     by_value
      - .offset:         60
        .size:           4
        .value_kind:     by_value
      - .offset:         64
        .size:           4
        .value_kind:     by_value
      - .offset:         68
        .size:           4
        .value_kind:     by_value
    .group_segment_fixed_size: 0
    .kernarg_segment_align: 8
    .kernarg_segment_size: 72
    .language:       OpenCL C
    .language_version:
      - 2
      - 0
    .max_flat_workgroup_size: 512
    .name:           _ZN4vllm3moe17topkGatingSoftmaxIfLi8ELi32ELi8ELi32ELb0ELi0ELNS0_23SharedExpertScoringFuncE0EEEvPKT_PKbPfiPiS9_iiiiii
    .private_segment_fixed_size: 0
    .sgpr_count:     29
    .sgpr_spill_count: 0
    .symbol:         _ZN4vllm3moe17topkGatingSoftmaxIfLi8ELi32ELi8ELi32ELb0ELi0ELNS0_23SharedExpertScoringFuncE0EEEvPKT_PKbPfiPiS9_iiiiii.kd
    .uniform_work_group_size: 1
    .uses_dynamic_stack: false
    .vgpr_count:     33
    .vgpr_spill_count: 0
    .wavefront_size: 64
  - .agpr_count:     0
    .args:
      - .address_space:  global
        .offset:         0
        .size:           8
        .value_kind:     global_buffer
      - .address_space:  global
        .offset:         8
        .size:           8
        .value_kind:     global_buffer
      - .address_space:  global
        .offset:         16
        .size:           8
        .value_kind:     global_buffer
      - .offset:         24
        .size:           4
        .value_kind:     by_value
      - .address_space:  global
        .offset:         32
        .size:           8
        .value_kind:     global_buffer
      - .address_space:  global
        .offset:         40
        .size:           8
        .value_kind:     global_buffer
      - .offset:         48
        .size:           4
        .value_kind:     by_value
      - .offset:         52
        .size:           4
        .value_kind:     by_value
      - .offset:         56
        .size:           4
        .value_kind:     by_value
      - .offset:         60
        .size:           4
        .value_kind:     by_value
      - .offset:         64
        .size:           4
        .value_kind:     by_value
      - .offset:         68
        .size:           4
        .value_kind:     by_value
    .group_segment_fixed_size: 0
    .kernarg_segment_align: 8
    .kernarg_segment_size: 72
    .language:       OpenCL C
    .language_version:
      - 2
      - 0
    .max_flat_workgroup_size: 512
    .name:           _ZN4vllm3moe17topkGatingSoftmaxIfLi8ELi32ELi8ELi32ELb1ELi1ELNS0_23SharedExpertScoringFuncE1EEEvPKT_PKbPfiPiS9_iiiiii
    .private_segment_fixed_size: 0
    .sgpr_count:     30
    .sgpr_spill_count: 0
    .symbol:         _ZN4vllm3moe17topkGatingSoftmaxIfLi8ELi32ELi8ELi32ELb1ELi1ELNS0_23SharedExpertScoringFuncE1EEEvPKT_PKbPfiPiS9_iiiiii.kd
    .uniform_work_group_size: 1
    .uses_dynamic_stack: false
    .vgpr_count:     33
    .vgpr_spill_count: 0
    .wavefront_size: 64
  - .agpr_count:     0
    .args:
      - .address_space:  global
        .offset:         0
        .size:           8
        .value_kind:     global_buffer
      - .address_space:  global
        .offset:         8
        .size:           8
        .value_kind:     global_buffer
      - .address_space:  global
        .offset:         16
        .size:           8
        .value_kind:     global_buffer
      - .offset:         24
        .size:           4
        .value_kind:     by_value
      - .address_space:  global
        .offset:         32
        .size:           8
        .value_kind:     global_buffer
      - .address_space:  global
        .offset:         40
        .size:           8
        .value_kind:     global_buffer
      - .offset:         48
        .size:           4
        .value_kind:     by_value
      - .offset:         52
        .size:           4
        .value_kind:     by_value
      - .offset:         56
        .size:           4
        .value_kind:     by_value
      - .offset:         60
        .size:           4
        .value_kind:     by_value
      - .offset:         64
        .size:           4
        .value_kind:     by_value
      - .offset:         68
        .size:           4
        .value_kind:     by_value
    .group_segment_fixed_size: 0
    .kernarg_segment_align: 8
    .kernarg_segment_size: 72
    .language:       OpenCL C
    .language_version:
      - 2
      - 0
    .max_flat_workgroup_size: 512
    .name:           _ZN4vllm3moe17topkGatingSoftmaxIfLi8ELi32ELi8ELi32ELb0ELi1ELNS0_23SharedExpertScoringFuncE1EEEvPKT_PKbPfiPiS9_iiiiii
    .private_segment_fixed_size: 0
    .sgpr_count:     29
    .sgpr_spill_count: 0
    .symbol:         _ZN4vllm3moe17topkGatingSoftmaxIfLi8ELi32ELi8ELi32ELb0ELi1ELNS0_23SharedExpertScoringFuncE1EEEvPKT_PKbPfiPiS9_iiiiii.kd
    .uniform_work_group_size: 1
    .uses_dynamic_stack: false
    .vgpr_count:     33
    .vgpr_spill_count: 0
    .wavefront_size: 64
  - .agpr_count:     0
    .args:
      - .address_space:  global
        .offset:         0
        .size:           8
        .value_kind:     global_buffer
      - .address_space:  global
        .offset:         8
        .size:           8
        .value_kind:     global_buffer
      - .address_space:  global
        .offset:         16
        .size:           8
        .value_kind:     global_buffer
      - .offset:         24
        .size:           4
        .value_kind:     by_value
      - .address_space:  global
        .offset:         32
        .size:           8
        .value_kind:     global_buffer
      - .address_space:  global
        .offset:         40
        .size:           8
        .value_kind:     global_buffer
      - .offset:         48
        .size:           4
        .value_kind:     by_value
      - .offset:         52
        .size:           4
        .value_kind:     by_value
      - .offset:         56
        .size:           4
        .value_kind:     by_value
      - .offset:         60
        .size:           4
        .value_kind:     by_value
      - .offset:         64
        .size:           4
        .value_kind:     by_value
      - .offset:         68
        .size:           4
        .value_kind:     by_value
    .group_segment_fixed_size: 0
    .kernarg_segment_align: 8
    .kernarg_segment_size: 72
    .language:       OpenCL C
    .language_version:
      - 2
      - 0
    .max_flat_workgroup_size: 512
    .name:           _ZN4vllm3moe17topkGatingSoftmaxIfLi8ELi32ELi8ELi32ELb1ELi2ELNS0_23SharedExpertScoringFuncE1EEEvPKT_PKbPfiPiS9_iiiiii
    .private_segment_fixed_size: 0
    .sgpr_count:     30
    .sgpr_spill_count: 0
    .symbol:         _ZN4vllm3moe17topkGatingSoftmaxIfLi8ELi32ELi8ELi32ELb1ELi2ELNS0_23SharedExpertScoringFuncE1EEEvPKT_PKbPfiPiS9_iiiiii.kd
    .uniform_work_group_size: 1
    .uses_dynamic_stack: false
    .vgpr_count:     33
    .vgpr_spill_count: 0
    .wavefront_size: 64
  - .agpr_count:     0
    .args:
      - .address_space:  global
        .offset:         0
        .size:           8
        .value_kind:     global_buffer
      - .address_space:  global
        .offset:         8
        .size:           8
        .value_kind:     global_buffer
      - .address_space:  global
        .offset:         16
        .size:           8
        .value_kind:     global_buffer
      - .offset:         24
        .size:           4
        .value_kind:     by_value
      - .address_space:  global
        .offset:         32
        .size:           8
        .value_kind:     global_buffer
      - .address_space:  global
        .offset:         40
        .size:           8
        .value_kind:     global_buffer
      - .offset:         48
        .size:           4
        .value_kind:     by_value
      - .offset:         52
        .size:           4
        .value_kind:     by_value
      - .offset:         56
        .size:           4
        .value_kind:     by_value
      - .offset:         60
        .size:           4
        .value_kind:     by_value
      - .offset:         64
        .size:           4
        .value_kind:     by_value
      - .offset:         68
        .size:           4
        .value_kind:     by_value
    .group_segment_fixed_size: 0
    .kernarg_segment_align: 8
    .kernarg_segment_size: 72
    .language:       OpenCL C
    .language_version:
      - 2
      - 0
    .max_flat_workgroup_size: 512
    .name:           _ZN4vllm3moe17topkGatingSoftmaxIfLi8ELi32ELi8ELi32ELb0ELi2ELNS0_23SharedExpertScoringFuncE1EEEvPKT_PKbPfiPiS9_iiiiii
    .private_segment_fixed_size: 0
    .sgpr_count:     29
    .sgpr_spill_count: 0
    .symbol:         _ZN4vllm3moe17topkGatingSoftmaxIfLi8ELi32ELi8ELi32ELb0ELi2ELNS0_23SharedExpertScoringFuncE1EEEvPKT_PKbPfiPiS9_iiiiii.kd
    .uniform_work_group_size: 1
    .uses_dynamic_stack: false
    .vgpr_count:     33
    .vgpr_spill_count: 0
    .wavefront_size: 64
  - .agpr_count:     0
    .args:
      - .address_space:  global
        .offset:         0
        .size:           8
        .value_kind:     global_buffer
      - .address_space:  global
        .offset:         8
        .size:           8
        .value_kind:     global_buffer
      - .address_space:  global
        .offset:         16
        .size:           8
        .value_kind:     global_buffer
      - .offset:         24
        .size:           4
        .value_kind:     by_value
      - .address_space:  global
        .offset:         32
        .size:           8
        .value_kind:     global_buffer
      - .address_space:  global
        .offset:         40
        .size:           8
        .value_kind:     global_buffer
      - .offset:         48
        .size:           4
        .value_kind:     by_value
      - .offset:         52
        .size:           4
        .value_kind:     by_value
      - .offset:         56
        .size:           4
        .value_kind:     by_value
      - .offset:         60
        .size:           4
        .value_kind:     by_value
      - .offset:         64
        .size:           4
        .value_kind:     by_value
      - .offset:         68
        .size:           4
        .value_kind:     by_value
    .group_segment_fixed_size: 0
    .kernarg_segment_align: 8
    .kernarg_segment_size: 72
    .language:       OpenCL C
    .language_version:
      - 2
      - 0
    .max_flat_workgroup_size: 512
    .name:           _ZN4vllm3moe17topkGatingSoftmaxIfLi8ELi32ELi8ELi32ELb1ELi4ELNS0_23SharedExpertScoringFuncE1EEEvPKT_PKbPfiPiS9_iiiiii
    .private_segment_fixed_size: 0
    .sgpr_count:     30
    .sgpr_spill_count: 0
    .symbol:         _ZN4vllm3moe17topkGatingSoftmaxIfLi8ELi32ELi8ELi32ELb1ELi4ELNS0_23SharedExpertScoringFuncE1EEEvPKT_PKbPfiPiS9_iiiiii.kd
    .uniform_work_group_size: 1
    .uses_dynamic_stack: false
    .vgpr_count:     34
    .vgpr_spill_count: 0
    .wavefront_size: 64
  - .agpr_count:     0
    .args:
      - .address_space:  global
        .offset:         0
        .size:           8
        .value_kind:     global_buffer
      - .address_space:  global
        .offset:         8
        .size:           8
        .value_kind:     global_buffer
      - .address_space:  global
        .offset:         16
        .size:           8
        .value_kind:     global_buffer
      - .offset:         24
        .size:           4
        .value_kind:     by_value
      - .address_space:  global
        .offset:         32
        .size:           8
        .value_kind:     global_buffer
      - .address_space:  global
        .offset:         40
        .size:           8
        .value_kind:     global_buffer
      - .offset:         48
        .size:           4
        .value_kind:     by_value
      - .offset:         52
        .size:           4
        .value_kind:     by_value
      - .offset:         56
        .size:           4
        .value_kind:     by_value
      - .offset:         60
        .size:           4
        .value_kind:     by_value
      - .offset:         64
        .size:           4
        .value_kind:     by_value
      - .offset:         68
        .size:           4
        .value_kind:     by_value
    .group_segment_fixed_size: 0
    .kernarg_segment_align: 8
    .kernarg_segment_size: 72
    .language:       OpenCL C
    .language_version:
      - 2
      - 0
    .max_flat_workgroup_size: 512
    .name:           _ZN4vllm3moe17topkGatingSoftmaxIfLi8ELi32ELi8ELi32ELb0ELi4ELNS0_23SharedExpertScoringFuncE1EEEvPKT_PKbPfiPiS9_iiiiii
    .private_segment_fixed_size: 0
    .sgpr_count:     28
    .sgpr_spill_count: 0
    .symbol:         _ZN4vllm3moe17topkGatingSoftmaxIfLi8ELi32ELi8ELi32ELb0ELi4ELNS0_23SharedExpertScoringFuncE1EEEvPKT_PKbPfiPiS9_iiiiii.kd
    .uniform_work_group_size: 1
    .uses_dynamic_stack: false
    .vgpr_count:     34
    .vgpr_spill_count: 0
    .wavefront_size: 64
  - .agpr_count:     0
    .args:
      - .address_space:  global
        .offset:         0
        .size:           8
        .value_kind:     global_buffer
      - .address_space:  global
        .offset:         8
        .size:           8
        .value_kind:     global_buffer
      - .address_space:  global
        .offset:         16
        .size:           8
        .value_kind:     global_buffer
      - .offset:         24
        .size:           4
        .value_kind:     by_value
      - .address_space:  global
        .offset:         32
        .size:           8
        .value_kind:     global_buffer
      - .address_space:  global
        .offset:         40
        .size:           8
        .value_kind:     global_buffer
      - .offset:         48
        .size:           4
        .value_kind:     by_value
      - .offset:         52
        .size:           4
        .value_kind:     by_value
      - .offset:         56
        .size:           4
        .value_kind:     by_value
      - .offset:         60
        .size:           4
        .value_kind:     by_value
      - .offset:         64
        .size:           4
        .value_kind:     by_value
      - .offset:         68
        .size:           4
        .value_kind:     by_value
    .group_segment_fixed_size: 0
    .kernarg_segment_align: 8
    .kernarg_segment_size: 72
    .language:       OpenCL C
    .language_version:
      - 2
      - 0
    .max_flat_workgroup_size: 512
    .name:           _ZN4vllm3moe17topkGatingSoftmaxIfLi8ELi32ELi8ELi32ELb1ELi8ELNS0_23SharedExpertScoringFuncE1EEEvPKT_PKbPfiPiS9_iiiiii
    .private_segment_fixed_size: 0
    .sgpr_count:     30
    .sgpr_spill_count: 0
    .symbol:         _ZN4vllm3moe17topkGatingSoftmaxIfLi8ELi32ELi8ELi32ELb1ELi8ELNS0_23SharedExpertScoringFuncE1EEEvPKT_PKbPfiPiS9_iiiiii.kd
    .uniform_work_group_size: 1
    .uses_dynamic_stack: false
    .vgpr_count:     33
    .vgpr_spill_count: 0
    .wavefront_size: 64
  - .agpr_count:     0
    .args:
      - .address_space:  global
        .offset:         0
        .size:           8
        .value_kind:     global_buffer
      - .address_space:  global
        .offset:         8
        .size:           8
        .value_kind:     global_buffer
      - .address_space:  global
        .offset:         16
        .size:           8
        .value_kind:     global_buffer
      - .offset:         24
        .size:           4
        .value_kind:     by_value
      - .address_space:  global
        .offset:         32
        .size:           8
        .value_kind:     global_buffer
      - .address_space:  global
        .offset:         40
        .size:           8
        .value_kind:     global_buffer
      - .offset:         48
        .size:           4
        .value_kind:     by_value
      - .offset:         52
        .size:           4
        .value_kind:     by_value
      - .offset:         56
        .size:           4
        .value_kind:     by_value
      - .offset:         60
        .size:           4
        .value_kind:     by_value
      - .offset:         64
        .size:           4
        .value_kind:     by_value
      - .offset:         68
        .size:           4
        .value_kind:     by_value
    .group_segment_fixed_size: 0
    .kernarg_segment_align: 8
    .kernarg_segment_size: 72
    .language:       OpenCL C
    .language_version:
      - 2
      - 0
    .max_flat_workgroup_size: 512
    .name:           _ZN4vllm3moe17topkGatingSoftmaxIfLi8ELi32ELi8ELi32ELb0ELi8ELNS0_23SharedExpertScoringFuncE1EEEvPKT_PKbPfiPiS9_iiiiii
    .private_segment_fixed_size: 0
    .sgpr_count:     28
    .sgpr_spill_count: 0
    .symbol:         _ZN4vllm3moe17topkGatingSoftmaxIfLi8ELi32ELi8ELi32ELb0ELi8ELNS0_23SharedExpertScoringFuncE1EEEvPKT_PKbPfiPiS9_iiiiii.kd
    .uniform_work_group_size: 1
    .uses_dynamic_stack: false
    .vgpr_count:     33
    .vgpr_spill_count: 0
    .wavefront_size: 64
  - .agpr_count:     0
    .args:
      - .address_space:  global
        .offset:         0
        .size:           8
        .value_kind:     global_buffer
      - .address_space:  global
        .offset:         8
        .size:           8
        .value_kind:     global_buffer
      - .address_space:  global
        .offset:         16
        .size:           8
        .value_kind:     global_buffer
      - .offset:         24
        .size:           4
        .value_kind:     by_value
      - .address_space:  global
        .offset:         32
        .size:           8
        .value_kind:     global_buffer
      - .address_space:  global
        .offset:         40
        .size:           8
        .value_kind:     global_buffer
      - .offset:         48
        .size:           4
        .value_kind:     by_value
      - .offset:         52
        .size:           4
        .value_kind:     by_value
      - .offset:         56
        .size:           4
        .value_kind:     by_value
      - .offset:         60
        .size:           4
        .value_kind:     by_value
      - .offset:         64
        .size:           4
        .value_kind:     by_value
      - .offset:         68
        .size:           4
        .value_kind:     by_value
    .group_segment_fixed_size: 0
    .kernarg_segment_align: 8
    .kernarg_segment_size: 72
    .language:       OpenCL C
    .language_version:
      - 2
      - 0
    .max_flat_workgroup_size: 512
    .name:           _ZN4vllm3moe17topkGatingSoftmaxIfLi8ELi64ELi8ELi32ELb1ELi0ELNS0_23SharedExpertScoringFuncE0EEEvPKT_PKbPfiPiS9_iiiiii
    .private_segment_fixed_size: 0
    .sgpr_count:     30
    .sgpr_spill_count: 0
    .symbol:         _ZN4vllm3moe17topkGatingSoftmaxIfLi8ELi64ELi8ELi32ELb1ELi0ELNS0_23SharedExpertScoringFuncE0EEEvPKT_PKbPfiPiS9_iiiiii.kd
    .uniform_work_group_size: 1
    .uses_dynamic_stack: false
    .vgpr_count:     33
    .vgpr_spill_count: 0
    .wavefront_size: 64
  - .agpr_count:     0
    .args:
      - .address_space:  global
        .offset:         0
        .size:           8
        .value_kind:     global_buffer
      - .address_space:  global
        .offset:         8
        .size:           8
        .value_kind:     global_buffer
      - .address_space:  global
        .offset:         16
        .size:           8
        .value_kind:     global_buffer
      - .offset:         24
        .size:           4
        .value_kind:     by_value
      - .address_space:  global
        .offset:         32
        .size:           8
        .value_kind:     global_buffer
      - .address_space:  global
        .offset:         40
        .size:           8
        .value_kind:     global_buffer
      - .offset:         48
        .size:           4
        .value_kind:     by_value
      - .offset:         52
        .size:           4
        .value_kind:     by_value
      - .offset:         56
        .size:           4
        .value_kind:     by_value
      - .offset:         60
        .size:           4
        .value_kind:     by_value
      - .offset:         64
        .size:           4
        .value_kind:     by_value
      - .offset:         68
        .size:           4
        .value_kind:     by_value
    .group_segment_fixed_size: 0
    .kernarg_segment_align: 8
    .kernarg_segment_size: 72
    .language:       OpenCL C
    .language_version:
      - 2
      - 0
    .max_flat_workgroup_size: 512
    .name:           _ZN4vllm3moe17topkGatingSoftmaxIfLi8ELi64ELi8ELi32ELb0ELi0ELNS0_23SharedExpertScoringFuncE0EEEvPKT_PKbPfiPiS9_iiiiii
    .private_segment_fixed_size: 0
    .sgpr_count:     29
    .sgpr_spill_count: 0
    .symbol:         _ZN4vllm3moe17topkGatingSoftmaxIfLi8ELi64ELi8ELi32ELb0ELi0ELNS0_23SharedExpertScoringFuncE0EEEvPKT_PKbPfiPiS9_iiiiii.kd
    .uniform_work_group_size: 1
    .uses_dynamic_stack: false
    .vgpr_count:     33
    .vgpr_spill_count: 0
    .wavefront_size: 64
  - .agpr_count:     0
    .args:
      - .address_space:  global
        .offset:         0
        .size:           8
        .value_kind:     global_buffer
      - .address_space:  global
        .offset:         8
        .size:           8
        .value_kind:     global_buffer
      - .address_space:  global
        .offset:         16
        .size:           8
        .value_kind:     global_buffer
      - .offset:         24
        .size:           4
        .value_kind:     by_value
      - .address_space:  global
        .offset:         32
        .size:           8
        .value_kind:     global_buffer
      - .address_space:  global
        .offset:         40
        .size:           8
        .value_kind:     global_buffer
      - .offset:         48
        .size:           4
        .value_kind:     by_value
      - .offset:         52
        .size:           4
        .value_kind:     by_value
      - .offset:         56
        .size:           4
        .value_kind:     by_value
      - .offset:         60
        .size:           4
        .value_kind:     by_value
      - .offset:         64
        .size:           4
        .value_kind:     by_value
      - .offset:         68
        .size:           4
        .value_kind:     by_value
    .group_segment_fixed_size: 0
    .kernarg_segment_align: 8
    .kernarg_segment_size: 72
    .language:       OpenCL C
    .language_version:
      - 2
      - 0
    .max_flat_workgroup_size: 512
    .name:           _ZN4vllm3moe17topkGatingSoftmaxIfLi8ELi64ELi8ELi32ELb1ELi1ELNS0_23SharedExpertScoringFuncE1EEEvPKT_PKbPfiPiS9_iiiiii
    .private_segment_fixed_size: 0
    .sgpr_count:     30
    .sgpr_spill_count: 0
    .symbol:         _ZN4vllm3moe17topkGatingSoftmaxIfLi8ELi64ELi8ELi32ELb1ELi1ELNS0_23SharedExpertScoringFuncE1EEEvPKT_PKbPfiPiS9_iiiiii.kd
    .uniform_work_group_size: 1
    .uses_dynamic_stack: false
    .vgpr_count:     33
    .vgpr_spill_count: 0
    .wavefront_size: 64
  - .agpr_count:     0
    .args:
      - .address_space:  global
        .offset:         0
        .size:           8
        .value_kind:     global_buffer
      - .address_space:  global
        .offset:         8
        .size:           8
        .value_kind:     global_buffer
      - .address_space:  global
        .offset:         16
        .size:           8
        .value_kind:     global_buffer
      - .offset:         24
        .size:           4
        .value_kind:     by_value
      - .address_space:  global
        .offset:         32
        .size:           8
        .value_kind:     global_buffer
      - .address_space:  global
        .offset:         40
        .size:           8
        .value_kind:     global_buffer
      - .offset:         48
        .size:           4
        .value_kind:     by_value
      - .offset:         52
        .size:           4
        .value_kind:     by_value
      - .offset:         56
        .size:           4
        .value_kind:     by_value
      - .offset:         60
        .size:           4
        .value_kind:     by_value
      - .offset:         64
        .size:           4
        .value_kind:     by_value
      - .offset:         68
        .size:           4
        .value_kind:     by_value
    .group_segment_fixed_size: 0
    .kernarg_segment_align: 8
    .kernarg_segment_size: 72
    .language:       OpenCL C
    .language_version:
      - 2
      - 0
    .max_flat_workgroup_size: 512
    .name:           _ZN4vllm3moe17topkGatingSoftmaxIfLi8ELi64ELi8ELi32ELb0ELi1ELNS0_23SharedExpertScoringFuncE1EEEvPKT_PKbPfiPiS9_iiiiii
    .private_segment_fixed_size: 0
    .sgpr_count:     29
    .sgpr_spill_count: 0
    .symbol:         _ZN4vllm3moe17topkGatingSoftmaxIfLi8ELi64ELi8ELi32ELb0ELi1ELNS0_23SharedExpertScoringFuncE1EEEvPKT_PKbPfiPiS9_iiiiii.kd
    .uniform_work_group_size: 1
    .uses_dynamic_stack: false
    .vgpr_count:     33
    .vgpr_spill_count: 0
    .wavefront_size: 64
  - .agpr_count:     0
    .args:
      - .address_space:  global
        .offset:         0
        .size:           8
        .value_kind:     global_buffer
      - .address_space:  global
        .offset:         8
        .size:           8
        .value_kind:     global_buffer
      - .address_space:  global
        .offset:         16
        .size:           8
        .value_kind:     global_buffer
      - .offset:         24
        .size:           4
        .value_kind:     by_value
      - .address_space:  global
        .offset:         32
        .size:           8
        .value_kind:     global_buffer
      - .address_space:  global
        .offset:         40
        .size:           8
        .value_kind:     global_buffer
      - .offset:         48
        .size:           4
        .value_kind:     by_value
      - .offset:         52
        .size:           4
        .value_kind:     by_value
      - .offset:         56
        .size:           4
        .value_kind:     by_value
      - .offset:         60
        .size:           4
        .value_kind:     by_value
      - .offset:         64
        .size:           4
        .value_kind:     by_value
      - .offset:         68
        .size:           4
        .value_kind:     by_value
    .group_segment_fixed_size: 0
    .kernarg_segment_align: 8
    .kernarg_segment_size: 72
    .language:       OpenCL C
    .language_version:
      - 2
      - 0
    .max_flat_workgroup_size: 512
    .name:           _ZN4vllm3moe17topkGatingSoftmaxIfLi8ELi64ELi8ELi32ELb1ELi2ELNS0_23SharedExpertScoringFuncE1EEEvPKT_PKbPfiPiS9_iiiiii
    .private_segment_fixed_size: 0
    .sgpr_count:     30
    .sgpr_spill_count: 0
    .symbol:         _ZN4vllm3moe17topkGatingSoftmaxIfLi8ELi64ELi8ELi32ELb1ELi2ELNS0_23SharedExpertScoringFuncE1EEEvPKT_PKbPfiPiS9_iiiiii.kd
    .uniform_work_group_size: 1
    .uses_dynamic_stack: false
    .vgpr_count:     33
    .vgpr_spill_count: 0
    .wavefront_size: 64
  - .agpr_count:     0
    .args:
      - .address_space:  global
        .offset:         0
        .size:           8
        .value_kind:     global_buffer
      - .address_space:  global
        .offset:         8
        .size:           8
        .value_kind:     global_buffer
      - .address_space:  global
        .offset:         16
        .size:           8
        .value_kind:     global_buffer
      - .offset:         24
        .size:           4
        .value_kind:     by_value
      - .address_space:  global
        .offset:         32
        .size:           8
        .value_kind:     global_buffer
      - .address_space:  global
        .offset:         40
        .size:           8
        .value_kind:     global_buffer
      - .offset:         48
        .size:           4
        .value_kind:     by_value
      - .offset:         52
        .size:           4
        .value_kind:     by_value
      - .offset:         56
        .size:           4
        .value_kind:     by_value
      - .offset:         60
        .size:           4
        .value_kind:     by_value
      - .offset:         64
        .size:           4
        .value_kind:     by_value
      - .offset:         68
        .size:           4
        .value_kind:     by_value
    .group_segment_fixed_size: 0
    .kernarg_segment_align: 8
    .kernarg_segment_size: 72
    .language:       OpenCL C
    .language_version:
      - 2
      - 0
    .max_flat_workgroup_size: 512
    .name:           _ZN4vllm3moe17topkGatingSoftmaxIfLi8ELi64ELi8ELi32ELb0ELi2ELNS0_23SharedExpertScoringFuncE1EEEvPKT_PKbPfiPiS9_iiiiii
    .private_segment_fixed_size: 0
    .sgpr_count:     29
    .sgpr_spill_count: 0
    .symbol:         _ZN4vllm3moe17topkGatingSoftmaxIfLi8ELi64ELi8ELi32ELb0ELi2ELNS0_23SharedExpertScoringFuncE1EEEvPKT_PKbPfiPiS9_iiiiii.kd
    .uniform_work_group_size: 1
    .uses_dynamic_stack: false
    .vgpr_count:     33
    .vgpr_spill_count: 0
    .wavefront_size: 64
  - .agpr_count:     0
    .args:
      - .address_space:  global
        .offset:         0
        .size:           8
        .value_kind:     global_buffer
      - .address_space:  global
        .offset:         8
        .size:           8
        .value_kind:     global_buffer
      - .address_space:  global
        .offset:         16
        .size:           8
        .value_kind:     global_buffer
      - .offset:         24
        .size:           4
        .value_kind:     by_value
      - .address_space:  global
        .offset:         32
        .size:           8
        .value_kind:     global_buffer
      - .address_space:  global
        .offset:         40
        .size:           8
        .value_kind:     global_buffer
      - .offset:         48
        .size:           4
        .value_kind:     by_value
      - .offset:         52
        .size:           4
        .value_kind:     by_value
      - .offset:         56
        .size:           4
        .value_kind:     by_value
      - .offset:         60
        .size:           4
        .value_kind:     by_value
      - .offset:         64
        .size:           4
        .value_kind:     by_value
      - .offset:         68
        .size:           4
        .value_kind:     by_value
    .group_segment_fixed_size: 0
    .kernarg_segment_align: 8
    .kernarg_segment_size: 72
    .language:       OpenCL C
    .language_version:
      - 2
      - 0
    .max_flat_workgroup_size: 512
    .name:           _ZN4vllm3moe17topkGatingSoftmaxIfLi8ELi64ELi8ELi32ELb1ELi4ELNS0_23SharedExpertScoringFuncE1EEEvPKT_PKbPfiPiS9_iiiiii
    .private_segment_fixed_size: 0
    .sgpr_count:     30
    .sgpr_spill_count: 0
    .symbol:         _ZN4vllm3moe17topkGatingSoftmaxIfLi8ELi64ELi8ELi32ELb1ELi4ELNS0_23SharedExpertScoringFuncE1EEEvPKT_PKbPfiPiS9_iiiiii.kd
    .uniform_work_group_size: 1
    .uses_dynamic_stack: false
    .vgpr_count:     33
    .vgpr_spill_count: 0
    .wavefront_size: 64
  - .agpr_count:     0
    .args:
      - .address_space:  global
        .offset:         0
        .size:           8
        .value_kind:     global_buffer
      - .address_space:  global
        .offset:         8
        .size:           8
        .value_kind:     global_buffer
      - .address_space:  global
        .offset:         16
        .size:           8
        .value_kind:     global_buffer
      - .offset:         24
        .size:           4
        .value_kind:     by_value
      - .address_space:  global
        .offset:         32
        .size:           8
        .value_kind:     global_buffer
      - .address_space:  global
        .offset:         40
        .size:           8
        .value_kind:     global_buffer
      - .offset:         48
        .size:           4
        .value_kind:     by_value
      - .offset:         52
        .size:           4
        .value_kind:     by_value
      - .offset:         56
        .size:           4
        .value_kind:     by_value
      - .offset:         60
        .size:           4
        .value_kind:     by_value
      - .offset:         64
        .size:           4
        .value_kind:     by_value
      - .offset:         68
        .size:           4
        .value_kind:     by_value
    .group_segment_fixed_size: 0
    .kernarg_segment_align: 8
    .kernarg_segment_size: 72
    .language:       OpenCL C
    .language_version:
      - 2
      - 0
    .max_flat_workgroup_size: 512
    .name:           _ZN4vllm3moe17topkGatingSoftmaxIfLi8ELi64ELi8ELi32ELb0ELi4ELNS0_23SharedExpertScoringFuncE1EEEvPKT_PKbPfiPiS9_iiiiii
    .private_segment_fixed_size: 0
    .sgpr_count:     29
    .sgpr_spill_count: 0
    .symbol:         _ZN4vllm3moe17topkGatingSoftmaxIfLi8ELi64ELi8ELi32ELb0ELi4ELNS0_23SharedExpertScoringFuncE1EEEvPKT_PKbPfiPiS9_iiiiii.kd
    .uniform_work_group_size: 1
    .uses_dynamic_stack: false
    .vgpr_count:     33
    .vgpr_spill_count: 0
    .wavefront_size: 64
  - .agpr_count:     0
    .args:
      - .address_space:  global
        .offset:         0
        .size:           8
        .value_kind:     global_buffer
      - .address_space:  global
        .offset:         8
        .size:           8
        .value_kind:     global_buffer
      - .address_space:  global
        .offset:         16
        .size:           8
        .value_kind:     global_buffer
      - .offset:         24
        .size:           4
        .value_kind:     by_value
      - .address_space:  global
        .offset:         32
        .size:           8
        .value_kind:     global_buffer
      - .address_space:  global
        .offset:         40
        .size:           8
        .value_kind:     global_buffer
      - .offset:         48
        .size:           4
        .value_kind:     by_value
      - .offset:         52
        .size:           4
        .value_kind:     by_value
      - .offset:         56
        .size:           4
        .value_kind:     by_value
      - .offset:         60
        .size:           4
        .value_kind:     by_value
      - .offset:         64
        .size:           4
        .value_kind:     by_value
      - .offset:         68
        .size:           4
        .value_kind:     by_value
    .group_segment_fixed_size: 0
    .kernarg_segment_align: 8
    .kernarg_segment_size: 72
    .language:       OpenCL C
    .language_version:
      - 2
      - 0
    .max_flat_workgroup_size: 512
    .name:           _ZN4vllm3moe17topkGatingSoftmaxIfLi8ELi64ELi8ELi32ELb1ELi8ELNS0_23SharedExpertScoringFuncE1EEEvPKT_PKbPfiPiS9_iiiiii
    .private_segment_fixed_size: 0
    .sgpr_count:     30
    .sgpr_spill_count: 0
    .symbol:         _ZN4vllm3moe17topkGatingSoftmaxIfLi8ELi64ELi8ELi32ELb1ELi8ELNS0_23SharedExpertScoringFuncE1EEEvPKT_PKbPfiPiS9_iiiiii.kd
    .uniform_work_group_size: 1
    .uses_dynamic_stack: false
    .vgpr_count:     34
    .vgpr_spill_count: 0
    .wavefront_size: 64
  - .agpr_count:     0
    .args:
      - .address_space:  global
        .offset:         0
        .size:           8
        .value_kind:     global_buffer
      - .address_space:  global
        .offset:         8
        .size:           8
        .value_kind:     global_buffer
      - .address_space:  global
        .offset:         16
        .size:           8
        .value_kind:     global_buffer
      - .offset:         24
        .size:           4
        .value_kind:     by_value
      - .address_space:  global
        .offset:         32
        .size:           8
        .value_kind:     global_buffer
      - .address_space:  global
        .offset:         40
        .size:           8
        .value_kind:     global_buffer
      - .offset:         48
        .size:           4
        .value_kind:     by_value
      - .offset:         52
        .size:           4
        .value_kind:     by_value
      - .offset:         56
        .size:           4
        .value_kind:     by_value
      - .offset:         60
        .size:           4
        .value_kind:     by_value
      - .offset:         64
        .size:           4
        .value_kind:     by_value
      - .offset:         68
        .size:           4
        .value_kind:     by_value
    .group_segment_fixed_size: 0
    .kernarg_segment_align: 8
    .kernarg_segment_size: 72
    .language:       OpenCL C
    .language_version:
      - 2
      - 0
    .max_flat_workgroup_size: 512
    .name:           _ZN4vllm3moe17topkGatingSoftmaxIfLi8ELi64ELi8ELi32ELb0ELi8ELNS0_23SharedExpertScoringFuncE1EEEvPKT_PKbPfiPiS9_iiiiii
    .private_segment_fixed_size: 0
    .sgpr_count:     28
    .sgpr_spill_count: 0
    .symbol:         _ZN4vllm3moe17topkGatingSoftmaxIfLi8ELi64ELi8ELi32ELb0ELi8ELNS0_23SharedExpertScoringFuncE1EEEvPKT_PKbPfiPiS9_iiiiii.kd
    .uniform_work_group_size: 1
    .uses_dynamic_stack: false
    .vgpr_count:     34
    .vgpr_spill_count: 0
    .wavefront_size: 64
  - .agpr_count:     0
    .args:
      - .address_space:  global
        .offset:         0
        .size:           8
        .value_kind:     global_buffer
      - .address_space:  global
        .offset:         8
        .size:           8
        .value_kind:     global_buffer
      - .address_space:  global
        .offset:         16
        .size:           8
        .value_kind:     global_buffer
      - .offset:         24
        .size:           4
        .value_kind:     by_value
      - .address_space:  global
        .offset:         32
        .size:           8
        .value_kind:     global_buffer
      - .address_space:  global
        .offset:         40
        .size:           8
        .value_kind:     global_buffer
      - .offset:         48
        .size:           4
        .value_kind:     by_value
      - .offset:         52
        .size:           4
        .value_kind:     by_value
      - .offset:         56
        .size:           4
        .value_kind:     by_value
      - .offset:         60
        .size:           4
        .value_kind:     by_value
      - .offset:         64
        .size:           4
        .value_kind:     by_value
      - .offset:         68
        .size:           4
        .value_kind:     by_value
    .group_segment_fixed_size: 0
    .kernarg_segment_align: 8
    .kernarg_segment_size: 72
    .language:       OpenCL C
    .language_version:
      - 2
      - 0
    .max_flat_workgroup_size: 512
    .name:           _ZN4vllm3moe17topkGatingSoftmaxIfLi8ELi128ELi8ELi32ELb1ELi0ELNS0_23SharedExpertScoringFuncE0EEEvPKT_PKbPfiPiS9_iiiiii
    .private_segment_fixed_size: 0
    .sgpr_count:     30
    .sgpr_spill_count: 0
    .symbol:         _ZN4vllm3moe17topkGatingSoftmaxIfLi8ELi128ELi8ELi32ELb1ELi0ELNS0_23SharedExpertScoringFuncE0EEEvPKT_PKbPfiPiS9_iiiiii.kd
    .uniform_work_group_size: 1
    .uses_dynamic_stack: false
    .vgpr_count:     34
    .vgpr_spill_count: 0
    .wavefront_size: 64
  - .agpr_count:     0
    .args:
      - .address_space:  global
        .offset:         0
        .size:           8
        .value_kind:     global_buffer
      - .address_space:  global
        .offset:         8
        .size:           8
        .value_kind:     global_buffer
      - .address_space:  global
        .offset:         16
        .size:           8
        .value_kind:     global_buffer
      - .offset:         24
        .size:           4
        .value_kind:     by_value
      - .address_space:  global
        .offset:         32
        .size:           8
        .value_kind:     global_buffer
      - .address_space:  global
        .offset:         40
        .size:           8
        .value_kind:     global_buffer
      - .offset:         48
        .size:           4
        .value_kind:     by_value
      - .offset:         52
        .size:           4
        .value_kind:     by_value
      - .offset:         56
        .size:           4
        .value_kind:     by_value
      - .offset:         60
        .size:           4
        .value_kind:     by_value
      - .offset:         64
        .size:           4
        .value_kind:     by_value
      - .offset:         68
        .size:           4
        .value_kind:     by_value
    .group_segment_fixed_size: 0
    .kernarg_segment_align: 8
    .kernarg_segment_size: 72
    .language:       OpenCL C
    .language_version:
      - 2
      - 0
    .max_flat_workgroup_size: 512
    .name:           _ZN4vllm3moe17topkGatingSoftmaxIfLi8ELi128ELi8ELi32ELb0ELi0ELNS0_23SharedExpertScoringFuncE0EEEvPKT_PKbPfiPiS9_iiiiii
    .private_segment_fixed_size: 0
    .sgpr_count:     29
    .sgpr_spill_count: 0
    .symbol:         _ZN4vllm3moe17topkGatingSoftmaxIfLi8ELi128ELi8ELi32ELb0ELi0ELNS0_23SharedExpertScoringFuncE0EEEvPKT_PKbPfiPiS9_iiiiii.kd
    .uniform_work_group_size: 1
    .uses_dynamic_stack: false
    .vgpr_count:     34
    .vgpr_spill_count: 0
    .wavefront_size: 64
  - .agpr_count:     0
    .args:
      - .address_space:  global
        .offset:         0
        .size:           8
        .value_kind:     global_buffer
      - .address_space:  global
        .offset:         8
        .size:           8
        .value_kind:     global_buffer
      - .address_space:  global
        .offset:         16
        .size:           8
        .value_kind:     global_buffer
      - .offset:         24
        .size:           4
        .value_kind:     by_value
      - .address_space:  global
        .offset:         32
        .size:           8
        .value_kind:     global_buffer
      - .address_space:  global
        .offset:         40
        .size:           8
        .value_kind:     global_buffer
      - .offset:         48
        .size:           4
        .value_kind:     by_value
      - .offset:         52
        .size:           4
        .value_kind:     by_value
      - .offset:         56
        .size:           4
        .value_kind:     by_value
      - .offset:         60
        .size:           4
        .value_kind:     by_value
      - .offset:         64
        .size:           4
        .value_kind:     by_value
      - .offset:         68
        .size:           4
        .value_kind:     by_value
    .group_segment_fixed_size: 0
    .kernarg_segment_align: 8
    .kernarg_segment_size: 72
    .language:       OpenCL C
    .language_version:
      - 2
      - 0
    .max_flat_workgroup_size: 512
    .name:           _ZN4vllm3moe17topkGatingSoftmaxIfLi8ELi128ELi8ELi32ELb1ELi1ELNS0_23SharedExpertScoringFuncE1EEEvPKT_PKbPfiPiS9_iiiiii
    .private_segment_fixed_size: 0
    .sgpr_count:     30
    .sgpr_spill_count: 0
    .symbol:         _ZN4vllm3moe17topkGatingSoftmaxIfLi8ELi128ELi8ELi32ELb1ELi1ELNS0_23SharedExpertScoringFuncE1EEEvPKT_PKbPfiPiS9_iiiiii.kd
    .uniform_work_group_size: 1
    .uses_dynamic_stack: false
    .vgpr_count:     34
    .vgpr_spill_count: 0
    .wavefront_size: 64
  - .agpr_count:     0
    .args:
      - .address_space:  global
        .offset:         0
        .size:           8
        .value_kind:     global_buffer
      - .address_space:  global
        .offset:         8
        .size:           8
        .value_kind:     global_buffer
      - .address_space:  global
        .offset:         16
        .size:           8
        .value_kind:     global_buffer
      - .offset:         24
        .size:           4
        .value_kind:     by_value
      - .address_space:  global
        .offset:         32
        .size:           8
        .value_kind:     global_buffer
      - .address_space:  global
        .offset:         40
        .size:           8
        .value_kind:     global_buffer
      - .offset:         48
        .size:           4
        .value_kind:     by_value
      - .offset:         52
        .size:           4
        .value_kind:     by_value
      - .offset:         56
        .size:           4
        .value_kind:     by_value
      - .offset:         60
        .size:           4
        .value_kind:     by_value
      - .offset:         64
        .size:           4
        .value_kind:     by_value
      - .offset:         68
        .size:           4
        .value_kind:     by_value
    .group_segment_fixed_size: 0
    .kernarg_segment_align: 8
    .kernarg_segment_size: 72
    .language:       OpenCL C
    .language_version:
      - 2
      - 0
    .max_flat_workgroup_size: 512
    .name:           _ZN4vllm3moe17topkGatingSoftmaxIfLi8ELi128ELi8ELi32ELb0ELi1ELNS0_23SharedExpertScoringFuncE1EEEvPKT_PKbPfiPiS9_iiiiii
    .private_segment_fixed_size: 0
    .sgpr_count:     29
    .sgpr_spill_count: 0
    .symbol:         _ZN4vllm3moe17topkGatingSoftmaxIfLi8ELi128ELi8ELi32ELb0ELi1ELNS0_23SharedExpertScoringFuncE1EEEvPKT_PKbPfiPiS9_iiiiii.kd
    .uniform_work_group_size: 1
    .uses_dynamic_stack: false
    .vgpr_count:     34
    .vgpr_spill_count: 0
    .wavefront_size: 64
  - .agpr_count:     0
    .args:
      - .address_space:  global
        .offset:         0
        .size:           8
        .value_kind:     global_buffer
      - .address_space:  global
        .offset:         8
        .size:           8
        .value_kind:     global_buffer
      - .address_space:  global
        .offset:         16
        .size:           8
        .value_kind:     global_buffer
      - .offset:         24
        .size:           4
        .value_kind:     by_value
      - .address_space:  global
        .offset:         32
        .size:           8
        .value_kind:     global_buffer
      - .address_space:  global
        .offset:         40
        .size:           8
        .value_kind:     global_buffer
      - .offset:         48
        .size:           4
        .value_kind:     by_value
      - .offset:         52
        .size:           4
        .value_kind:     by_value
      - .offset:         56
        .size:           4
        .value_kind:     by_value
      - .offset:         60
        .size:           4
        .value_kind:     by_value
      - .offset:         64
        .size:           4
        .value_kind:     by_value
      - .offset:         68
        .size:           4
        .value_kind:     by_value
    .group_segment_fixed_size: 0
    .kernarg_segment_align: 8
    .kernarg_segment_size: 72
    .language:       OpenCL C
    .language_version:
      - 2
      - 0
    .max_flat_workgroup_size: 512
    .name:           _ZN4vllm3moe17topkGatingSoftmaxIfLi8ELi128ELi8ELi32ELb1ELi2ELNS0_23SharedExpertScoringFuncE1EEEvPKT_PKbPfiPiS9_iiiiii
    .private_segment_fixed_size: 0
    .sgpr_count:     30
    .sgpr_spill_count: 0
    .symbol:         _ZN4vllm3moe17topkGatingSoftmaxIfLi8ELi128ELi8ELi32ELb1ELi2ELNS0_23SharedExpertScoringFuncE1EEEvPKT_PKbPfiPiS9_iiiiii.kd
    .uniform_work_group_size: 1
    .uses_dynamic_stack: false
    .vgpr_count:     34
    .vgpr_spill_count: 0
    .wavefront_size: 64
  - .agpr_count:     0
    .args:
      - .address_space:  global
        .offset:         0
        .size:           8
        .value_kind:     global_buffer
      - .address_space:  global
        .offset:         8
        .size:           8
        .value_kind:     global_buffer
      - .address_space:  global
        .offset:         16
        .size:           8
        .value_kind:     global_buffer
      - .offset:         24
        .size:           4
        .value_kind:     by_value
      - .address_space:  global
        .offset:         32
        .size:           8
        .value_kind:     global_buffer
      - .address_space:  global
        .offset:         40
        .size:           8
        .value_kind:     global_buffer
      - .offset:         48
        .size:           4
        .value_kind:     by_value
      - .offset:         52
        .size:           4
        .value_kind:     by_value
      - .offset:         56
        .size:           4
        .value_kind:     by_value
      - .offset:         60
        .size:           4
        .value_kind:     by_value
      - .offset:         64
        .size:           4
        .value_kind:     by_value
      - .offset:         68
        .size:           4
        .value_kind:     by_value
    .group_segment_fixed_size: 0
    .kernarg_segment_align: 8
    .kernarg_segment_size: 72
    .language:       OpenCL C
    .language_version:
      - 2
      - 0
    .max_flat_workgroup_size: 512
    .name:           _ZN4vllm3moe17topkGatingSoftmaxIfLi8ELi128ELi8ELi32ELb0ELi2ELNS0_23SharedExpertScoringFuncE1EEEvPKT_PKbPfiPiS9_iiiiii
    .private_segment_fixed_size: 0
    .sgpr_count:     29
    .sgpr_spill_count: 0
    .symbol:         _ZN4vllm3moe17topkGatingSoftmaxIfLi8ELi128ELi8ELi32ELb0ELi2ELNS0_23SharedExpertScoringFuncE1EEEvPKT_PKbPfiPiS9_iiiiii.kd
    .uniform_work_group_size: 1
    .uses_dynamic_stack: false
    .vgpr_count:     34
    .vgpr_spill_count: 0
    .wavefront_size: 64
  - .agpr_count:     0
    .args:
      - .address_space:  global
        .offset:         0
        .size:           8
        .value_kind:     global_buffer
      - .address_space:  global
        .offset:         8
        .size:           8
        .value_kind:     global_buffer
      - .address_space:  global
        .offset:         16
        .size:           8
        .value_kind:     global_buffer
      - .offset:         24
        .size:           4
        .value_kind:     by_value
      - .address_space:  global
        .offset:         32
        .size:           8
        .value_kind:     global_buffer
      - .address_space:  global
        .offset:         40
        .size:           8
        .value_kind:     global_buffer
      - .offset:         48
        .size:           4
        .value_kind:     by_value
      - .offset:         52
        .size:           4
        .value_kind:     by_value
      - .offset:         56
        .size:           4
        .value_kind:     by_value
      - .offset:         60
        .size:           4
        .value_kind:     by_value
      - .offset:         64
        .size:           4
        .value_kind:     by_value
      - .offset:         68
        .size:           4
        .value_kind:     by_value
    .group_segment_fixed_size: 0
    .kernarg_segment_align: 8
    .kernarg_segment_size: 72
    .language:       OpenCL C
    .language_version:
      - 2
      - 0
    .max_flat_workgroup_size: 512
    .name:           _ZN4vllm3moe17topkGatingSoftmaxIfLi8ELi128ELi8ELi32ELb1ELi4ELNS0_23SharedExpertScoringFuncE1EEEvPKT_PKbPfiPiS9_iiiiii
    .private_segment_fixed_size: 0
    .sgpr_count:     30
    .sgpr_spill_count: 0
    .symbol:         _ZN4vllm3moe17topkGatingSoftmaxIfLi8ELi128ELi8ELi32ELb1ELi4ELNS0_23SharedExpertScoringFuncE1EEEvPKT_PKbPfiPiS9_iiiiii.kd
    .uniform_work_group_size: 1
    .uses_dynamic_stack: false
    .vgpr_count:     34
    .vgpr_spill_count: 0
    .wavefront_size: 64
  - .agpr_count:     0
    .args:
      - .address_space:  global
        .offset:         0
        .size:           8
        .value_kind:     global_buffer
      - .address_space:  global
        .offset:         8
        .size:           8
        .value_kind:     global_buffer
      - .address_space:  global
        .offset:         16
        .size:           8
        .value_kind:     global_buffer
      - .offset:         24
        .size:           4
        .value_kind:     by_value
      - .address_space:  global
        .offset:         32
        .size:           8
        .value_kind:     global_buffer
      - .address_space:  global
        .offset:         40
        .size:           8
        .value_kind:     global_buffer
      - .offset:         48
        .size:           4
        .value_kind:     by_value
      - .offset:         52
        .size:           4
        .value_kind:     by_value
      - .offset:         56
        .size:           4
        .value_kind:     by_value
      - .offset:         60
        .size:           4
        .value_kind:     by_value
      - .offset:         64
        .size:           4
        .value_kind:     by_value
      - .offset:         68
        .size:           4
        .value_kind:     by_value
    .group_segment_fixed_size: 0
    .kernarg_segment_align: 8
    .kernarg_segment_size: 72
    .language:       OpenCL C
    .language_version:
      - 2
      - 0
    .max_flat_workgroup_size: 512
    .name:           _ZN4vllm3moe17topkGatingSoftmaxIfLi8ELi128ELi8ELi32ELb0ELi4ELNS0_23SharedExpertScoringFuncE1EEEvPKT_PKbPfiPiS9_iiiiii
    .private_segment_fixed_size: 0
    .sgpr_count:     29
    .sgpr_spill_count: 0
    .symbol:         _ZN4vllm3moe17topkGatingSoftmaxIfLi8ELi128ELi8ELi32ELb0ELi4ELNS0_23SharedExpertScoringFuncE1EEEvPKT_PKbPfiPiS9_iiiiii.kd
    .uniform_work_group_size: 1
    .uses_dynamic_stack: false
    .vgpr_count:     34
    .vgpr_spill_count: 0
    .wavefront_size: 64
  - .agpr_count:     0
    .args:
      - .address_space:  global
        .offset:         0
        .size:           8
        .value_kind:     global_buffer
      - .address_space:  global
        .offset:         8
        .size:           8
        .value_kind:     global_buffer
      - .address_space:  global
        .offset:         16
        .size:           8
        .value_kind:     global_buffer
      - .offset:         24
        .size:           4
        .value_kind:     by_value
      - .address_space:  global
        .offset:         32
        .size:           8
        .value_kind:     global_buffer
      - .address_space:  global
        .offset:         40
        .size:           8
        .value_kind:     global_buffer
      - .offset:         48
        .size:           4
        .value_kind:     by_value
      - .offset:         52
        .size:           4
        .value_kind:     by_value
      - .offset:         56
        .size:           4
        .value_kind:     by_value
      - .offset:         60
        .size:           4
        .value_kind:     by_value
      - .offset:         64
        .size:           4
        .value_kind:     by_value
      - .offset:         68
        .size:           4
        .value_kind:     by_value
    .group_segment_fixed_size: 0
    .kernarg_segment_align: 8
    .kernarg_segment_size: 72
    .language:       OpenCL C
    .language_version:
      - 2
      - 0
    .max_flat_workgroup_size: 512
    .name:           _ZN4vllm3moe17topkGatingSoftmaxIfLi8ELi128ELi8ELi32ELb1ELi8ELNS0_23SharedExpertScoringFuncE1EEEvPKT_PKbPfiPiS9_iiiiii
    .private_segment_fixed_size: 0
    .sgpr_count:     30
    .sgpr_spill_count: 0
    .symbol:         _ZN4vllm3moe17topkGatingSoftmaxIfLi8ELi128ELi8ELi32ELb1ELi8ELNS0_23SharedExpertScoringFuncE1EEEvPKT_PKbPfiPiS9_iiiiii.kd
    .uniform_work_group_size: 1
    .uses_dynamic_stack: false
    .vgpr_count:     34
    .vgpr_spill_count: 0
    .wavefront_size: 64
  - .agpr_count:     0
    .args:
      - .address_space:  global
        .offset:         0
        .size:           8
        .value_kind:     global_buffer
      - .address_space:  global
        .offset:         8
        .size:           8
        .value_kind:     global_buffer
      - .address_space:  global
        .offset:         16
        .size:           8
        .value_kind:     global_buffer
      - .offset:         24
        .size:           4
        .value_kind:     by_value
      - .address_space:  global
        .offset:         32
        .size:           8
        .value_kind:     global_buffer
      - .address_space:  global
        .offset:         40
        .size:           8
        .value_kind:     global_buffer
      - .offset:         48
        .size:           4
        .value_kind:     by_value
      - .offset:         52
        .size:           4
        .value_kind:     by_value
      - .offset:         56
        .size:           4
        .value_kind:     by_value
      - .offset:         60
        .size:           4
        .value_kind:     by_value
      - .offset:         64
        .size:           4
        .value_kind:     by_value
      - .offset:         68
        .size:           4
        .value_kind:     by_value
    .group_segment_fixed_size: 0
    .kernarg_segment_align: 8
    .kernarg_segment_size: 72
    .language:       OpenCL C
    .language_version:
      - 2
      - 0
    .max_flat_workgroup_size: 512
    .name:           _ZN4vllm3moe17topkGatingSoftmaxIfLi8ELi128ELi8ELi32ELb0ELi8ELNS0_23SharedExpertScoringFuncE1EEEvPKT_PKbPfiPiS9_iiiiii
    .private_segment_fixed_size: 0
    .sgpr_count:     29
    .sgpr_spill_count: 0
    .symbol:         _ZN4vllm3moe17topkGatingSoftmaxIfLi8ELi128ELi8ELi32ELb0ELi8ELNS0_23SharedExpertScoringFuncE1EEEvPKT_PKbPfiPiS9_iiiiii.kd
    .uniform_work_group_size: 1
    .uses_dynamic_stack: false
    .vgpr_count:     34
    .vgpr_spill_count: 0
    .wavefront_size: 64
  - .agpr_count:     0
    .args:
      - .address_space:  global
        .offset:         0
        .size:           8
        .value_kind:     global_buffer
      - .address_space:  global
        .offset:         8
        .size:           8
        .value_kind:     global_buffer
      - .address_space:  global
        .offset:         16
        .size:           8
        .value_kind:     global_buffer
      - .offset:         24
        .size:           4
        .value_kind:     by_value
      - .address_space:  global
        .offset:         32
        .size:           8
        .value_kind:     global_buffer
      - .address_space:  global
        .offset:         40
        .size:           8
        .value_kind:     global_buffer
      - .offset:         48
        .size:           4
        .value_kind:     by_value
      - .offset:         52
        .size:           4
        .value_kind:     by_value
      - .offset:         56
        .size:           4
        .value_kind:     by_value
      - .offset:         60
        .size:           4
        .value_kind:     by_value
      - .offset:         64
        .size:           4
        .value_kind:     by_value
      - .offset:         68
        .size:           4
        .value_kind:     by_value
    .group_segment_fixed_size: 0
    .kernarg_segment_align: 8
    .kernarg_segment_size: 72
    .language:       OpenCL C
    .language_version:
      - 2
      - 0
    .max_flat_workgroup_size: 512
    .name:           _ZN4vllm3moe17topkGatingSoftmaxIfLi8ELi256ELi8ELi32ELb1ELi0ELNS0_23SharedExpertScoringFuncE0EEEvPKT_PKbPfiPiS9_iiiiii
    .private_segment_fixed_size: 0
    .sgpr_count:     29
    .sgpr_spill_count: 0
    .symbol:         _ZN4vllm3moe17topkGatingSoftmaxIfLi8ELi256ELi8ELi32ELb1ELi0ELNS0_23SharedExpertScoringFuncE0EEEvPKT_PKbPfiPiS9_iiiiii.kd
    .uniform_work_group_size: 1
    .uses_dynamic_stack: false
    .vgpr_count:     35
    .vgpr_spill_count: 0
    .wavefront_size: 64
  - .agpr_count:     0
    .args:
      - .address_space:  global
        .offset:         0
        .size:           8
        .value_kind:     global_buffer
      - .address_space:  global
        .offset:         8
        .size:           8
        .value_kind:     global_buffer
      - .address_space:  global
        .offset:         16
        .size:           8
        .value_kind:     global_buffer
      - .offset:         24
        .size:           4
        .value_kind:     by_value
      - .address_space:  global
        .offset:         32
        .size:           8
        .value_kind:     global_buffer
      - .address_space:  global
        .offset:         40
        .size:           8
        .value_kind:     global_buffer
      - .offset:         48
        .size:           4
        .value_kind:     by_value
      - .offset:         52
        .size:           4
        .value_kind:     by_value
      - .offset:         56
        .size:           4
        .value_kind:     by_value
      - .offset:         60
        .size:           4
        .value_kind:     by_value
      - .offset:         64
        .size:           4
        .value_kind:     by_value
      - .offset:         68
        .size:           4
        .value_kind:     by_value
    .group_segment_fixed_size: 0
    .kernarg_segment_align: 8
    .kernarg_segment_size: 72
    .language:       OpenCL C
    .language_version:
      - 2
      - 0
    .max_flat_workgroup_size: 512
    .name:           _ZN4vllm3moe17topkGatingSoftmaxIfLi8ELi256ELi8ELi32ELb0ELi0ELNS0_23SharedExpertScoringFuncE0EEEvPKT_PKbPfiPiS9_iiiiii
    .private_segment_fixed_size: 0
    .sgpr_count:     29
    .sgpr_spill_count: 0
    .symbol:         _ZN4vllm3moe17topkGatingSoftmaxIfLi8ELi256ELi8ELi32ELb0ELi0ELNS0_23SharedExpertScoringFuncE0EEEvPKT_PKbPfiPiS9_iiiiii.kd
    .uniform_work_group_size: 1
    .uses_dynamic_stack: false
    .vgpr_count:     35
    .vgpr_spill_count: 0
    .wavefront_size: 64
  - .agpr_count:     0
    .args:
      - .address_space:  global
        .offset:         0
        .size:           8
        .value_kind:     global_buffer
      - .address_space:  global
        .offset:         8
        .size:           8
        .value_kind:     global_buffer
      - .address_space:  global
        .offset:         16
        .size:           8
        .value_kind:     global_buffer
      - .offset:         24
        .size:           4
        .value_kind:     by_value
      - .address_space:  global
        .offset:         32
        .size:           8
        .value_kind:     global_buffer
      - .address_space:  global
        .offset:         40
        .size:           8
        .value_kind:     global_buffer
      - .offset:         48
        .size:           4
        .value_kind:     by_value
      - .offset:         52
        .size:           4
        .value_kind:     by_value
      - .offset:         56
        .size:           4
        .value_kind:     by_value
      - .offset:         60
        .size:           4
        .value_kind:     by_value
      - .offset:         64
        .size:           4
        .value_kind:     by_value
      - .offset:         68
        .size:           4
        .value_kind:     by_value
    .group_segment_fixed_size: 0
    .kernarg_segment_align: 8
    .kernarg_segment_size: 72
    .language:       OpenCL C
    .language_version:
      - 2
      - 0
    .max_flat_workgroup_size: 512
    .name:           _ZN4vllm3moe17topkGatingSoftmaxIfLi8ELi256ELi8ELi32ELb1ELi1ELNS0_23SharedExpertScoringFuncE1EEEvPKT_PKbPfiPiS9_iiiiii
    .private_segment_fixed_size: 0
    .sgpr_count:     29
    .sgpr_spill_count: 0
    .symbol:         _ZN4vllm3moe17topkGatingSoftmaxIfLi8ELi256ELi8ELi32ELb1ELi1ELNS0_23SharedExpertScoringFuncE1EEEvPKT_PKbPfiPiS9_iiiiii.kd
    .uniform_work_group_size: 1
    .uses_dynamic_stack: false
    .vgpr_count:     35
    .vgpr_spill_count: 0
    .wavefront_size: 64
  - .agpr_count:     0
    .args:
      - .address_space:  global
        .offset:         0
        .size:           8
        .value_kind:     global_buffer
      - .address_space:  global
        .offset:         8
        .size:           8
        .value_kind:     global_buffer
      - .address_space:  global
        .offset:         16
        .size:           8
        .value_kind:     global_buffer
      - .offset:         24
        .size:           4
        .value_kind:     by_value
      - .address_space:  global
        .offset:         32
        .size:           8
        .value_kind:     global_buffer
      - .address_space:  global
        .offset:         40
        .size:           8
        .value_kind:     global_buffer
      - .offset:         48
        .size:           4
        .value_kind:     by_value
      - .offset:         52
        .size:           4
        .value_kind:     by_value
      - .offset:         56
        .size:           4
        .value_kind:     by_value
      - .offset:         60
        .size:           4
        .value_kind:     by_value
      - .offset:         64
        .size:           4
        .value_kind:     by_value
      - .offset:         68
        .size:           4
        .value_kind:     by_value
    .group_segment_fixed_size: 0
    .kernarg_segment_align: 8
    .kernarg_segment_size: 72
    .language:       OpenCL C
    .language_version:
      - 2
      - 0
    .max_flat_workgroup_size: 512
    .name:           _ZN4vllm3moe17topkGatingSoftmaxIfLi8ELi256ELi8ELi32ELb0ELi1ELNS0_23SharedExpertScoringFuncE1EEEvPKT_PKbPfiPiS9_iiiiii
    .private_segment_fixed_size: 0
    .sgpr_count:     29
    .sgpr_spill_count: 0
    .symbol:         _ZN4vllm3moe17topkGatingSoftmaxIfLi8ELi256ELi8ELi32ELb0ELi1ELNS0_23SharedExpertScoringFuncE1EEEvPKT_PKbPfiPiS9_iiiiii.kd
    .uniform_work_group_size: 1
    .uses_dynamic_stack: false
    .vgpr_count:     35
    .vgpr_spill_count: 0
    .wavefront_size: 64
  - .agpr_count:     0
    .args:
      - .address_space:  global
        .offset:         0
        .size:           8
        .value_kind:     global_buffer
      - .address_space:  global
        .offset:         8
        .size:           8
        .value_kind:     global_buffer
      - .address_space:  global
        .offset:         16
        .size:           8
        .value_kind:     global_buffer
      - .offset:         24
        .size:           4
        .value_kind:     by_value
      - .address_space:  global
        .offset:         32
        .size:           8
        .value_kind:     global_buffer
      - .address_space:  global
        .offset:         40
        .size:           8
        .value_kind:     global_buffer
      - .offset:         48
        .size:           4
        .value_kind:     by_value
      - .offset:         52
        .size:           4
        .value_kind:     by_value
      - .offset:         56
        .size:           4
        .value_kind:     by_value
      - .offset:         60
        .size:           4
        .value_kind:     by_value
      - .offset:         64
        .size:           4
        .value_kind:     by_value
      - .offset:         68
        .size:           4
        .value_kind:     by_value
    .group_segment_fixed_size: 0
    .kernarg_segment_align: 8
    .kernarg_segment_size: 72
    .language:       OpenCL C
    .language_version:
      - 2
      - 0
    .max_flat_workgroup_size: 512
    .name:           _ZN4vllm3moe17topkGatingSoftmaxIfLi8ELi256ELi8ELi32ELb1ELi2ELNS0_23SharedExpertScoringFuncE1EEEvPKT_PKbPfiPiS9_iiiiii
    .private_segment_fixed_size: 0
    .sgpr_count:     29
    .sgpr_spill_count: 0
    .symbol:         _ZN4vllm3moe17topkGatingSoftmaxIfLi8ELi256ELi8ELi32ELb1ELi2ELNS0_23SharedExpertScoringFuncE1EEEvPKT_PKbPfiPiS9_iiiiii.kd
    .uniform_work_group_size: 1
    .uses_dynamic_stack: false
    .vgpr_count:     35
    .vgpr_spill_count: 0
    .wavefront_size: 64
  - .agpr_count:     0
    .args:
      - .address_space:  global
        .offset:         0
        .size:           8
        .value_kind:     global_buffer
      - .address_space:  global
        .offset:         8
        .size:           8
        .value_kind:     global_buffer
      - .address_space:  global
        .offset:         16
        .size:           8
        .value_kind:     global_buffer
      - .offset:         24
        .size:           4
        .value_kind:     by_value
      - .address_space:  global
        .offset:         32
        .size:           8
        .value_kind:     global_buffer
      - .address_space:  global
        .offset:         40
        .size:           8
        .value_kind:     global_buffer
      - .offset:         48
        .size:           4
        .value_kind:     by_value
      - .offset:         52
        .size:           4
        .value_kind:     by_value
      - .offset:         56
        .size:           4
        .value_kind:     by_value
      - .offset:         60
        .size:           4
        .value_kind:     by_value
      - .offset:         64
        .size:           4
        .value_kind:     by_value
      - .offset:         68
        .size:           4
        .value_kind:     by_value
    .group_segment_fixed_size: 0
    .kernarg_segment_align: 8
    .kernarg_segment_size: 72
    .language:       OpenCL C
    .language_version:
      - 2
      - 0
    .max_flat_workgroup_size: 512
    .name:           _ZN4vllm3moe17topkGatingSoftmaxIfLi8ELi256ELi8ELi32ELb0ELi2ELNS0_23SharedExpertScoringFuncE1EEEvPKT_PKbPfiPiS9_iiiiii
    .private_segment_fixed_size: 0
    .sgpr_count:     29
    .sgpr_spill_count: 0
    .symbol:         _ZN4vllm3moe17topkGatingSoftmaxIfLi8ELi256ELi8ELi32ELb0ELi2ELNS0_23SharedExpertScoringFuncE1EEEvPKT_PKbPfiPiS9_iiiiii.kd
    .uniform_work_group_size: 1
    .uses_dynamic_stack: false
    .vgpr_count:     35
    .vgpr_spill_count: 0
    .wavefront_size: 64
  - .agpr_count:     0
    .args:
      - .address_space:  global
        .offset:         0
        .size:           8
        .value_kind:     global_buffer
      - .address_space:  global
        .offset:         8
        .size:           8
        .value_kind:     global_buffer
      - .address_space:  global
        .offset:         16
        .size:           8
        .value_kind:     global_buffer
      - .offset:         24
        .size:           4
        .value_kind:     by_value
      - .address_space:  global
        .offset:         32
        .size:           8
        .value_kind:     global_buffer
      - .address_space:  global
        .offset:         40
        .size:           8
        .value_kind:     global_buffer
      - .offset:         48
        .size:           4
        .value_kind:     by_value
      - .offset:         52
        .size:           4
        .value_kind:     by_value
      - .offset:         56
        .size:           4
        .value_kind:     by_value
      - .offset:         60
        .size:           4
        .value_kind:     by_value
      - .offset:         64
        .size:           4
        .value_kind:     by_value
      - .offset:         68
        .size:           4
        .value_kind:     by_value
    .group_segment_fixed_size: 0
    .kernarg_segment_align: 8
    .kernarg_segment_size: 72
    .language:       OpenCL C
    .language_version:
      - 2
      - 0
    .max_flat_workgroup_size: 512
    .name:           _ZN4vllm3moe17topkGatingSoftmaxIfLi8ELi256ELi8ELi32ELb1ELi4ELNS0_23SharedExpertScoringFuncE1EEEvPKT_PKbPfiPiS9_iiiiii
    .private_segment_fixed_size: 0
    .sgpr_count:     29
    .sgpr_spill_count: 0
    .symbol:         _ZN4vllm3moe17topkGatingSoftmaxIfLi8ELi256ELi8ELi32ELb1ELi4ELNS0_23SharedExpertScoringFuncE1EEEvPKT_PKbPfiPiS9_iiiiii.kd
    .uniform_work_group_size: 1
    .uses_dynamic_stack: false
    .vgpr_count:     35
    .vgpr_spill_count: 0
    .wavefront_size: 64
  - .agpr_count:     0
    .args:
      - .address_space:  global
        .offset:         0
        .size:           8
        .value_kind:     global_buffer
      - .address_space:  global
        .offset:         8
        .size:           8
        .value_kind:     global_buffer
      - .address_space:  global
        .offset:         16
        .size:           8
        .value_kind:     global_buffer
      - .offset:         24
        .size:           4
        .value_kind:     by_value
      - .address_space:  global
        .offset:         32
        .size:           8
        .value_kind:     global_buffer
      - .address_space:  global
        .offset:         40
        .size:           8
        .value_kind:     global_buffer
      - .offset:         48
        .size:           4
        .value_kind:     by_value
      - .offset:         52
        .size:           4
        .value_kind:     by_value
      - .offset:         56
        .size:           4
        .value_kind:     by_value
      - .offset:         60
        .size:           4
        .value_kind:     by_value
      - .offset:         64
        .size:           4
        .value_kind:     by_value
      - .offset:         68
        .size:           4
        .value_kind:     by_value
    .group_segment_fixed_size: 0
    .kernarg_segment_align: 8
    .kernarg_segment_size: 72
    .language:       OpenCL C
    .language_version:
      - 2
      - 0
    .max_flat_workgroup_size: 512
    .name:           _ZN4vllm3moe17topkGatingSoftmaxIfLi8ELi256ELi8ELi32ELb0ELi4ELNS0_23SharedExpertScoringFuncE1EEEvPKT_PKbPfiPiS9_iiiiii
    .private_segment_fixed_size: 0
    .sgpr_count:     29
    .sgpr_spill_count: 0
    .symbol:         _ZN4vllm3moe17topkGatingSoftmaxIfLi8ELi256ELi8ELi32ELb0ELi4ELNS0_23SharedExpertScoringFuncE1EEEvPKT_PKbPfiPiS9_iiiiii.kd
    .uniform_work_group_size: 1
    .uses_dynamic_stack: false
    .vgpr_count:     35
    .vgpr_spill_count: 0
    .wavefront_size: 64
  - .agpr_count:     0
    .args:
      - .address_space:  global
        .offset:         0
        .size:           8
        .value_kind:     global_buffer
      - .address_space:  global
        .offset:         8
        .size:           8
        .value_kind:     global_buffer
      - .address_space:  global
        .offset:         16
        .size:           8
        .value_kind:     global_buffer
      - .offset:         24
        .size:           4
        .value_kind:     by_value
      - .address_space:  global
        .offset:         32
        .size:           8
        .value_kind:     global_buffer
      - .address_space:  global
        .offset:         40
        .size:           8
        .value_kind:     global_buffer
      - .offset:         48
        .size:           4
        .value_kind:     by_value
      - .offset:         52
        .size:           4
        .value_kind:     by_value
      - .offset:         56
        .size:           4
        .value_kind:     by_value
      - .offset:         60
        .size:           4
        .value_kind:     by_value
      - .offset:         64
        .size:           4
        .value_kind:     by_value
      - .offset:         68
        .size:           4
        .value_kind:     by_value
    .group_segment_fixed_size: 0
    .kernarg_segment_align: 8
    .kernarg_segment_size: 72
    .language:       OpenCL C
    .language_version:
      - 2
      - 0
    .max_flat_workgroup_size: 512
    .name:           _ZN4vllm3moe17topkGatingSoftmaxIfLi8ELi256ELi8ELi32ELb1ELi8ELNS0_23SharedExpertScoringFuncE1EEEvPKT_PKbPfiPiS9_iiiiii
    .private_segment_fixed_size: 0
    .sgpr_count:     29
    .sgpr_spill_count: 0
    .symbol:         _ZN4vllm3moe17topkGatingSoftmaxIfLi8ELi256ELi8ELi32ELb1ELi8ELNS0_23SharedExpertScoringFuncE1EEEvPKT_PKbPfiPiS9_iiiiii.kd
    .uniform_work_group_size: 1
    .uses_dynamic_stack: false
    .vgpr_count:     35
    .vgpr_spill_count: 0
    .wavefront_size: 64
  - .agpr_count:     0
    .args:
      - .address_space:  global
        .offset:         0
        .size:           8
        .value_kind:     global_buffer
      - .address_space:  global
        .offset:         8
        .size:           8
        .value_kind:     global_buffer
      - .address_space:  global
        .offset:         16
        .size:           8
        .value_kind:     global_buffer
      - .offset:         24
        .size:           4
        .value_kind:     by_value
      - .address_space:  global
        .offset:         32
        .size:           8
        .value_kind:     global_buffer
      - .address_space:  global
        .offset:         40
        .size:           8
        .value_kind:     global_buffer
      - .offset:         48
        .size:           4
        .value_kind:     by_value
      - .offset:         52
        .size:           4
        .value_kind:     by_value
      - .offset:         56
        .size:           4
        .value_kind:     by_value
      - .offset:         60
        .size:           4
        .value_kind:     by_value
      - .offset:         64
        .size:           4
        .value_kind:     by_value
      - .offset:         68
        .size:           4
        .value_kind:     by_value
    .group_segment_fixed_size: 0
    .kernarg_segment_align: 8
    .kernarg_segment_size: 72
    .language:       OpenCL C
    .language_version:
      - 2
      - 0
    .max_flat_workgroup_size: 512
    .name:           _ZN4vllm3moe17topkGatingSoftmaxIfLi8ELi256ELi8ELi32ELb0ELi8ELNS0_23SharedExpertScoringFuncE1EEEvPKT_PKbPfiPiS9_iiiiii
    .private_segment_fixed_size: 0
    .sgpr_count:     29
    .sgpr_spill_count: 0
    .symbol:         _ZN4vllm3moe17topkGatingSoftmaxIfLi8ELi256ELi8ELi32ELb0ELi8ELNS0_23SharedExpertScoringFuncE1EEEvPKT_PKbPfiPiS9_iiiiii.kd
    .uniform_work_group_size: 1
    .uses_dynamic_stack: false
    .vgpr_count:     35
    .vgpr_spill_count: 0
    .wavefront_size: 64
  - .agpr_count:     0
    .args:
      - .address_space:  global
        .offset:         0
        .size:           8
        .value_kind:     global_buffer
      - .address_space:  global
        .offset:         8
        .size:           8
        .value_kind:     global_buffer
      - .address_space:  global
        .offset:         16
        .size:           8
        .value_kind:     global_buffer
      - .offset:         24
        .size:           4
        .value_kind:     by_value
      - .address_space:  global
        .offset:         32
        .size:           8
        .value_kind:     global_buffer
      - .address_space:  global
        .offset:         40
        .size:           8
        .value_kind:     global_buffer
      - .offset:         48
        .size:           4
        .value_kind:     by_value
      - .offset:         52
        .size:           4
        .value_kind:     by_value
      - .offset:         56
        .size:           4
        .value_kind:     by_value
      - .offset:         60
        .size:           4
        .value_kind:     by_value
      - .offset:         64
        .size:           4
        .value_kind:     by_value
      - .offset:         68
        .size:           4
        .value_kind:     by_value
    .group_segment_fixed_size: 0
    .kernarg_segment_align: 8
    .kernarg_segment_size: 72
    .language:       OpenCL C
    .language_version:
      - 2
      - 0
    .max_flat_workgroup_size: 128
    .name:           _ZN4vllm3moe17topkGatingSoftmaxIfLi16ELi512ELi2ELi64ELb1ELi0ELNS0_23SharedExpertScoringFuncE0EEEvPKT_PKbPfiPiS9_iiiiii
    .private_segment_fixed_size: 0
    .sgpr_count:     29
    .sgpr_spill_count: 0
    .symbol:         _ZN4vllm3moe17topkGatingSoftmaxIfLi16ELi512ELi2ELi64ELb1ELi0ELNS0_23SharedExpertScoringFuncE0EEEvPKT_PKbPfiPiS9_iiiiii.kd
    .uniform_work_group_size: 1
    .uses_dynamic_stack: false
    .vgpr_count:     51
    .vgpr_spill_count: 0
    .wavefront_size: 64
  - .agpr_count:     0
    .args:
      - .address_space:  global
        .offset:         0
        .size:           8
        .value_kind:     global_buffer
      - .address_space:  global
        .offset:         8
        .size:           8
        .value_kind:     global_buffer
      - .address_space:  global
        .offset:         16
        .size:           8
        .value_kind:     global_buffer
      - .offset:         24
        .size:           4
        .value_kind:     by_value
      - .address_space:  global
        .offset:         32
        .size:           8
        .value_kind:     global_buffer
      - .address_space:  global
        .offset:         40
        .size:           8
        .value_kind:     global_buffer
      - .offset:         48
        .size:           4
        .value_kind:     by_value
      - .offset:         52
        .size:           4
        .value_kind:     by_value
      - .offset:         56
        .size:           4
        .value_kind:     by_value
      - .offset:         60
        .size:           4
        .value_kind:     by_value
      - .offset:         64
        .size:           4
        .value_kind:     by_value
      - .offset:         68
        .size:           4
        .value_kind:     by_value
    .group_segment_fixed_size: 0
    .kernarg_segment_align: 8
    .kernarg_segment_size: 72
    .language:       OpenCL C
    .language_version:
      - 2
      - 0
    .max_flat_workgroup_size: 128
    .name:           _ZN4vllm3moe17topkGatingSoftmaxIfLi16ELi512ELi2ELi64ELb0ELi0ELNS0_23SharedExpertScoringFuncE0EEEvPKT_PKbPfiPiS9_iiiiii
    .private_segment_fixed_size: 0
    .sgpr_count:     29
    .sgpr_spill_count: 0
    .symbol:         _ZN4vllm3moe17topkGatingSoftmaxIfLi16ELi512ELi2ELi64ELb0ELi0ELNS0_23SharedExpertScoringFuncE0EEEvPKT_PKbPfiPiS9_iiiiii.kd
    .uniform_work_group_size: 1
    .uses_dynamic_stack: false
    .vgpr_count:     51
    .vgpr_spill_count: 0
    .wavefront_size: 64
  - .agpr_count:     0
    .args:
      - .address_space:  global
        .offset:         0
        .size:           8
        .value_kind:     global_buffer
      - .address_space:  global
        .offset:         8
        .size:           8
        .value_kind:     global_buffer
      - .address_space:  global
        .offset:         16
        .size:           8
        .value_kind:     global_buffer
      - .offset:         24
        .size:           4
        .value_kind:     by_value
      - .address_space:  global
        .offset:         32
        .size:           8
        .value_kind:     global_buffer
      - .address_space:  global
        .offset:         40
        .size:           8
        .value_kind:     global_buffer
      - .offset:         48
        .size:           4
        .value_kind:     by_value
      - .offset:         52
        .size:           4
        .value_kind:     by_value
      - .offset:         56
        .size:           4
        .value_kind:     by_value
      - .offset:         60
        .size:           4
        .value_kind:     by_value
      - .offset:         64
        .size:           4
        .value_kind:     by_value
      - .offset:         68
        .size:           4
        .value_kind:     by_value
    .group_segment_fixed_size: 0
    .kernarg_segment_align: 8
    .kernarg_segment_size: 72
    .language:       OpenCL C
    .language_version:
      - 2
      - 0
    .max_flat_workgroup_size: 128
    .name:           _ZN4vllm3moe17topkGatingSoftmaxIfLi16ELi512ELi2ELi64ELb1ELi1ELNS0_23SharedExpertScoringFuncE1EEEvPKT_PKbPfiPiS9_iiiiii
    .private_segment_fixed_size: 0
    .sgpr_count:     29
    .sgpr_spill_count: 0
    .symbol:         _ZN4vllm3moe17topkGatingSoftmaxIfLi16ELi512ELi2ELi64ELb1ELi1ELNS0_23SharedExpertScoringFuncE1EEEvPKT_PKbPfiPiS9_iiiiii.kd
    .uniform_work_group_size: 1
    .uses_dynamic_stack: false
    .vgpr_count:     51
    .vgpr_spill_count: 0
    .wavefront_size: 64
  - .agpr_count:     0
    .args:
      - .address_space:  global
        .offset:         0
        .size:           8
        .value_kind:     global_buffer
      - .address_space:  global
        .offset:         8
        .size:           8
        .value_kind:     global_buffer
      - .address_space:  global
        .offset:         16
        .size:           8
        .value_kind:     global_buffer
      - .offset:         24
        .size:           4
        .value_kind:     by_value
      - .address_space:  global
        .offset:         32
        .size:           8
        .value_kind:     global_buffer
      - .address_space:  global
        .offset:         40
        .size:           8
        .value_kind:     global_buffer
      - .offset:         48
        .size:           4
        .value_kind:     by_value
      - .offset:         52
        .size:           4
        .value_kind:     by_value
      - .offset:         56
        .size:           4
        .value_kind:     by_value
      - .offset:         60
        .size:           4
        .value_kind:     by_value
      - .offset:         64
        .size:           4
        .value_kind:     by_value
      - .offset:         68
        .size:           4
        .value_kind:     by_value
    .group_segment_fixed_size: 0
    .kernarg_segment_align: 8
    .kernarg_segment_size: 72
    .language:       OpenCL C
    .language_version:
      - 2
      - 0
    .max_flat_workgroup_size: 128
    .name:           _ZN4vllm3moe17topkGatingSoftmaxIfLi16ELi512ELi2ELi64ELb0ELi1ELNS0_23SharedExpertScoringFuncE1EEEvPKT_PKbPfiPiS9_iiiiii
    .private_segment_fixed_size: 0
    .sgpr_count:     29
    .sgpr_spill_count: 0
    .symbol:         _ZN4vllm3moe17topkGatingSoftmaxIfLi16ELi512ELi2ELi64ELb0ELi1ELNS0_23SharedExpertScoringFuncE1EEEvPKT_PKbPfiPiS9_iiiiii.kd
    .uniform_work_group_size: 1
    .uses_dynamic_stack: false
    .vgpr_count:     51
    .vgpr_spill_count: 0
    .wavefront_size: 64
  - .agpr_count:     0
    .args:
      - .address_space:  global
        .offset:         0
        .size:           8
        .value_kind:     global_buffer
      - .address_space:  global
        .offset:         8
        .size:           8
        .value_kind:     global_buffer
      - .address_space:  global
        .offset:         16
        .size:           8
        .value_kind:     global_buffer
      - .offset:         24
        .size:           4
        .value_kind:     by_value
      - .address_space:  global
        .offset:         32
        .size:           8
        .value_kind:     global_buffer
      - .address_space:  global
        .offset:         40
        .size:           8
        .value_kind:     global_buffer
      - .offset:         48
        .size:           4
        .value_kind:     by_value
      - .offset:         52
        .size:           4
        .value_kind:     by_value
      - .offset:         56
        .size:           4
        .value_kind:     by_value
      - .offset:         60
        .size:           4
        .value_kind:     by_value
      - .offset:         64
        .size:           4
        .value_kind:     by_value
      - .offset:         68
        .size:           4
        .value_kind:     by_value
    .group_segment_fixed_size: 0
    .kernarg_segment_align: 8
    .kernarg_segment_size: 72
    .language:       OpenCL C
    .language_version:
      - 2
      - 0
    .max_flat_workgroup_size: 128
    .name:           _ZN4vllm3moe17topkGatingSoftmaxIfLi16ELi512ELi2ELi64ELb1ELi2ELNS0_23SharedExpertScoringFuncE1EEEvPKT_PKbPfiPiS9_iiiiii
    .private_segment_fixed_size: 0
    .sgpr_count:     29
    .sgpr_spill_count: 0
    .symbol:         _ZN4vllm3moe17topkGatingSoftmaxIfLi16ELi512ELi2ELi64ELb1ELi2ELNS0_23SharedExpertScoringFuncE1EEEvPKT_PKbPfiPiS9_iiiiii.kd
    .uniform_work_group_size: 1
    .uses_dynamic_stack: false
    .vgpr_count:     51
    .vgpr_spill_count: 0
    .wavefront_size: 64
  - .agpr_count:     0
    .args:
      - .address_space:  global
        .offset:         0
        .size:           8
        .value_kind:     global_buffer
      - .address_space:  global
        .offset:         8
        .size:           8
        .value_kind:     global_buffer
      - .address_space:  global
        .offset:         16
        .size:           8
        .value_kind:     global_buffer
      - .offset:         24
        .size:           4
        .value_kind:     by_value
      - .address_space:  global
        .offset:         32
        .size:           8
        .value_kind:     global_buffer
      - .address_space:  global
        .offset:         40
        .size:           8
        .value_kind:     global_buffer
      - .offset:         48
        .size:           4
        .value_kind:     by_value
      - .offset:         52
        .size:           4
        .value_kind:     by_value
      - .offset:         56
        .size:           4
        .value_kind:     by_value
      - .offset:         60
        .size:           4
        .value_kind:     by_value
      - .offset:         64
        .size:           4
        .value_kind:     by_value
      - .offset:         68
        .size:           4
        .value_kind:     by_value
    .group_segment_fixed_size: 0
    .kernarg_segment_align: 8
    .kernarg_segment_size: 72
    .language:       OpenCL C
    .language_version:
      - 2
      - 0
    .max_flat_workgroup_size: 128
    .name:           _ZN4vllm3moe17topkGatingSoftmaxIfLi16ELi512ELi2ELi64ELb0ELi2ELNS0_23SharedExpertScoringFuncE1EEEvPKT_PKbPfiPiS9_iiiiii
    .private_segment_fixed_size: 0
    .sgpr_count:     29
    .sgpr_spill_count: 0
    .symbol:         _ZN4vllm3moe17topkGatingSoftmaxIfLi16ELi512ELi2ELi64ELb0ELi2ELNS0_23SharedExpertScoringFuncE1EEEvPKT_PKbPfiPiS9_iiiiii.kd
    .uniform_work_group_size: 1
    .uses_dynamic_stack: false
    .vgpr_count:     51
    .vgpr_spill_count: 0
    .wavefront_size: 64
  - .agpr_count:     0
    .args:
      - .address_space:  global
        .offset:         0
        .size:           8
        .value_kind:     global_buffer
      - .address_space:  global
        .offset:         8
        .size:           8
        .value_kind:     global_buffer
      - .address_space:  global
        .offset:         16
        .size:           8
        .value_kind:     global_buffer
      - .offset:         24
        .size:           4
        .value_kind:     by_value
      - .address_space:  global
        .offset:         32
        .size:           8
        .value_kind:     global_buffer
      - .address_space:  global
        .offset:         40
        .size:           8
        .value_kind:     global_buffer
      - .offset:         48
        .size:           4
        .value_kind:     by_value
      - .offset:         52
        .size:           4
        .value_kind:     by_value
      - .offset:         56
        .size:           4
        .value_kind:     by_value
      - .offset:         60
        .size:           4
        .value_kind:     by_value
      - .offset:         64
        .size:           4
        .value_kind:     by_value
      - .offset:         68
        .size:           4
        .value_kind:     by_value
    .group_segment_fixed_size: 0
    .kernarg_segment_align: 8
    .kernarg_segment_size: 72
    .language:       OpenCL C
    .language_version:
      - 2
      - 0
    .max_flat_workgroup_size: 128
    .name:           _ZN4vllm3moe17topkGatingSoftmaxIfLi16ELi512ELi2ELi64ELb1ELi4ELNS0_23SharedExpertScoringFuncE1EEEvPKT_PKbPfiPiS9_iiiiii
    .private_segment_fixed_size: 0
    .sgpr_count:     29
    .sgpr_spill_count: 0
    .symbol:         _ZN4vllm3moe17topkGatingSoftmaxIfLi16ELi512ELi2ELi64ELb1ELi4ELNS0_23SharedExpertScoringFuncE1EEEvPKT_PKbPfiPiS9_iiiiii.kd
    .uniform_work_group_size: 1
    .uses_dynamic_stack: false
    .vgpr_count:     51
    .vgpr_spill_count: 0
    .wavefront_size: 64
  - .agpr_count:     0
    .args:
      - .address_space:  global
        .offset:         0
        .size:           8
        .value_kind:     global_buffer
      - .address_space:  global
        .offset:         8
        .size:           8
        .value_kind:     global_buffer
      - .address_space:  global
        .offset:         16
        .size:           8
        .value_kind:     global_buffer
      - .offset:         24
        .size:           4
        .value_kind:     by_value
      - .address_space:  global
        .offset:         32
        .size:           8
        .value_kind:     global_buffer
      - .address_space:  global
        .offset:         40
        .size:           8
        .value_kind:     global_buffer
      - .offset:         48
        .size:           4
        .value_kind:     by_value
      - .offset:         52
        .size:           4
        .value_kind:     by_value
      - .offset:         56
        .size:           4
        .value_kind:     by_value
      - .offset:         60
        .size:           4
        .value_kind:     by_value
      - .offset:         64
        .size:           4
        .value_kind:     by_value
      - .offset:         68
        .size:           4
        .value_kind:     by_value
    .group_segment_fixed_size: 0
    .kernarg_segment_align: 8
    .kernarg_segment_size: 72
    .language:       OpenCL C
    .language_version:
      - 2
      - 0
    .max_flat_workgroup_size: 128
    .name:           _ZN4vllm3moe17topkGatingSoftmaxIfLi16ELi512ELi2ELi64ELb0ELi4ELNS0_23SharedExpertScoringFuncE1EEEvPKT_PKbPfiPiS9_iiiiii
    .private_segment_fixed_size: 0
    .sgpr_count:     29
    .sgpr_spill_count: 0
    .symbol:         _ZN4vllm3moe17topkGatingSoftmaxIfLi16ELi512ELi2ELi64ELb0ELi4ELNS0_23SharedExpertScoringFuncE1EEEvPKT_PKbPfiPiS9_iiiiii.kd
    .uniform_work_group_size: 1
    .uses_dynamic_stack: false
    .vgpr_count:     51
    .vgpr_spill_count: 0
    .wavefront_size: 64
  - .agpr_count:     0
    .args:
      - .address_space:  global
        .offset:         0
        .size:           8
        .value_kind:     global_buffer
      - .address_space:  global
        .offset:         8
        .size:           8
        .value_kind:     global_buffer
      - .address_space:  global
        .offset:         16
        .size:           8
        .value_kind:     global_buffer
      - .offset:         24
        .size:           4
        .value_kind:     by_value
      - .address_space:  global
        .offset:         32
        .size:           8
        .value_kind:     global_buffer
      - .address_space:  global
        .offset:         40
        .size:           8
        .value_kind:     global_buffer
      - .offset:         48
        .size:           4
        .value_kind:     by_value
      - .offset:         52
        .size:           4
        .value_kind:     by_value
      - .offset:         56
        .size:           4
        .value_kind:     by_value
      - .offset:         60
        .size:           4
        .value_kind:     by_value
      - .offset:         64
        .size:           4
        .value_kind:     by_value
      - .offset:         68
        .size:           4
        .value_kind:     by_value
    .group_segment_fixed_size: 0
    .kernarg_segment_align: 8
    .kernarg_segment_size: 72
    .language:       OpenCL C
    .language_version:
      - 2
      - 0
    .max_flat_workgroup_size: 128
    .name:           _ZN4vllm3moe17topkGatingSoftmaxIfLi16ELi512ELi2ELi64ELb1ELi8ELNS0_23SharedExpertScoringFuncE1EEEvPKT_PKbPfiPiS9_iiiiii
    .private_segment_fixed_size: 0
    .sgpr_count:     29
    .sgpr_spill_count: 0
    .symbol:         _ZN4vllm3moe17topkGatingSoftmaxIfLi16ELi512ELi2ELi64ELb1ELi8ELNS0_23SharedExpertScoringFuncE1EEEvPKT_PKbPfiPiS9_iiiiii.kd
    .uniform_work_group_size: 1
    .uses_dynamic_stack: false
    .vgpr_count:     51
    .vgpr_spill_count: 0
    .wavefront_size: 64
  - .agpr_count:     0
    .args:
      - .address_space:  global
        .offset:         0
        .size:           8
        .value_kind:     global_buffer
      - .address_space:  global
        .offset:         8
        .size:           8
        .value_kind:     global_buffer
      - .address_space:  global
        .offset:         16
        .size:           8
        .value_kind:     global_buffer
      - .offset:         24
        .size:           4
        .value_kind:     by_value
      - .address_space:  global
        .offset:         32
        .size:           8
        .value_kind:     global_buffer
      - .address_space:  global
        .offset:         40
        .size:           8
        .value_kind:     global_buffer
      - .offset:         48
        .size:           4
        .value_kind:     by_value
      - .offset:         52
        .size:           4
        .value_kind:     by_value
      - .offset:         56
        .size:           4
        .value_kind:     by_value
      - .offset:         60
        .size:           4
        .value_kind:     by_value
      - .offset:         64
        .size:           4
        .value_kind:     by_value
      - .offset:         68
        .size:           4
        .value_kind:     by_value
    .group_segment_fixed_size: 0
    .kernarg_segment_align: 8
    .kernarg_segment_size: 72
    .language:       OpenCL C
    .language_version:
      - 2
      - 0
    .max_flat_workgroup_size: 128
    .name:           _ZN4vllm3moe17topkGatingSoftmaxIfLi16ELi512ELi2ELi64ELb0ELi8ELNS0_23SharedExpertScoringFuncE1EEEvPKT_PKbPfiPiS9_iiiiii
    .private_segment_fixed_size: 0
    .sgpr_count:     29
    .sgpr_spill_count: 0
    .symbol:         _ZN4vllm3moe17topkGatingSoftmaxIfLi16ELi512ELi2ELi64ELb0ELi8ELNS0_23SharedExpertScoringFuncE1EEEvPKT_PKbPfiPiS9_iiiiii.kd
    .uniform_work_group_size: 1
    .uses_dynamic_stack: false
    .vgpr_count:     51
    .vgpr_spill_count: 0
    .wavefront_size: 64
  - .agpr_count:     0
    .args:
      - .address_space:  global
        .offset:         0
        .size:           8
        .value_kind:     global_buffer
      - .address_space:  global
        .offset:         8
        .size:           8
        .value_kind:     global_buffer
      - .address_space:  global
        .offset:         16
        .size:           8
        .value_kind:     global_buffer
      - .offset:         24
        .size:           4
        .value_kind:     by_value
    .group_segment_fixed_size: 24
    .kernarg_segment_align: 8
    .kernarg_segment_size: 28
    .language:       OpenCL C
    .language_version:
      - 2
      - 0
    .max_flat_workgroup_size: 256
    .name:           _ZN4vllm3moe10moeSoftmaxIfLi256EEEvPKT_PKbPfi
    .private_segment_fixed_size: 0
    .sgpr_count:     24
    .sgpr_spill_count: 0
    .symbol:         _ZN4vllm3moe10moeSoftmaxIfLi256EEEvPKT_PKbPfi.kd
    .uniform_work_group_size: 1
    .uses_dynamic_stack: false
    .vgpr_count:     17
    .vgpr_spill_count: 0
    .wavefront_size: 64
  - .agpr_count:     0
    .args:
      - .address_space:  global
        .offset:         0
        .size:           8
        .value_kind:     global_buffer
      - .address_space:  global
        .offset:         8
        .size:           8
        .value_kind:     global_buffer
      - .address_space:  global
        .offset:         16
        .size:           8
        .value_kind:     global_buffer
      - .address_space:  global
        .offset:         24
        .size:           8
        .value_kind:     global_buffer
      - .address_space:  global
        .offset:         32
        .size:           8
        .value_kind:     global_buffer
      - .offset:         40
        .size:           4
        .value_kind:     by_value
      - .offset:         44
        .size:           4
        .value_kind:     by_value
      - .offset:         48
        .size:           4
        .value_kind:     by_value
      - .offset:         52
        .size:           4
        .value_kind:     by_value
      - .offset:         56
        .size:           1
        .value_kind:     by_value
      - .offset:         64
        .size:           4
        .value_kind:     hidden_block_count_x
      - .offset:         68
        .size:           4
        .value_kind:     hidden_block_count_y
      - .offset:         72
        .size:           4
        .value_kind:     hidden_block_count_z
      - .offset:         76
        .size:           2
        .value_kind:     hidden_group_size_x
      - .offset:         78
        .size:           2
        .value_kind:     hidden_group_size_y
      - .offset:         80
        .size:           2
        .value_kind:     hidden_group_size_z
      - .offset:         82
        .size:           2
        .value_kind:     hidden_remainder_x
      - .offset:         84
        .size:           2
        .value_kind:     hidden_remainder_y
      - .offset:         86
        .size:           2
        .value_kind:     hidden_remainder_z
      - .offset:         104
        .size:           8
        .value_kind:     hidden_global_offset_x
      - .offset:         112
        .size:           8
        .value_kind:     hidden_global_offset_y
      - .offset:         120
        .size:           8
        .value_kind:     hidden_global_offset_z
      - .offset:         128
        .size:           2
        .value_kind:     hidden_grid_dims
      - .offset:         144
        .size:           8
        .value_kind:     hidden_hostcall_buffer
    .group_segment_fixed_size: 32
    .kernarg_segment_align: 8
    .kernarg_segment_size: 320
    .language:       OpenCL C
    .language_version:
      - 2
      - 0
    .max_flat_workgroup_size: 256
    .name:           _ZN4vllm3moe7moeTopKILi256EEEvPKfPKbPfPiS7_iiiib
    .private_segment_fixed_size: 64
    .sgpr_count:     61
    .sgpr_spill_count: 0
    .symbol:         _ZN4vllm3moe7moeTopKILi256EEEvPKfPKbPfPiS7_iiiib.kd
    .uniform_work_group_size: 1
    .uses_dynamic_stack: false
    .vgpr_count:     39
    .vgpr_spill_count: 0
    .wavefront_size: 64
  - .agpr_count:     0
    .args:
      - .address_space:  global
        .offset:         0
        .size:           8
        .value_kind:     global_buffer
      - .address_space:  global
        .offset:         8
        .size:           8
        .value_kind:     global_buffer
      - .offset:         16
        .size:           4
        .value_kind:     by_value
      - .offset:         20
        .size:           4
        .value_kind:     by_value
      - .offset:         24
        .size:           4
        .value_kind:     by_value
      - .offset:         28
        .size:           4
        .value_kind:     by_value
      - .offset:         32
        .size:           4
        .value_kind:     by_value
    .group_segment_fixed_size: 0
    .kernarg_segment_align: 8
    .kernarg_segment_size: 36
    .language:       OpenCL C
    .language_version:
      - 2
      - 0
    .max_flat_workgroup_size: 256
    .name:           _ZN4vllm3moe24applySharedExpertSigmoidIfLi256EEEvPKT_Pfiiiii
    .private_segment_fixed_size: 0
    .sgpr_count:     16
    .sgpr_spill_count: 0
    .symbol:         _ZN4vllm3moe24applySharedExpertSigmoidIfLi256EEEvPKT_Pfiiiii.kd
    .uniform_work_group_size: 1
    .uses_dynamic_stack: false
    .vgpr_count:     11
    .vgpr_spill_count: 0
    .wavefront_size: 64
  - .agpr_count:     0
    .args:
      - .address_space:  global
        .offset:         0
        .size:           8
        .value_kind:     global_buffer
      - .address_space:  global
        .offset:         8
        .size:           8
        .value_kind:     global_buffer
      - .address_space:  global
        .offset:         16
        .size:           8
        .value_kind:     global_buffer
      - .offset:         24
        .size:           4
        .value_kind:     by_value
      - .address_space:  global
        .offset:         32
        .size:           8
        .value_kind:     global_buffer
      - .address_space:  global
        .offset:         40
        .size:           8
        .value_kind:     global_buffer
      - .offset:         48
        .size:           4
        .value_kind:     by_value
      - .offset:         52
        .size:           4
        .value_kind:     by_value
      - .offset:         56
        .size:           4
        .value_kind:     by_value
      - .offset:         60
        .size:           4
        .value_kind:     by_value
      - .offset:         64
        .size:           4
        .value_kind:     by_value
      - .offset:         68
        .size:           4
        .value_kind:     by_value
    .group_segment_fixed_size: 0
    .kernarg_segment_align: 8
    .kernarg_segment_size: 72
    .language:       OpenCL C
    .language_version:
      - 2
      - 0
    .max_flat_workgroup_size: 512
    .name:           _ZN4vllm3moe17topkGatingSoftmaxIDF16_Li1ELi1ELi8ELi2ELb1ELi0ELNS0_23SharedExpertScoringFuncE0EEEvPKT_PKbPfiPiS9_iiiiii
    .private_segment_fixed_size: 0
    .sgpr_count:     30
    .sgpr_spill_count: 0
    .symbol:         _ZN4vllm3moe17topkGatingSoftmaxIDF16_Li1ELi1ELi8ELi2ELb1ELi0ELNS0_23SharedExpertScoringFuncE0EEEvPKT_PKbPfiPiS9_iiiiii.kd
    .uniform_work_group_size: 1
    .uses_dynamic_stack: false
    .vgpr_count:     20
    .vgpr_spill_count: 0
    .wavefront_size: 64
  - .agpr_count:     0
    .args:
      - .address_space:  global
        .offset:         0
        .size:           8
        .value_kind:     global_buffer
      - .address_space:  global
        .offset:         8
        .size:           8
        .value_kind:     global_buffer
      - .address_space:  global
        .offset:         16
        .size:           8
        .value_kind:     global_buffer
      - .offset:         24
        .size:           4
        .value_kind:     by_value
      - .address_space:  global
        .offset:         32
        .size:           8
        .value_kind:     global_buffer
      - .address_space:  global
        .offset:         40
        .size:           8
        .value_kind:     global_buffer
      - .offset:         48
        .size:           4
        .value_kind:     by_value
      - .offset:         52
        .size:           4
        .value_kind:     by_value
      - .offset:         56
        .size:           4
        .value_kind:     by_value
      - .offset:         60
        .size:           4
        .value_kind:     by_value
      - .offset:         64
        .size:           4
        .value_kind:     by_value
      - .offset:         68
        .size:           4
        .value_kind:     by_value
    .group_segment_fixed_size: 0
    .kernarg_segment_align: 8
    .kernarg_segment_size: 72
    .language:       OpenCL C
    .language_version:
      - 2
      - 0
    .max_flat_workgroup_size: 512
    .name:           _ZN4vllm3moe17topkGatingSoftmaxIDF16_Li1ELi1ELi8ELi2ELb0ELi0ELNS0_23SharedExpertScoringFuncE0EEEvPKT_PKbPfiPiS9_iiiiii
    .private_segment_fixed_size: 0
    .sgpr_count:     26
    .sgpr_spill_count: 0
    .symbol:         _ZN4vllm3moe17topkGatingSoftmaxIDF16_Li1ELi1ELi8ELi2ELb0ELi0ELNS0_23SharedExpertScoringFuncE0EEEvPKT_PKbPfiPiS9_iiiiii.kd
    .uniform_work_group_size: 1
    .uses_dynamic_stack: false
    .vgpr_count:     17
    .vgpr_spill_count: 0
    .wavefront_size: 64
  - .agpr_count:     0
    .args:
      - .address_space:  global
        .offset:         0
        .size:           8
        .value_kind:     global_buffer
      - .address_space:  global
        .offset:         8
        .size:           8
        .value_kind:     global_buffer
      - .address_space:  global
        .offset:         16
        .size:           8
        .value_kind:     global_buffer
      - .offset:         24
        .size:           4
        .value_kind:     by_value
      - .address_space:  global
        .offset:         32
        .size:           8
        .value_kind:     global_buffer
      - .address_space:  global
        .offset:         40
        .size:           8
        .value_kind:     global_buffer
      - .offset:         48
        .size:           4
        .value_kind:     by_value
      - .offset:         52
        .size:           4
        .value_kind:     by_value
      - .offset:         56
        .size:           4
        .value_kind:     by_value
      - .offset:         60
        .size:           4
        .value_kind:     by_value
      - .offset:         64
        .size:           4
        .value_kind:     by_value
      - .offset:         68
        .size:           4
        .value_kind:     by_value
    .group_segment_fixed_size: 0
    .kernarg_segment_align: 8
    .kernarg_segment_size: 72
    .language:       OpenCL C
    .language_version:
      - 2
      - 0
    .max_flat_workgroup_size: 512
    .name:           _ZN4vllm3moe17topkGatingSoftmaxIDF16_Li1ELi1ELi8ELi2ELb1ELi1ELNS0_23SharedExpertScoringFuncE1EEEvPKT_PKbPfiPiS9_iiiiii
    .private_segment_fixed_size: 0
    .sgpr_count:     26
    .sgpr_spill_count: 0
    .symbol:         _ZN4vllm3moe17topkGatingSoftmaxIDF16_Li1ELi1ELi8ELi2ELb1ELi1ELNS0_23SharedExpertScoringFuncE1EEEvPKT_PKbPfiPiS9_iiiiii.kd
    .uniform_work_group_size: 1
    .uses_dynamic_stack: false
    .vgpr_count:     18
    .vgpr_spill_count: 0
    .wavefront_size: 64
  - .agpr_count:     0
    .args:
      - .address_space:  global
        .offset:         0
        .size:           8
        .value_kind:     global_buffer
      - .address_space:  global
        .offset:         8
        .size:           8
        .value_kind:     global_buffer
      - .address_space:  global
        .offset:         16
        .size:           8
        .value_kind:     global_buffer
      - .offset:         24
        .size:           4
        .value_kind:     by_value
      - .address_space:  global
        .offset:         32
        .size:           8
        .value_kind:     global_buffer
      - .address_space:  global
        .offset:         40
        .size:           8
        .value_kind:     global_buffer
      - .offset:         48
        .size:           4
        .value_kind:     by_value
      - .offset:         52
        .size:           4
        .value_kind:     by_value
      - .offset:         56
        .size:           4
        .value_kind:     by_value
      - .offset:         60
        .size:           4
        .value_kind:     by_value
      - .offset:         64
        .size:           4
        .value_kind:     by_value
      - .offset:         68
        .size:           4
        .value_kind:     by_value
    .group_segment_fixed_size: 0
    .kernarg_segment_align: 8
    .kernarg_segment_size: 72
    .language:       OpenCL C
    .language_version:
      - 2
      - 0
    .max_flat_workgroup_size: 512
    .name:           _ZN4vllm3moe17topkGatingSoftmaxIDF16_Li1ELi1ELi8ELi2ELb0ELi1ELNS0_23SharedExpertScoringFuncE1EEEvPKT_PKbPfiPiS9_iiiiii
    .private_segment_fixed_size: 0
    .sgpr_count:     26
    .sgpr_spill_count: 0
    .symbol:         _ZN4vllm3moe17topkGatingSoftmaxIDF16_Li1ELi1ELi8ELi2ELb0ELi1ELNS0_23SharedExpertScoringFuncE1EEEvPKT_PKbPfiPiS9_iiiiii.kd
    .uniform_work_group_size: 1
    .uses_dynamic_stack: false
    .vgpr_count:     18
    .vgpr_spill_count: 0
    .wavefront_size: 64
  - .agpr_count:     0
    .args:
      - .address_space:  global
        .offset:         0
        .size:           8
        .value_kind:     global_buffer
      - .address_space:  global
        .offset:         8
        .size:           8
        .value_kind:     global_buffer
      - .address_space:  global
        .offset:         16
        .size:           8
        .value_kind:     global_buffer
      - .offset:         24
        .size:           4
        .value_kind:     by_value
      - .address_space:  global
        .offset:         32
        .size:           8
        .value_kind:     global_buffer
      - .address_space:  global
        .offset:         40
        .size:           8
        .value_kind:     global_buffer
      - .offset:         48
        .size:           4
        .value_kind:     by_value
      - .offset:         52
        .size:           4
        .value_kind:     by_value
      - .offset:         56
        .size:           4
        .value_kind:     by_value
      - .offset:         60
        .size:           4
        .value_kind:     by_value
      - .offset:         64
        .size:           4
        .value_kind:     by_value
      - .offset:         68
        .size:           4
        .value_kind:     by_value
    .group_segment_fixed_size: 0
    .kernarg_segment_align: 8
    .kernarg_segment_size: 72
    .language:       OpenCL C
    .language_version:
      - 2
      - 0
    .max_flat_workgroup_size: 512
    .name:           _ZN4vllm3moe17topkGatingSoftmaxIDF16_Li1ELi1ELi8ELi2ELb1ELi2ELNS0_23SharedExpertScoringFuncE1EEEvPKT_PKbPfiPiS9_iiiiii
    .private_segment_fixed_size: 0
    .sgpr_count:     26
    .sgpr_spill_count: 0
    .symbol:         _ZN4vllm3moe17topkGatingSoftmaxIDF16_Li1ELi1ELi8ELi2ELb1ELi2ELNS0_23SharedExpertScoringFuncE1EEEvPKT_PKbPfiPiS9_iiiiii.kd
    .uniform_work_group_size: 1
    .uses_dynamic_stack: false
    .vgpr_count:     21
    .vgpr_spill_count: 0
    .wavefront_size: 64
  - .agpr_count:     0
    .args:
      - .address_space:  global
        .offset:         0
        .size:           8
        .value_kind:     global_buffer
      - .address_space:  global
        .offset:         8
        .size:           8
        .value_kind:     global_buffer
      - .address_space:  global
        .offset:         16
        .size:           8
        .value_kind:     global_buffer
      - .offset:         24
        .size:           4
        .value_kind:     by_value
      - .address_space:  global
        .offset:         32
        .size:           8
        .value_kind:     global_buffer
      - .address_space:  global
        .offset:         40
        .size:           8
        .value_kind:     global_buffer
      - .offset:         48
        .size:           4
        .value_kind:     by_value
      - .offset:         52
        .size:           4
        .value_kind:     by_value
      - .offset:         56
        .size:           4
        .value_kind:     by_value
      - .offset:         60
        .size:           4
        .value_kind:     by_value
      - .offset:         64
        .size:           4
        .value_kind:     by_value
      - .offset:         68
        .size:           4
        .value_kind:     by_value
    .group_segment_fixed_size: 0
    .kernarg_segment_align: 8
    .kernarg_segment_size: 72
    .language:       OpenCL C
    .language_version:
      - 2
      - 0
    .max_flat_workgroup_size: 512
    .name:           _ZN4vllm3moe17topkGatingSoftmaxIDF16_Li1ELi1ELi8ELi2ELb0ELi2ELNS0_23SharedExpertScoringFuncE1EEEvPKT_PKbPfiPiS9_iiiiii
    .private_segment_fixed_size: 0
    .sgpr_count:     26
    .sgpr_spill_count: 0
    .symbol:         _ZN4vllm3moe17topkGatingSoftmaxIDF16_Li1ELi1ELi8ELi2ELb0ELi2ELNS0_23SharedExpertScoringFuncE1EEEvPKT_PKbPfiPiS9_iiiiii.kd
    .uniform_work_group_size: 1
    .uses_dynamic_stack: false
    .vgpr_count:     21
    .vgpr_spill_count: 0
    .wavefront_size: 64
  - .agpr_count:     0
    .args:
      - .address_space:  global
        .offset:         0
        .size:           8
        .value_kind:     global_buffer
      - .address_space:  global
        .offset:         8
        .size:           8
        .value_kind:     global_buffer
      - .address_space:  global
        .offset:         16
        .size:           8
        .value_kind:     global_buffer
      - .offset:         24
        .size:           4
        .value_kind:     by_value
      - .address_space:  global
        .offset:         32
        .size:           8
        .value_kind:     global_buffer
      - .address_space:  global
        .offset:         40
        .size:           8
        .value_kind:     global_buffer
      - .offset:         48
        .size:           4
        .value_kind:     by_value
      - .offset:         52
        .size:           4
        .value_kind:     by_value
      - .offset:         56
        .size:           4
        .value_kind:     by_value
      - .offset:         60
        .size:           4
        .value_kind:     by_value
      - .offset:         64
        .size:           4
        .value_kind:     by_value
      - .offset:         68
        .size:           4
        .value_kind:     by_value
    .group_segment_fixed_size: 0
    .kernarg_segment_align: 8
    .kernarg_segment_size: 72
    .language:       OpenCL C
    .language_version:
      - 2
      - 0
    .max_flat_workgroup_size: 512
    .name:           _ZN4vllm3moe17topkGatingSoftmaxIDF16_Li1ELi1ELi8ELi2ELb1ELi4ELNS0_23SharedExpertScoringFuncE1EEEvPKT_PKbPfiPiS9_iiiiii
    .private_segment_fixed_size: 0
    .sgpr_count:     26
    .sgpr_spill_count: 0
    .symbol:         _ZN4vllm3moe17topkGatingSoftmaxIDF16_Li1ELi1ELi8ELi2ELb1ELi4ELNS0_23SharedExpertScoringFuncE1EEEvPKT_PKbPfiPiS9_iiiiii.kd
    .uniform_work_group_size: 1
    .uses_dynamic_stack: false
    .vgpr_count:     27
    .vgpr_spill_count: 0
    .wavefront_size: 64
  - .agpr_count:     0
    .args:
      - .address_space:  global
        .offset:         0
        .size:           8
        .value_kind:     global_buffer
      - .address_space:  global
        .offset:         8
        .size:           8
        .value_kind:     global_buffer
      - .address_space:  global
        .offset:         16
        .size:           8
        .value_kind:     global_buffer
      - .offset:         24
        .size:           4
        .value_kind:     by_value
      - .address_space:  global
        .offset:         32
        .size:           8
        .value_kind:     global_buffer
      - .address_space:  global
        .offset:         40
        .size:           8
        .value_kind:     global_buffer
      - .offset:         48
        .size:           4
        .value_kind:     by_value
      - .offset:         52
        .size:           4
        .value_kind:     by_value
      - .offset:         56
        .size:           4
        .value_kind:     by_value
      - .offset:         60
        .size:           4
        .value_kind:     by_value
      - .offset:         64
        .size:           4
        .value_kind:     by_value
      - .offset:         68
        .size:           4
        .value_kind:     by_value
    .group_segment_fixed_size: 0
    .kernarg_segment_align: 8
    .kernarg_segment_size: 72
    .language:       OpenCL C
    .language_version:
      - 2
      - 0
    .max_flat_workgroup_size: 512
    .name:           _ZN4vllm3moe17topkGatingSoftmaxIDF16_Li1ELi1ELi8ELi2ELb0ELi4ELNS0_23SharedExpertScoringFuncE1EEEvPKT_PKbPfiPiS9_iiiiii
    .private_segment_fixed_size: 0
    .sgpr_count:     26
    .sgpr_spill_count: 0
    .symbol:         _ZN4vllm3moe17topkGatingSoftmaxIDF16_Li1ELi1ELi8ELi2ELb0ELi4ELNS0_23SharedExpertScoringFuncE1EEEvPKT_PKbPfiPiS9_iiiiii.kd
    .uniform_work_group_size: 1
    .uses_dynamic_stack: false
    .vgpr_count:     27
    .vgpr_spill_count: 0
    .wavefront_size: 64
  - .agpr_count:     0
    .args:
      - .address_space:  global
        .offset:         0
        .size:           8
        .value_kind:     global_buffer
      - .address_space:  global
        .offset:         8
        .size:           8
        .value_kind:     global_buffer
      - .address_space:  global
        .offset:         16
        .size:           8
        .value_kind:     global_buffer
      - .offset:         24
        .size:           4
        .value_kind:     by_value
      - .address_space:  global
        .offset:         32
        .size:           8
        .value_kind:     global_buffer
      - .address_space:  global
        .offset:         40
        .size:           8
        .value_kind:     global_buffer
      - .offset:         48
        .size:           4
        .value_kind:     by_value
      - .offset:         52
        .size:           4
        .value_kind:     by_value
      - .offset:         56
        .size:           4
        .value_kind:     by_value
      - .offset:         60
        .size:           4
        .value_kind:     by_value
      - .offset:         64
        .size:           4
        .value_kind:     by_value
      - .offset:         68
        .size:           4
        .value_kind:     by_value
    .group_segment_fixed_size: 0
    .kernarg_segment_align: 8
    .kernarg_segment_size: 72
    .language:       OpenCL C
    .language_version:
      - 2
      - 0
    .max_flat_workgroup_size: 512
    .name:           _ZN4vllm3moe17topkGatingSoftmaxIDF16_Li1ELi1ELi8ELi2ELb1ELi8ELNS0_23SharedExpertScoringFuncE1EEEvPKT_PKbPfiPiS9_iiiiii
    .private_segment_fixed_size: 0
    .sgpr_count:     26
    .sgpr_spill_count: 0
    .symbol:         _ZN4vllm3moe17topkGatingSoftmaxIDF16_Li1ELi1ELi8ELi2ELb1ELi8ELNS0_23SharedExpertScoringFuncE1EEEvPKT_PKbPfiPiS9_iiiiii.kd
    .uniform_work_group_size: 1
    .uses_dynamic_stack: false
    .vgpr_count:     29
    .vgpr_spill_count: 0
    .wavefront_size: 64
  - .agpr_count:     0
    .args:
      - .address_space:  global
        .offset:         0
        .size:           8
        .value_kind:     global_buffer
      - .address_space:  global
        .offset:         8
        .size:           8
        .value_kind:     global_buffer
      - .address_space:  global
        .offset:         16
        .size:           8
        .value_kind:     global_buffer
      - .offset:         24
        .size:           4
        .value_kind:     by_value
      - .address_space:  global
        .offset:         32
        .size:           8
        .value_kind:     global_buffer
      - .address_space:  global
        .offset:         40
        .size:           8
        .value_kind:     global_buffer
      - .offset:         48
        .size:           4
        .value_kind:     by_value
      - .offset:         52
        .size:           4
        .value_kind:     by_value
      - .offset:         56
        .size:           4
        .value_kind:     by_value
      - .offset:         60
        .size:           4
        .value_kind:     by_value
      - .offset:         64
        .size:           4
        .value_kind:     by_value
      - .offset:         68
        .size:           4
        .value_kind:     by_value
    .group_segment_fixed_size: 0
    .kernarg_segment_align: 8
    .kernarg_segment_size: 72
    .language:       OpenCL C
    .language_version:
      - 2
      - 0
    .max_flat_workgroup_size: 512
    .name:           _ZN4vllm3moe17topkGatingSoftmaxIDF16_Li1ELi1ELi8ELi2ELb0ELi8ELNS0_23SharedExpertScoringFuncE1EEEvPKT_PKbPfiPiS9_iiiiii
    .private_segment_fixed_size: 0
    .sgpr_count:     26
    .sgpr_spill_count: 0
    .symbol:         _ZN4vllm3moe17topkGatingSoftmaxIDF16_Li1ELi1ELi8ELi2ELb0ELi8ELNS0_23SharedExpertScoringFuncE1EEEvPKT_PKbPfiPiS9_iiiiii.kd
    .uniform_work_group_size: 1
    .uses_dynamic_stack: false
    .vgpr_count:     29
    .vgpr_spill_count: 0
    .wavefront_size: 64
  - .agpr_count:     0
    .args:
      - .address_space:  global
        .offset:         0
        .size:           8
        .value_kind:     global_buffer
      - .address_space:  global
        .offset:         8
        .size:           8
        .value_kind:     global_buffer
      - .address_space:  global
        .offset:         16
        .size:           8
        .value_kind:     global_buffer
      - .offset:         24
        .size:           4
        .value_kind:     by_value
      - .address_space:  global
        .offset:         32
        .size:           8
        .value_kind:     global_buffer
      - .address_space:  global
        .offset:         40
        .size:           8
        .value_kind:     global_buffer
      - .offset:         48
        .size:           4
        .value_kind:     by_value
      - .offset:         52
        .size:           4
        .value_kind:     by_value
      - .offset:         56
        .size:           4
        .value_kind:     by_value
      - .offset:         60
        .size:           4
        .value_kind:     by_value
      - .offset:         64
        .size:           4
        .value_kind:     by_value
      - .offset:         68
        .size:           4
        .value_kind:     by_value
    .group_segment_fixed_size: 0
    .kernarg_segment_align: 8
    .kernarg_segment_size: 72
    .language:       OpenCL C
    .language_version:
      - 2
      - 0
    .max_flat_workgroup_size: 512
    .name:           _ZN4vllm3moe17topkGatingSoftmaxIDF16_Li2ELi2ELi8ELi4ELb1ELi0ELNS0_23SharedExpertScoringFuncE0EEEvPKT_PKbPfiPiS9_iiiiii
    .private_segment_fixed_size: 0
    .sgpr_count:     29
    .sgpr_spill_count: 0
    .symbol:         _ZN4vllm3moe17topkGatingSoftmaxIDF16_Li2ELi2ELi8ELi4ELb1ELi0ELNS0_23SharedExpertScoringFuncE0EEEvPKT_PKbPfiPiS9_iiiiii.kd
    .uniform_work_group_size: 1
    .uses_dynamic_stack: false
    .vgpr_count:     24
    .vgpr_spill_count: 0
    .wavefront_size: 64
  - .agpr_count:     0
    .args:
      - .address_space:  global
        .offset:         0
        .size:           8
        .value_kind:     global_buffer
      - .address_space:  global
        .offset:         8
        .size:           8
        .value_kind:     global_buffer
      - .address_space:  global
        .offset:         16
        .size:           8
        .value_kind:     global_buffer
      - .offset:         24
        .size:           4
        .value_kind:     by_value
      - .address_space:  global
        .offset:         32
        .size:           8
        .value_kind:     global_buffer
      - .address_space:  global
        .offset:         40
        .size:           8
        .value_kind:     global_buffer
      - .offset:         48
        .size:           4
        .value_kind:     by_value
      - .offset:         52
        .size:           4
        .value_kind:     by_value
      - .offset:         56
        .size:           4
        .value_kind:     by_value
      - .offset:         60
        .size:           4
        .value_kind:     by_value
      - .offset:         64
        .size:           4
        .value_kind:     by_value
      - .offset:         68
        .size:           4
        .value_kind:     by_value
    .group_segment_fixed_size: 0
    .kernarg_segment_align: 8
    .kernarg_segment_size: 72
    .language:       OpenCL C
    .language_version:
      - 2
      - 0
    .max_flat_workgroup_size: 512
    .name:           _ZN4vllm3moe17topkGatingSoftmaxIDF16_Li2ELi2ELi8ELi4ELb0ELi0ELNS0_23SharedExpertScoringFuncE0EEEvPKT_PKbPfiPiS9_iiiiii
    .private_segment_fixed_size: 0
    .sgpr_count:     30
    .sgpr_spill_count: 0
    .symbol:         _ZN4vllm3moe17topkGatingSoftmaxIDF16_Li2ELi2ELi8ELi4ELb0ELi0ELNS0_23SharedExpertScoringFuncE0EEEvPKT_PKbPfiPiS9_iiiiii.kd
    .uniform_work_group_size: 1
    .uses_dynamic_stack: false
    .vgpr_count:     19
    .vgpr_spill_count: 0
    .wavefront_size: 64
  - .agpr_count:     0
    .args:
      - .address_space:  global
        .offset:         0
        .size:           8
        .value_kind:     global_buffer
      - .address_space:  global
        .offset:         8
        .size:           8
        .value_kind:     global_buffer
      - .address_space:  global
        .offset:         16
        .size:           8
        .value_kind:     global_buffer
      - .offset:         24
        .size:           4
        .value_kind:     by_value
      - .address_space:  global
        .offset:         32
        .size:           8
        .value_kind:     global_buffer
      - .address_space:  global
        .offset:         40
        .size:           8
        .value_kind:     global_buffer
      - .offset:         48
        .size:           4
        .value_kind:     by_value
      - .offset:         52
        .size:           4
        .value_kind:     by_value
      - .offset:         56
        .size:           4
        .value_kind:     by_value
      - .offset:         60
        .size:           4
        .value_kind:     by_value
      - .offset:         64
        .size:           4
        .value_kind:     by_value
      - .offset:         68
        .size:           4
        .value_kind:     by_value
    .group_segment_fixed_size: 0
    .kernarg_segment_align: 8
    .kernarg_segment_size: 72
    .language:       OpenCL C
    .language_version:
      - 2
      - 0
    .max_flat_workgroup_size: 512
    .name:           _ZN4vllm3moe17topkGatingSoftmaxIDF16_Li2ELi2ELi8ELi4ELb1ELi1ELNS0_23SharedExpertScoringFuncE1EEEvPKT_PKbPfiPiS9_iiiiii
    .private_segment_fixed_size: 0
    .sgpr_count:     28
    .sgpr_spill_count: 0
    .symbol:         _ZN4vllm3moe17topkGatingSoftmaxIDF16_Li2ELi2ELi8ELi4ELb1ELi1ELNS0_23SharedExpertScoringFuncE1EEEvPKT_PKbPfiPiS9_iiiiii.kd
    .uniform_work_group_size: 1
    .uses_dynamic_stack: false
    .vgpr_count:     20
    .vgpr_spill_count: 0
    .wavefront_size: 64
  - .agpr_count:     0
    .args:
      - .address_space:  global
        .offset:         0
        .size:           8
        .value_kind:     global_buffer
      - .address_space:  global
        .offset:         8
        .size:           8
        .value_kind:     global_buffer
      - .address_space:  global
        .offset:         16
        .size:           8
        .value_kind:     global_buffer
      - .offset:         24
        .size:           4
        .value_kind:     by_value
      - .address_space:  global
        .offset:         32
        .size:           8
        .value_kind:     global_buffer
      - .address_space:  global
        .offset:         40
        .size:           8
        .value_kind:     global_buffer
      - .offset:         48
        .size:           4
        .value_kind:     by_value
      - .offset:         52
        .size:           4
        .value_kind:     by_value
      - .offset:         56
        .size:           4
        .value_kind:     by_value
      - .offset:         60
        .size:           4
        .value_kind:     by_value
      - .offset:         64
        .size:           4
        .value_kind:     by_value
      - .offset:         68
        .size:           4
        .value_kind:     by_value
    .group_segment_fixed_size: 0
    .kernarg_segment_align: 8
    .kernarg_segment_size: 72
    .language:       OpenCL C
    .language_version:
      - 2
      - 0
    .max_flat_workgroup_size: 512
    .name:           _ZN4vllm3moe17topkGatingSoftmaxIDF16_Li2ELi2ELi8ELi4ELb0ELi1ELNS0_23SharedExpertScoringFuncE1EEEvPKT_PKbPfiPiS9_iiiiii
    .private_segment_fixed_size: 0
    .sgpr_count:     30
    .sgpr_spill_count: 0
    .symbol:         _ZN4vllm3moe17topkGatingSoftmaxIDF16_Li2ELi2ELi8ELi4ELb0ELi1ELNS0_23SharedExpertScoringFuncE1EEEvPKT_PKbPfiPiS9_iiiiii.kd
    .uniform_work_group_size: 1
    .uses_dynamic_stack: false
    .vgpr_count:     21
    .vgpr_spill_count: 0
    .wavefront_size: 64
  - .agpr_count:     0
    .args:
      - .address_space:  global
        .offset:         0
        .size:           8
        .value_kind:     global_buffer
      - .address_space:  global
        .offset:         8
        .size:           8
        .value_kind:     global_buffer
      - .address_space:  global
        .offset:         16
        .size:           8
        .value_kind:     global_buffer
      - .offset:         24
        .size:           4
        .value_kind:     by_value
      - .address_space:  global
        .offset:         32
        .size:           8
        .value_kind:     global_buffer
      - .address_space:  global
        .offset:         40
        .size:           8
        .value_kind:     global_buffer
      - .offset:         48
        .size:           4
        .value_kind:     by_value
      - .offset:         52
        .size:           4
        .value_kind:     by_value
      - .offset:         56
        .size:           4
        .value_kind:     by_value
      - .offset:         60
        .size:           4
        .value_kind:     by_value
      - .offset:         64
        .size:           4
        .value_kind:     by_value
      - .offset:         68
        .size:           4
        .value_kind:     by_value
    .group_segment_fixed_size: 0
    .kernarg_segment_align: 8
    .kernarg_segment_size: 72
    .language:       OpenCL C
    .language_version:
      - 2
      - 0
    .max_flat_workgroup_size: 512
    .name:           _ZN4vllm3moe17topkGatingSoftmaxIDF16_Li2ELi2ELi8ELi4ELb1ELi2ELNS0_23SharedExpertScoringFuncE1EEEvPKT_PKbPfiPiS9_iiiiii
    .private_segment_fixed_size: 0
    .sgpr_count:     28
    .sgpr_spill_count: 0
    .symbol:         _ZN4vllm3moe17topkGatingSoftmaxIDF16_Li2ELi2ELi8ELi4ELb1ELi2ELNS0_23SharedExpertScoringFuncE1EEEvPKT_PKbPfiPiS9_iiiiii.kd
    .uniform_work_group_size: 1
    .uses_dynamic_stack: false
    .vgpr_count:     21
    .vgpr_spill_count: 0
    .wavefront_size: 64
  - .agpr_count:     0
    .args:
      - .address_space:  global
        .offset:         0
        .size:           8
        .value_kind:     global_buffer
      - .address_space:  global
        .offset:         8
        .size:           8
        .value_kind:     global_buffer
      - .address_space:  global
        .offset:         16
        .size:           8
        .value_kind:     global_buffer
      - .offset:         24
        .size:           4
        .value_kind:     by_value
      - .address_space:  global
        .offset:         32
        .size:           8
        .value_kind:     global_buffer
      - .address_space:  global
        .offset:         40
        .size:           8
        .value_kind:     global_buffer
      - .offset:         48
        .size:           4
        .value_kind:     by_value
      - .offset:         52
        .size:           4
        .value_kind:     by_value
      - .offset:         56
        .size:           4
        .value_kind:     by_value
      - .offset:         60
        .size:           4
        .value_kind:     by_value
      - .offset:         64
        .size:           4
        .value_kind:     by_value
      - .offset:         68
        .size:           4
        .value_kind:     by_value
    .group_segment_fixed_size: 0
    .kernarg_segment_align: 8
    .kernarg_segment_size: 72
    .language:       OpenCL C
    .language_version:
      - 2
      - 0
    .max_flat_workgroup_size: 512
    .name:           _ZN4vllm3moe17topkGatingSoftmaxIDF16_Li2ELi2ELi8ELi4ELb0ELi2ELNS0_23SharedExpertScoringFuncE1EEEvPKT_PKbPfiPiS9_iiiiii
    .private_segment_fixed_size: 0
    .sgpr_count:     30
    .sgpr_spill_count: 0
    .symbol:         _ZN4vllm3moe17topkGatingSoftmaxIDF16_Li2ELi2ELi8ELi4ELb0ELi2ELNS0_23SharedExpertScoringFuncE1EEEvPKT_PKbPfiPiS9_iiiiii.kd
    .uniform_work_group_size: 1
    .uses_dynamic_stack: false
    .vgpr_count:     23
    .vgpr_spill_count: 0
    .wavefront_size: 64
  - .agpr_count:     0
    .args:
      - .address_space:  global
        .offset:         0
        .size:           8
        .value_kind:     global_buffer
      - .address_space:  global
        .offset:         8
        .size:           8
        .value_kind:     global_buffer
      - .address_space:  global
        .offset:         16
        .size:           8
        .value_kind:     global_buffer
      - .offset:         24
        .size:           4
        .value_kind:     by_value
      - .address_space:  global
        .offset:         32
        .size:           8
        .value_kind:     global_buffer
      - .address_space:  global
        .offset:         40
        .size:           8
        .value_kind:     global_buffer
      - .offset:         48
        .size:           4
        .value_kind:     by_value
      - .offset:         52
        .size:           4
        .value_kind:     by_value
      - .offset:         56
        .size:           4
        .value_kind:     by_value
      - .offset:         60
        .size:           4
        .value_kind:     by_value
      - .offset:         64
        .size:           4
        .value_kind:     by_value
      - .offset:         68
        .size:           4
        .value_kind:     by_value
    .group_segment_fixed_size: 0
    .kernarg_segment_align: 8
    .kernarg_segment_size: 72
    .language:       OpenCL C
    .language_version:
      - 2
      - 0
    .max_flat_workgroup_size: 512
    .name:           _ZN4vllm3moe17topkGatingSoftmaxIDF16_Li2ELi2ELi8ELi4ELb1ELi4ELNS0_23SharedExpertScoringFuncE1EEEvPKT_PKbPfiPiS9_iiiiii
    .private_segment_fixed_size: 0
    .sgpr_count:     30
    .sgpr_spill_count: 0
    .symbol:         _ZN4vllm3moe17topkGatingSoftmaxIDF16_Li2ELi2ELi8ELi4ELb1ELi4ELNS0_23SharedExpertScoringFuncE1EEEvPKT_PKbPfiPiS9_iiiiii.kd
    .uniform_work_group_size: 1
    .uses_dynamic_stack: false
    .vgpr_count:     27
    .vgpr_spill_count: 0
    .wavefront_size: 64
  - .agpr_count:     0
    .args:
      - .address_space:  global
        .offset:         0
        .size:           8
        .value_kind:     global_buffer
      - .address_space:  global
        .offset:         8
        .size:           8
        .value_kind:     global_buffer
      - .address_space:  global
        .offset:         16
        .size:           8
        .value_kind:     global_buffer
      - .offset:         24
        .size:           4
        .value_kind:     by_value
      - .address_space:  global
        .offset:         32
        .size:           8
        .value_kind:     global_buffer
      - .address_space:  global
        .offset:         40
        .size:           8
        .value_kind:     global_buffer
      - .offset:         48
        .size:           4
        .value_kind:     by_value
      - .offset:         52
        .size:           4
        .value_kind:     by_value
      - .offset:         56
        .size:           4
        .value_kind:     by_value
      - .offset:         60
        .size:           4
        .value_kind:     by_value
      - .offset:         64
        .size:           4
        .value_kind:     by_value
      - .offset:         68
        .size:           4
        .value_kind:     by_value
    .group_segment_fixed_size: 0
    .kernarg_segment_align: 8
    .kernarg_segment_size: 72
    .language:       OpenCL C
    .language_version:
      - 2
      - 0
    .max_flat_workgroup_size: 512
    .name:           _ZN4vllm3moe17topkGatingSoftmaxIDF16_Li2ELi2ELi8ELi4ELb0ELi4ELNS0_23SharedExpertScoringFuncE1EEEvPKT_PKbPfiPiS9_iiiiii
    .private_segment_fixed_size: 0
    .sgpr_count:     30
    .sgpr_spill_count: 0
    .symbol:         _ZN4vllm3moe17topkGatingSoftmaxIDF16_Li2ELi2ELi8ELi4ELb0ELi4ELNS0_23SharedExpertScoringFuncE1EEEvPKT_PKbPfiPiS9_iiiiii.kd
    .uniform_work_group_size: 1
    .uses_dynamic_stack: false
    .vgpr_count:     29
    .vgpr_spill_count: 0
    .wavefront_size: 64
  - .agpr_count:     0
    .args:
      - .address_space:  global
        .offset:         0
        .size:           8
        .value_kind:     global_buffer
      - .address_space:  global
        .offset:         8
        .size:           8
        .value_kind:     global_buffer
      - .address_space:  global
        .offset:         16
        .size:           8
        .value_kind:     global_buffer
      - .offset:         24
        .size:           4
        .value_kind:     by_value
      - .address_space:  global
        .offset:         32
        .size:           8
        .value_kind:     global_buffer
      - .address_space:  global
        .offset:         40
        .size:           8
        .value_kind:     global_buffer
      - .offset:         48
        .size:           4
        .value_kind:     by_value
      - .offset:         52
        .size:           4
        .value_kind:     by_value
      - .offset:         56
        .size:           4
        .value_kind:     by_value
      - .offset:         60
        .size:           4
        .value_kind:     by_value
      - .offset:         64
        .size:           4
        .value_kind:     by_value
      - .offset:         68
        .size:           4
        .value_kind:     by_value
    .group_segment_fixed_size: 0
    .kernarg_segment_align: 8
    .kernarg_segment_size: 72
    .language:       OpenCL C
    .language_version:
      - 2
      - 0
    .max_flat_workgroup_size: 512
    .name:           _ZN4vllm3moe17topkGatingSoftmaxIDF16_Li2ELi2ELi8ELi4ELb1ELi8ELNS0_23SharedExpertScoringFuncE1EEEvPKT_PKbPfiPiS9_iiiiii
    .private_segment_fixed_size: 0
    .sgpr_count:     28
    .sgpr_spill_count: 0
    .symbol:         _ZN4vllm3moe17topkGatingSoftmaxIDF16_Li2ELi2ELi8ELi4ELb1ELi8ELNS0_23SharedExpertScoringFuncE1EEEvPKT_PKbPfiPiS9_iiiiii.kd
    .uniform_work_group_size: 1
    .uses_dynamic_stack: false
    .vgpr_count:     29
    .vgpr_spill_count: 0
    .wavefront_size: 64
  - .agpr_count:     0
    .args:
      - .address_space:  global
        .offset:         0
        .size:           8
        .value_kind:     global_buffer
      - .address_space:  global
        .offset:         8
        .size:           8
        .value_kind:     global_buffer
      - .address_space:  global
        .offset:         16
        .size:           8
        .value_kind:     global_buffer
      - .offset:         24
        .size:           4
        .value_kind:     by_value
      - .address_space:  global
        .offset:         32
        .size:           8
        .value_kind:     global_buffer
      - .address_space:  global
        .offset:         40
        .size:           8
        .value_kind:     global_buffer
      - .offset:         48
        .size:           4
        .value_kind:     by_value
      - .offset:         52
        .size:           4
        .value_kind:     by_value
      - .offset:         56
        .size:           4
        .value_kind:     by_value
      - .offset:         60
        .size:           4
        .value_kind:     by_value
      - .offset:         64
        .size:           4
        .value_kind:     by_value
      - .offset:         68
        .size:           4
        .value_kind:     by_value
    .group_segment_fixed_size: 0
    .kernarg_segment_align: 8
    .kernarg_segment_size: 72
    .language:       OpenCL C
    .language_version:
      - 2
      - 0
    .max_flat_workgroup_size: 512
    .name:           _ZN4vllm3moe17topkGatingSoftmaxIDF16_Li2ELi2ELi8ELi4ELb0ELi8ELNS0_23SharedExpertScoringFuncE1EEEvPKT_PKbPfiPiS9_iiiiii
    .private_segment_fixed_size: 0
    .sgpr_count:     30
    .sgpr_spill_count: 0
    .symbol:         _ZN4vllm3moe17topkGatingSoftmaxIDF16_Li2ELi2ELi8ELi4ELb0ELi8ELNS0_23SharedExpertScoringFuncE1EEEvPKT_PKbPfiPiS9_iiiiii.kd
    .uniform_work_group_size: 1
    .uses_dynamic_stack: false
    .vgpr_count:     31
    .vgpr_spill_count: 0
    .wavefront_size: 64
  - .agpr_count:     0
    .args:
      - .address_space:  global
        .offset:         0
        .size:           8
        .value_kind:     global_buffer
      - .address_space:  global
        .offset:         8
        .size:           8
        .value_kind:     global_buffer
      - .address_space:  global
        .offset:         16
        .size:           8
        .value_kind:     global_buffer
      - .offset:         24
        .size:           4
        .value_kind:     by_value
      - .address_space:  global
        .offset:         32
        .size:           8
        .value_kind:     global_buffer
      - .address_space:  global
        .offset:         40
        .size:           8
        .value_kind:     global_buffer
      - .offset:         48
        .size:           4
        .value_kind:     by_value
      - .offset:         52
        .size:           4
        .value_kind:     by_value
      - .offset:         56
        .size:           4
        .value_kind:     by_value
      - .offset:         60
        .size:           4
        .value_kind:     by_value
      - .offset:         64
        .size:           4
        .value_kind:     by_value
      - .offset:         68
        .size:           4
        .value_kind:     by_value
    .group_segment_fixed_size: 0
    .kernarg_segment_align: 8
    .kernarg_segment_size: 72
    .language:       OpenCL C
    .language_version:
      - 2
      - 0
    .max_flat_workgroup_size: 512
    .name:           _ZN4vllm3moe17topkGatingSoftmaxIDF16_Li4ELi4ELi8ELi8ELb1ELi0ELNS0_23SharedExpertScoringFuncE0EEEvPKT_PKbPfiPiS9_iiiiii
    .private_segment_fixed_size: 0
    .sgpr_count:     27
    .sgpr_spill_count: 0
    .symbol:         _ZN4vllm3moe17topkGatingSoftmaxIDF16_Li4ELi4ELi8ELi8ELb1ELi0ELNS0_23SharedExpertScoringFuncE0EEEvPKT_PKbPfiPiS9_iiiiii.kd
    .uniform_work_group_size: 1
    .uses_dynamic_stack: false
    .vgpr_count:     26
    .vgpr_spill_count: 0
    .wavefront_size: 64
  - .agpr_count:     0
    .args:
      - .address_space:  global
        .offset:         0
        .size:           8
        .value_kind:     global_buffer
      - .address_space:  global
        .offset:         8
        .size:           8
        .value_kind:     global_buffer
      - .address_space:  global
        .offset:         16
        .size:           8
        .value_kind:     global_buffer
      - .offset:         24
        .size:           4
        .value_kind:     by_value
      - .address_space:  global
        .offset:         32
        .size:           8
        .value_kind:     global_buffer
      - .address_space:  global
        .offset:         40
        .size:           8
        .value_kind:     global_buffer
      - .offset:         48
        .size:           4
        .value_kind:     by_value
      - .offset:         52
        .size:           4
        .value_kind:     by_value
      - .offset:         56
        .size:           4
        .value_kind:     by_value
      - .offset:         60
        .size:           4
        .value_kind:     by_value
      - .offset:         64
        .size:           4
        .value_kind:     by_value
      - .offset:         68
        .size:           4
        .value_kind:     by_value
    .group_segment_fixed_size: 0
    .kernarg_segment_align: 8
    .kernarg_segment_size: 72
    .language:       OpenCL C
    .language_version:
      - 2
      - 0
    .max_flat_workgroup_size: 512
    .name:           _ZN4vllm3moe17topkGatingSoftmaxIDF16_Li4ELi4ELi8ELi8ELb0ELi0ELNS0_23SharedExpertScoringFuncE0EEEvPKT_PKbPfiPiS9_iiiiii
    .private_segment_fixed_size: 0
    .sgpr_count:     27
    .sgpr_spill_count: 0
    .symbol:         _ZN4vllm3moe17topkGatingSoftmaxIDF16_Li4ELi4ELi8ELi8ELb0ELi0ELNS0_23SharedExpertScoringFuncE0EEEvPKT_PKbPfiPiS9_iiiiii.kd
    .uniform_work_group_size: 1
    .uses_dynamic_stack: false
    .vgpr_count:     21
    .vgpr_spill_count: 0
    .wavefront_size: 64
  - .agpr_count:     0
    .args:
      - .address_space:  global
        .offset:         0
        .size:           8
        .value_kind:     global_buffer
      - .address_space:  global
        .offset:         8
        .size:           8
        .value_kind:     global_buffer
      - .address_space:  global
        .offset:         16
        .size:           8
        .value_kind:     global_buffer
      - .offset:         24
        .size:           4
        .value_kind:     by_value
      - .address_space:  global
        .offset:         32
        .size:           8
        .value_kind:     global_buffer
      - .address_space:  global
        .offset:         40
        .size:           8
        .value_kind:     global_buffer
      - .offset:         48
        .size:           4
        .value_kind:     by_value
      - .offset:         52
        .size:           4
        .value_kind:     by_value
      - .offset:         56
        .size:           4
        .value_kind:     by_value
      - .offset:         60
        .size:           4
        .value_kind:     by_value
      - .offset:         64
        .size:           4
        .value_kind:     by_value
      - .offset:         68
        .size:           4
        .value_kind:     by_value
    .group_segment_fixed_size: 0
    .kernarg_segment_align: 8
    .kernarg_segment_size: 72
    .language:       OpenCL C
    .language_version:
      - 2
      - 0
    .max_flat_workgroup_size: 512
    .name:           _ZN4vllm3moe17topkGatingSoftmaxIDF16_Li4ELi4ELi8ELi8ELb1ELi1ELNS0_23SharedExpertScoringFuncE1EEEvPKT_PKbPfiPiS9_iiiiii
    .private_segment_fixed_size: 0
    .sgpr_count:     28
    .sgpr_spill_count: 0
    .symbol:         _ZN4vllm3moe17topkGatingSoftmaxIDF16_Li4ELi4ELi8ELi8ELb1ELi1ELNS0_23SharedExpertScoringFuncE1EEEvPKT_PKbPfiPiS9_iiiiii.kd
    .uniform_work_group_size: 1
    .uses_dynamic_stack: false
    .vgpr_count:     24
    .vgpr_spill_count: 0
    .wavefront_size: 64
  - .agpr_count:     0
    .args:
      - .address_space:  global
        .offset:         0
        .size:           8
        .value_kind:     global_buffer
      - .address_space:  global
        .offset:         8
        .size:           8
        .value_kind:     global_buffer
      - .address_space:  global
        .offset:         16
        .size:           8
        .value_kind:     global_buffer
      - .offset:         24
        .size:           4
        .value_kind:     by_value
      - .address_space:  global
        .offset:         32
        .size:           8
        .value_kind:     global_buffer
      - .address_space:  global
        .offset:         40
        .size:           8
        .value_kind:     global_buffer
      - .offset:         48
        .size:           4
        .value_kind:     by_value
      - .offset:         52
        .size:           4
        .value_kind:     by_value
      - .offset:         56
        .size:           4
        .value_kind:     by_value
      - .offset:         60
        .size:           4
        .value_kind:     by_value
      - .offset:         64
        .size:           4
        .value_kind:     by_value
      - .offset:         68
        .size:           4
        .value_kind:     by_value
    .group_segment_fixed_size: 0
    .kernarg_segment_align: 8
    .kernarg_segment_size: 72
    .language:       OpenCL C
    .language_version:
      - 2
      - 0
    .max_flat_workgroup_size: 512
    .name:           _ZN4vllm3moe17topkGatingSoftmaxIDF16_Li4ELi4ELi8ELi8ELb0ELi1ELNS0_23SharedExpertScoringFuncE1EEEvPKT_PKbPfiPiS9_iiiiii
    .private_segment_fixed_size: 0
    .sgpr_count:     28
    .sgpr_spill_count: 0
    .symbol:         _ZN4vllm3moe17topkGatingSoftmaxIDF16_Li4ELi4ELi8ELi8ELb0ELi1ELNS0_23SharedExpertScoringFuncE1EEEvPKT_PKbPfiPiS9_iiiiii.kd
    .uniform_work_group_size: 1
    .uses_dynamic_stack: false
    .vgpr_count:     23
    .vgpr_spill_count: 0
    .wavefront_size: 64
  - .agpr_count:     0
    .args:
      - .address_space:  global
        .offset:         0
        .size:           8
        .value_kind:     global_buffer
      - .address_space:  global
        .offset:         8
        .size:           8
        .value_kind:     global_buffer
      - .address_space:  global
        .offset:         16
        .size:           8
        .value_kind:     global_buffer
      - .offset:         24
        .size:           4
        .value_kind:     by_value
      - .address_space:  global
        .offset:         32
        .size:           8
        .value_kind:     global_buffer
      - .address_space:  global
        .offset:         40
        .size:           8
        .value_kind:     global_buffer
      - .offset:         48
        .size:           4
        .value_kind:     by_value
      - .offset:         52
        .size:           4
        .value_kind:     by_value
      - .offset:         56
        .size:           4
        .value_kind:     by_value
      - .offset:         60
        .size:           4
        .value_kind:     by_value
      - .offset:         64
        .size:           4
        .value_kind:     by_value
      - .offset:         68
        .size:           4
        .value_kind:     by_value
    .group_segment_fixed_size: 0
    .kernarg_segment_align: 8
    .kernarg_segment_size: 72
    .language:       OpenCL C
    .language_version:
      - 2
      - 0
    .max_flat_workgroup_size: 512
    .name:           _ZN4vllm3moe17topkGatingSoftmaxIDF16_Li4ELi4ELi8ELi8ELb1ELi2ELNS0_23SharedExpertScoringFuncE1EEEvPKT_PKbPfiPiS9_iiiiii
    .private_segment_fixed_size: 0
    .sgpr_count:     28
    .sgpr_spill_count: 0
    .symbol:         _ZN4vllm3moe17topkGatingSoftmaxIDF16_Li4ELi4ELi8ELi8ELb1ELi2ELNS0_23SharedExpertScoringFuncE1EEEvPKT_PKbPfiPiS9_iiiiii.kd
    .uniform_work_group_size: 1
    .uses_dynamic_stack: false
    .vgpr_count:     22
    .vgpr_spill_count: 0
    .wavefront_size: 64
  - .agpr_count:     0
    .args:
      - .address_space:  global
        .offset:         0
        .size:           8
        .value_kind:     global_buffer
      - .address_space:  global
        .offset:         8
        .size:           8
        .value_kind:     global_buffer
      - .address_space:  global
        .offset:         16
        .size:           8
        .value_kind:     global_buffer
      - .offset:         24
        .size:           4
        .value_kind:     by_value
      - .address_space:  global
        .offset:         32
        .size:           8
        .value_kind:     global_buffer
      - .address_space:  global
        .offset:         40
        .size:           8
        .value_kind:     global_buffer
      - .offset:         48
        .size:           4
        .value_kind:     by_value
      - .offset:         52
        .size:           4
        .value_kind:     by_value
      - .offset:         56
        .size:           4
        .value_kind:     by_value
      - .offset:         60
        .size:           4
        .value_kind:     by_value
      - .offset:         64
        .size:           4
        .value_kind:     by_value
      - .offset:         68
        .size:           4
        .value_kind:     by_value
    .group_segment_fixed_size: 0
    .kernarg_segment_align: 8
    .kernarg_segment_size: 72
    .language:       OpenCL C
    .language_version:
      - 2
      - 0
    .max_flat_workgroup_size: 512
    .name:           _ZN4vllm3moe17topkGatingSoftmaxIDF16_Li4ELi4ELi8ELi8ELb0ELi2ELNS0_23SharedExpertScoringFuncE1EEEvPKT_PKbPfiPiS9_iiiiii
    .private_segment_fixed_size: 0
    .sgpr_count:     28
    .sgpr_spill_count: 0
    .symbol:         _ZN4vllm3moe17topkGatingSoftmaxIDF16_Li4ELi4ELi8ELi8ELb0ELi2ELNS0_23SharedExpertScoringFuncE1EEEvPKT_PKbPfiPiS9_iiiiii.kd
    .uniform_work_group_size: 1
    .uses_dynamic_stack: false
    .vgpr_count:     25
    .vgpr_spill_count: 0
    .wavefront_size: 64
  - .agpr_count:     0
    .args:
      - .address_space:  global
        .offset:         0
        .size:           8
        .value_kind:     global_buffer
      - .address_space:  global
        .offset:         8
        .size:           8
        .value_kind:     global_buffer
      - .address_space:  global
        .offset:         16
        .size:           8
        .value_kind:     global_buffer
      - .offset:         24
        .size:           4
        .value_kind:     by_value
      - .address_space:  global
        .offset:         32
        .size:           8
        .value_kind:     global_buffer
      - .address_space:  global
        .offset:         40
        .size:           8
        .value_kind:     global_buffer
      - .offset:         48
        .size:           4
        .value_kind:     by_value
      - .offset:         52
        .size:           4
        .value_kind:     by_value
      - .offset:         56
        .size:           4
        .value_kind:     by_value
      - .offset:         60
        .size:           4
        .value_kind:     by_value
      - .offset:         64
        .size:           4
        .value_kind:     by_value
      - .offset:         68
        .size:           4
        .value_kind:     by_value
    .group_segment_fixed_size: 0
    .kernarg_segment_align: 8
    .kernarg_segment_size: 72
    .language:       OpenCL C
    .language_version:
      - 2
      - 0
    .max_flat_workgroup_size: 512
    .name:           _ZN4vllm3moe17topkGatingSoftmaxIDF16_Li4ELi4ELi8ELi8ELb1ELi4ELNS0_23SharedExpertScoringFuncE1EEEvPKT_PKbPfiPiS9_iiiiii
    .private_segment_fixed_size: 0
    .sgpr_count:     28
    .sgpr_spill_count: 0
    .symbol:         _ZN4vllm3moe17topkGatingSoftmaxIDF16_Li4ELi4ELi8ELi8ELb1ELi4ELNS0_23SharedExpertScoringFuncE1EEEvPKT_PKbPfiPiS9_iiiiii.kd
    .uniform_work_group_size: 1
    .uses_dynamic_stack: false
    .vgpr_count:     28
    .vgpr_spill_count: 0
    .wavefront_size: 64
  - .agpr_count:     0
    .args:
      - .address_space:  global
        .offset:         0
        .size:           8
        .value_kind:     global_buffer
      - .address_space:  global
        .offset:         8
        .size:           8
        .value_kind:     global_buffer
      - .address_space:  global
        .offset:         16
        .size:           8
        .value_kind:     global_buffer
      - .offset:         24
        .size:           4
        .value_kind:     by_value
      - .address_space:  global
        .offset:         32
        .size:           8
        .value_kind:     global_buffer
      - .address_space:  global
        .offset:         40
        .size:           8
        .value_kind:     global_buffer
      - .offset:         48
        .size:           4
        .value_kind:     by_value
      - .offset:         52
        .size:           4
        .value_kind:     by_value
      - .offset:         56
        .size:           4
        .value_kind:     by_value
      - .offset:         60
        .size:           4
        .value_kind:     by_value
      - .offset:         64
        .size:           4
        .value_kind:     by_value
      - .offset:         68
        .size:           4
        .value_kind:     by_value
    .group_segment_fixed_size: 0
    .kernarg_segment_align: 8
    .kernarg_segment_size: 72
    .language:       OpenCL C
    .language_version:
      - 2
      - 0
    .max_flat_workgroup_size: 512
    .name:           _ZN4vllm3moe17topkGatingSoftmaxIDF16_Li4ELi4ELi8ELi8ELb0ELi4ELNS0_23SharedExpertScoringFuncE1EEEvPKT_PKbPfiPiS9_iiiiii
    .private_segment_fixed_size: 0
    .sgpr_count:     28
    .sgpr_spill_count: 0
    .symbol:         _ZN4vllm3moe17topkGatingSoftmaxIDF16_Li4ELi4ELi8ELi8ELb0ELi4ELNS0_23SharedExpertScoringFuncE1EEEvPKT_PKbPfiPiS9_iiiiii.kd
    .uniform_work_group_size: 1
    .uses_dynamic_stack: false
    .vgpr_count:     31
    .vgpr_spill_count: 0
    .wavefront_size: 64
  - .agpr_count:     0
    .args:
      - .address_space:  global
        .offset:         0
        .size:           8
        .value_kind:     global_buffer
      - .address_space:  global
        .offset:         8
        .size:           8
        .value_kind:     global_buffer
      - .address_space:  global
        .offset:         16
        .size:           8
        .value_kind:     global_buffer
      - .offset:         24
        .size:           4
        .value_kind:     by_value
      - .address_space:  global
        .offset:         32
        .size:           8
        .value_kind:     global_buffer
      - .address_space:  global
        .offset:         40
        .size:           8
        .value_kind:     global_buffer
      - .offset:         48
        .size:           4
        .value_kind:     by_value
      - .offset:         52
        .size:           4
        .value_kind:     by_value
      - .offset:         56
        .size:           4
        .value_kind:     by_value
      - .offset:         60
        .size:           4
        .value_kind:     by_value
      - .offset:         64
        .size:           4
        .value_kind:     by_value
      - .offset:         68
        .size:           4
        .value_kind:     by_value
    .group_segment_fixed_size: 0
    .kernarg_segment_align: 8
    .kernarg_segment_size: 72
    .language:       OpenCL C
    .language_version:
      - 2
      - 0
    .max_flat_workgroup_size: 512
    .name:           _ZN4vllm3moe17topkGatingSoftmaxIDF16_Li4ELi4ELi8ELi8ELb1ELi8ELNS0_23SharedExpertScoringFuncE1EEEvPKT_PKbPfiPiS9_iiiiii
    .private_segment_fixed_size: 0
    .sgpr_count:     28
    .sgpr_spill_count: 0
    .symbol:         _ZN4vllm3moe17topkGatingSoftmaxIDF16_Li4ELi4ELi8ELi8ELb1ELi8ELNS0_23SharedExpertScoringFuncE1EEEvPKT_PKbPfiPiS9_iiiiii.kd
    .uniform_work_group_size: 1
    .uses_dynamic_stack: false
    .vgpr_count:     30
    .vgpr_spill_count: 0
    .wavefront_size: 64
  - .agpr_count:     0
    .args:
      - .address_space:  global
        .offset:         0
        .size:           8
        .value_kind:     global_buffer
      - .address_space:  global
        .offset:         8
        .size:           8
        .value_kind:     global_buffer
      - .address_space:  global
        .offset:         16
        .size:           8
        .value_kind:     global_buffer
      - .offset:         24
        .size:           4
        .value_kind:     by_value
      - .address_space:  global
        .offset:         32
        .size:           8
        .value_kind:     global_buffer
      - .address_space:  global
        .offset:         40
        .size:           8
        .value_kind:     global_buffer
      - .offset:         48
        .size:           4
        .value_kind:     by_value
      - .offset:         52
        .size:           4
        .value_kind:     by_value
      - .offset:         56
        .size:           4
        .value_kind:     by_value
      - .offset:         60
        .size:           4
        .value_kind:     by_value
      - .offset:         64
        .size:           4
        .value_kind:     by_value
      - .offset:         68
        .size:           4
        .value_kind:     by_value
    .group_segment_fixed_size: 0
    .kernarg_segment_align: 8
    .kernarg_segment_size: 72
    .language:       OpenCL C
    .language_version:
      - 2
      - 0
    .max_flat_workgroup_size: 512
    .name:           _ZN4vllm3moe17topkGatingSoftmaxIDF16_Li4ELi4ELi8ELi8ELb0ELi8ELNS0_23SharedExpertScoringFuncE1EEEvPKT_PKbPfiPiS9_iiiiii
    .private_segment_fixed_size: 0
    .sgpr_count:     28
    .sgpr_spill_count: 0
    .symbol:         _ZN4vllm3moe17topkGatingSoftmaxIDF16_Li4ELi4ELi8ELi8ELb0ELi8ELNS0_23SharedExpertScoringFuncE1EEEvPKT_PKbPfiPiS9_iiiiii.kd
    .uniform_work_group_size: 1
    .uses_dynamic_stack: false
    .vgpr_count:     33
    .vgpr_spill_count: 0
    .wavefront_size: 64
  - .agpr_count:     0
    .args:
      - .address_space:  global
        .offset:         0
        .size:           8
        .value_kind:     global_buffer
      - .address_space:  global
        .offset:         8
        .size:           8
        .value_kind:     global_buffer
      - .address_space:  global
        .offset:         16
        .size:           8
        .value_kind:     global_buffer
      - .offset:         24
        .size:           4
        .value_kind:     by_value
      - .address_space:  global
        .offset:         32
        .size:           8
        .value_kind:     global_buffer
      - .address_space:  global
        .offset:         40
        .size:           8
        .value_kind:     global_buffer
      - .offset:         48
        .size:           4
        .value_kind:     by_value
      - .offset:         52
        .size:           4
        .value_kind:     by_value
      - .offset:         56
        .size:           4
        .value_kind:     by_value
      - .offset:         60
        .size:           4
        .value_kind:     by_value
      - .offset:         64
        .size:           4
        .value_kind:     by_value
      - .offset:         68
        .size:           4
        .value_kind:     by_value
    .group_segment_fixed_size: 0
    .kernarg_segment_align: 8
    .kernarg_segment_size: 72
    .language:       OpenCL C
    .language_version:
      - 2
      - 0
    .max_flat_workgroup_size: 512
    .name:           _ZN4vllm3moe17topkGatingSoftmaxIDF16_Li8ELi8ELi8ELi16ELb1ELi0ELNS0_23SharedExpertScoringFuncE0EEEvPKT_PKbPfiPiS9_iiiiii
    .private_segment_fixed_size: 0
    .sgpr_count:     38
    .sgpr_spill_count: 0
    .symbol:         _ZN4vllm3moe17topkGatingSoftmaxIDF16_Li8ELi8ELi8ELi16ELb1ELi0ELNS0_23SharedExpertScoringFuncE0EEEvPKT_PKbPfiPiS9_iiiiii.kd
    .uniform_work_group_size: 1
    .uses_dynamic_stack: false
    .vgpr_count:     32
    .vgpr_spill_count: 0
    .wavefront_size: 64
  - .agpr_count:     0
    .args:
      - .address_space:  global
        .offset:         0
        .size:           8
        .value_kind:     global_buffer
      - .address_space:  global
        .offset:         8
        .size:           8
        .value_kind:     global_buffer
      - .address_space:  global
        .offset:         16
        .size:           8
        .value_kind:     global_buffer
      - .offset:         24
        .size:           4
        .value_kind:     by_value
      - .address_space:  global
        .offset:         32
        .size:           8
        .value_kind:     global_buffer
      - .address_space:  global
        .offset:         40
        .size:           8
        .value_kind:     global_buffer
      - .offset:         48
        .size:           4
        .value_kind:     by_value
      - .offset:         52
        .size:           4
        .value_kind:     by_value
      - .offset:         56
        .size:           4
        .value_kind:     by_value
      - .offset:         60
        .size:           4
        .value_kind:     by_value
      - .offset:         64
        .size:           4
        .value_kind:     by_value
      - .offset:         68
        .size:           4
        .value_kind:     by_value
    .group_segment_fixed_size: 0
    .kernarg_segment_align: 8
    .kernarg_segment_size: 72
    .language:       OpenCL C
    .language_version:
      - 2
      - 0
    .max_flat_workgroup_size: 512
    .name:           _ZN4vllm3moe17topkGatingSoftmaxIDF16_Li8ELi8ELi8ELi16ELb0ELi0ELNS0_23SharedExpertScoringFuncE0EEEvPKT_PKbPfiPiS9_iiiiii
    .private_segment_fixed_size: 0
    .sgpr_count:     42
    .sgpr_spill_count: 0
    .symbol:         _ZN4vllm3moe17topkGatingSoftmaxIDF16_Li8ELi8ELi8ELi16ELb0ELi0ELNS0_23SharedExpertScoringFuncE0EEEvPKT_PKbPfiPiS9_iiiiii.kd
    .uniform_work_group_size: 1
    .uses_dynamic_stack: false
    .vgpr_count:     24
    .vgpr_spill_count: 0
    .wavefront_size: 64
  - .agpr_count:     0
    .args:
      - .address_space:  global
        .offset:         0
        .size:           8
        .value_kind:     global_buffer
      - .address_space:  global
        .offset:         8
        .size:           8
        .value_kind:     global_buffer
      - .address_space:  global
        .offset:         16
        .size:           8
        .value_kind:     global_buffer
      - .offset:         24
        .size:           4
        .value_kind:     by_value
      - .address_space:  global
        .offset:         32
        .size:           8
        .value_kind:     global_buffer
      - .address_space:  global
        .offset:         40
        .size:           8
        .value_kind:     global_buffer
      - .offset:         48
        .size:           4
        .value_kind:     by_value
      - .offset:         52
        .size:           4
        .value_kind:     by_value
      - .offset:         56
        .size:           4
        .value_kind:     by_value
      - .offset:         60
        .size:           4
        .value_kind:     by_value
      - .offset:         64
        .size:           4
        .value_kind:     by_value
      - .offset:         68
        .size:           4
        .value_kind:     by_value
    .group_segment_fixed_size: 0
    .kernarg_segment_align: 8
    .kernarg_segment_size: 72
    .language:       OpenCL C
    .language_version:
      - 2
      - 0
    .max_flat_workgroup_size: 512
    .name:           _ZN4vllm3moe17topkGatingSoftmaxIDF16_Li8ELi8ELi8ELi16ELb1ELi1ELNS0_23SharedExpertScoringFuncE1EEEvPKT_PKbPfiPiS9_iiiiii
    .private_segment_fixed_size: 0
    .sgpr_count:     36
    .sgpr_spill_count: 0
    .symbol:         _ZN4vllm3moe17topkGatingSoftmaxIDF16_Li8ELi8ELi8ELi16ELb1ELi1ELNS0_23SharedExpertScoringFuncE1EEEvPKT_PKbPfiPiS9_iiiiii.kd
    .uniform_work_group_size: 1
    .uses_dynamic_stack: false
    .vgpr_count:     28
    .vgpr_spill_count: 0
    .wavefront_size: 64
  - .agpr_count:     0
    .args:
      - .address_space:  global
        .offset:         0
        .size:           8
        .value_kind:     global_buffer
      - .address_space:  global
        .offset:         8
        .size:           8
        .value_kind:     global_buffer
      - .address_space:  global
        .offset:         16
        .size:           8
        .value_kind:     global_buffer
      - .offset:         24
        .size:           4
        .value_kind:     by_value
      - .address_space:  global
        .offset:         32
        .size:           8
        .value_kind:     global_buffer
      - .address_space:  global
        .offset:         40
        .size:           8
        .value_kind:     global_buffer
      - .offset:         48
        .size:           4
        .value_kind:     by_value
      - .offset:         52
        .size:           4
        .value_kind:     by_value
      - .offset:         56
        .size:           4
        .value_kind:     by_value
      - .offset:         60
        .size:           4
        .value_kind:     by_value
      - .offset:         64
        .size:           4
        .value_kind:     by_value
      - .offset:         68
        .size:           4
        .value_kind:     by_value
    .group_segment_fixed_size: 0
    .kernarg_segment_align: 8
    .kernarg_segment_size: 72
    .language:       OpenCL C
    .language_version:
      - 2
      - 0
    .max_flat_workgroup_size: 512
    .name:           _ZN4vllm3moe17topkGatingSoftmaxIDF16_Li8ELi8ELi8ELi16ELb0ELi1ELNS0_23SharedExpertScoringFuncE1EEEvPKT_PKbPfiPiS9_iiiiii
    .private_segment_fixed_size: 0
    .sgpr_count:     42
    .sgpr_spill_count: 0
    .symbol:         _ZN4vllm3moe17topkGatingSoftmaxIDF16_Li8ELi8ELi8ELi16ELb0ELi1ELNS0_23SharedExpertScoringFuncE1EEEvPKT_PKbPfiPiS9_iiiiii.kd
    .uniform_work_group_size: 1
    .uses_dynamic_stack: false
    .vgpr_count:     26
    .vgpr_spill_count: 0
    .wavefront_size: 64
  - .agpr_count:     0
    .args:
      - .address_space:  global
        .offset:         0
        .size:           8
        .value_kind:     global_buffer
      - .address_space:  global
        .offset:         8
        .size:           8
        .value_kind:     global_buffer
      - .address_space:  global
        .offset:         16
        .size:           8
        .value_kind:     global_buffer
      - .offset:         24
        .size:           4
        .value_kind:     by_value
      - .address_space:  global
        .offset:         32
        .size:           8
        .value_kind:     global_buffer
      - .address_space:  global
        .offset:         40
        .size:           8
        .value_kind:     global_buffer
      - .offset:         48
        .size:           4
        .value_kind:     by_value
      - .offset:         52
        .size:           4
        .value_kind:     by_value
      - .offset:         56
        .size:           4
        .value_kind:     by_value
      - .offset:         60
        .size:           4
        .value_kind:     by_value
      - .offset:         64
        .size:           4
        .value_kind:     by_value
      - .offset:         68
        .size:           4
        .value_kind:     by_value
    .group_segment_fixed_size: 0
    .kernarg_segment_align: 8
    .kernarg_segment_size: 72
    .language:       OpenCL C
    .language_version:
      - 2
      - 0
    .max_flat_workgroup_size: 512
    .name:           _ZN4vllm3moe17topkGatingSoftmaxIDF16_Li8ELi8ELi8ELi16ELb1ELi2ELNS0_23SharedExpertScoringFuncE1EEEvPKT_PKbPfiPiS9_iiiiii
    .private_segment_fixed_size: 0
    .sgpr_count:     36
    .sgpr_spill_count: 0
    .symbol:         _ZN4vllm3moe17topkGatingSoftmaxIDF16_Li8ELi8ELi8ELi16ELb1ELi2ELNS0_23SharedExpertScoringFuncE1EEEvPKT_PKbPfiPiS9_iiiiii.kd
    .uniform_work_group_size: 1
    .uses_dynamic_stack: false
    .vgpr_count:     28
    .vgpr_spill_count: 0
    .wavefront_size: 64
  - .agpr_count:     0
    .args:
      - .address_space:  global
        .offset:         0
        .size:           8
        .value_kind:     global_buffer
      - .address_space:  global
        .offset:         8
        .size:           8
        .value_kind:     global_buffer
      - .address_space:  global
        .offset:         16
        .size:           8
        .value_kind:     global_buffer
      - .offset:         24
        .size:           4
        .value_kind:     by_value
      - .address_space:  global
        .offset:         32
        .size:           8
        .value_kind:     global_buffer
      - .address_space:  global
        .offset:         40
        .size:           8
        .value_kind:     global_buffer
      - .offset:         48
        .size:           4
        .value_kind:     by_value
      - .offset:         52
        .size:           4
        .value_kind:     by_value
      - .offset:         56
        .size:           4
        .value_kind:     by_value
      - .offset:         60
        .size:           4
        .value_kind:     by_value
      - .offset:         64
        .size:           4
        .value_kind:     by_value
      - .offset:         68
        .size:           4
        .value_kind:     by_value
    .group_segment_fixed_size: 0
    .kernarg_segment_align: 8
    .kernarg_segment_size: 72
    .language:       OpenCL C
    .language_version:
      - 2
      - 0
    .max_flat_workgroup_size: 512
    .name:           _ZN4vllm3moe17topkGatingSoftmaxIDF16_Li8ELi8ELi8ELi16ELb0ELi2ELNS0_23SharedExpertScoringFuncE1EEEvPKT_PKbPfiPiS9_iiiiii
    .private_segment_fixed_size: 0
    .sgpr_count:     42
    .sgpr_spill_count: 0
    .symbol:         _ZN4vllm3moe17topkGatingSoftmaxIDF16_Li8ELi8ELi8ELi16ELb0ELi2ELNS0_23SharedExpertScoringFuncE1EEEvPKT_PKbPfiPiS9_iiiiii.kd
    .uniform_work_group_size: 1
    .uses_dynamic_stack: false
    .vgpr_count:     28
    .vgpr_spill_count: 0
    .wavefront_size: 64
  - .agpr_count:     0
    .args:
      - .address_space:  global
        .offset:         0
        .size:           8
        .value_kind:     global_buffer
      - .address_space:  global
        .offset:         8
        .size:           8
        .value_kind:     global_buffer
      - .address_space:  global
        .offset:         16
        .size:           8
        .value_kind:     global_buffer
      - .offset:         24
        .size:           4
        .value_kind:     by_value
      - .address_space:  global
        .offset:         32
        .size:           8
        .value_kind:     global_buffer
      - .address_space:  global
        .offset:         40
        .size:           8
        .value_kind:     global_buffer
      - .offset:         48
        .size:           4
        .value_kind:     by_value
      - .offset:         52
        .size:           4
        .value_kind:     by_value
      - .offset:         56
        .size:           4
        .value_kind:     by_value
      - .offset:         60
        .size:           4
        .value_kind:     by_value
      - .offset:         64
        .size:           4
        .value_kind:     by_value
      - .offset:         68
        .size:           4
        .value_kind:     by_value
    .group_segment_fixed_size: 0
    .kernarg_segment_align: 8
    .kernarg_segment_size: 72
    .language:       OpenCL C
    .language_version:
      - 2
      - 0
    .max_flat_workgroup_size: 512
    .name:           _ZN4vllm3moe17topkGatingSoftmaxIDF16_Li8ELi8ELi8ELi16ELb1ELi4ELNS0_23SharedExpertScoringFuncE1EEEvPKT_PKbPfiPiS9_iiiiii
    .private_segment_fixed_size: 0
    .sgpr_count:     36
    .sgpr_spill_count: 0
    .symbol:         _ZN4vllm3moe17topkGatingSoftmaxIDF16_Li8ELi8ELi8ELi16ELb1ELi4ELNS0_23SharedExpertScoringFuncE1EEEvPKT_PKbPfiPiS9_iiiiii.kd
    .uniform_work_group_size: 1
    .uses_dynamic_stack: false
    .vgpr_count:     30
    .vgpr_spill_count: 0
    .wavefront_size: 64
  - .agpr_count:     0
    .args:
      - .address_space:  global
        .offset:         0
        .size:           8
        .value_kind:     global_buffer
      - .address_space:  global
        .offset:         8
        .size:           8
        .value_kind:     global_buffer
      - .address_space:  global
        .offset:         16
        .size:           8
        .value_kind:     global_buffer
      - .offset:         24
        .size:           4
        .value_kind:     by_value
      - .address_space:  global
        .offset:         32
        .size:           8
        .value_kind:     global_buffer
      - .address_space:  global
        .offset:         40
        .size:           8
        .value_kind:     global_buffer
      - .offset:         48
        .size:           4
        .value_kind:     by_value
      - .offset:         52
        .size:           4
        .value_kind:     by_value
      - .offset:         56
        .size:           4
        .value_kind:     by_value
      - .offset:         60
        .size:           4
        .value_kind:     by_value
      - .offset:         64
        .size:           4
        .value_kind:     by_value
      - .offset:         68
        .size:           4
        .value_kind:     by_value
    .group_segment_fixed_size: 0
    .kernarg_segment_align: 8
    .kernarg_segment_size: 72
    .language:       OpenCL C
    .language_version:
      - 2
      - 0
    .max_flat_workgroup_size: 512
    .name:           _ZN4vllm3moe17topkGatingSoftmaxIDF16_Li8ELi8ELi8ELi16ELb0ELi4ELNS0_23SharedExpertScoringFuncE1EEEvPKT_PKbPfiPiS9_iiiiii
    .private_segment_fixed_size: 0
    .sgpr_count:     42
    .sgpr_spill_count: 0
    .symbol:         _ZN4vllm3moe17topkGatingSoftmaxIDF16_Li8ELi8ELi8ELi16ELb0ELi4ELNS0_23SharedExpertScoringFuncE1EEEvPKT_PKbPfiPiS9_iiiiii.kd
    .uniform_work_group_size: 1
    .uses_dynamic_stack: false
    .vgpr_count:     31
    .vgpr_spill_count: 0
    .wavefront_size: 64
  - .agpr_count:     0
    .args:
      - .address_space:  global
        .offset:         0
        .size:           8
        .value_kind:     global_buffer
      - .address_space:  global
        .offset:         8
        .size:           8
        .value_kind:     global_buffer
      - .address_space:  global
        .offset:         16
        .size:           8
        .value_kind:     global_buffer
      - .offset:         24
        .size:           4
        .value_kind:     by_value
      - .address_space:  global
        .offset:         32
        .size:           8
        .value_kind:     global_buffer
      - .address_space:  global
        .offset:         40
        .size:           8
        .value_kind:     global_buffer
      - .offset:         48
        .size:           4
        .value_kind:     by_value
      - .offset:         52
        .size:           4
        .value_kind:     by_value
      - .offset:         56
        .size:           4
        .value_kind:     by_value
      - .offset:         60
        .size:           4
        .value_kind:     by_value
      - .offset:         64
        .size:           4
        .value_kind:     by_value
      - .offset:         68
        .size:           4
        .value_kind:     by_value
    .group_segment_fixed_size: 0
    .kernarg_segment_align: 8
    .kernarg_segment_size: 72
    .language:       OpenCL C
    .language_version:
      - 2
      - 0
    .max_flat_workgroup_size: 512
    .name:           _ZN4vllm3moe17topkGatingSoftmaxIDF16_Li8ELi8ELi8ELi16ELb1ELi8ELNS0_23SharedExpertScoringFuncE1EEEvPKT_PKbPfiPiS9_iiiiii
    .private_segment_fixed_size: 0
    .sgpr_count:     36
    .sgpr_spill_count: 0
    .symbol:         _ZN4vllm3moe17topkGatingSoftmaxIDF16_Li8ELi8ELi8ELi16ELb1ELi8ELNS0_23SharedExpertScoringFuncE1EEEvPKT_PKbPfiPiS9_iiiiii.kd
    .uniform_work_group_size: 1
    .uses_dynamic_stack: false
    .vgpr_count:     32
    .vgpr_spill_count: 0
    .wavefront_size: 64
  - .agpr_count:     0
    .args:
      - .address_space:  global
        .offset:         0
        .size:           8
        .value_kind:     global_buffer
      - .address_space:  global
        .offset:         8
        .size:           8
        .value_kind:     global_buffer
      - .address_space:  global
        .offset:         16
        .size:           8
        .value_kind:     global_buffer
      - .offset:         24
        .size:           4
        .value_kind:     by_value
      - .address_space:  global
        .offset:         32
        .size:           8
        .value_kind:     global_buffer
      - .address_space:  global
        .offset:         40
        .size:           8
        .value_kind:     global_buffer
      - .offset:         48
        .size:           4
        .value_kind:     by_value
      - .offset:         52
        .size:           4
        .value_kind:     by_value
      - .offset:         56
        .size:           4
        .value_kind:     by_value
      - .offset:         60
        .size:           4
        .value_kind:     by_value
      - .offset:         64
        .size:           4
        .value_kind:     by_value
      - .offset:         68
        .size:           4
        .value_kind:     by_value
    .group_segment_fixed_size: 0
    .kernarg_segment_align: 8
    .kernarg_segment_size: 72
    .language:       OpenCL C
    .language_version:
      - 2
      - 0
    .max_flat_workgroup_size: 512
    .name:           _ZN4vllm3moe17topkGatingSoftmaxIDF16_Li8ELi8ELi8ELi16ELb0ELi8ELNS0_23SharedExpertScoringFuncE1EEEvPKT_PKbPfiPiS9_iiiiii
    .private_segment_fixed_size: 0
    .sgpr_count:     42
    .sgpr_spill_count: 0
    .symbol:         _ZN4vllm3moe17topkGatingSoftmaxIDF16_Li8ELi8ELi8ELi16ELb0ELi8ELNS0_23SharedExpertScoringFuncE1EEEvPKT_PKbPfiPiS9_iiiiii.kd
    .uniform_work_group_size: 1
    .uses_dynamic_stack: false
    .vgpr_count:     35
    .vgpr_spill_count: 0
    .wavefront_size: 64
  - .agpr_count:     0
    .args:
      - .address_space:  global
        .offset:         0
        .size:           8
        .value_kind:     global_buffer
      - .address_space:  global
        .offset:         8
        .size:           8
        .value_kind:     global_buffer
      - .address_space:  global
        .offset:         16
        .size:           8
        .value_kind:     global_buffer
      - .offset:         24
        .size:           4
        .value_kind:     by_value
      - .address_space:  global
        .offset:         32
        .size:           8
        .value_kind:     global_buffer
      - .address_space:  global
        .offset:         40
        .size:           8
        .value_kind:     global_buffer
      - .offset:         48
        .size:           4
        .value_kind:     by_value
      - .offset:         52
        .size:           4
        .value_kind:     by_value
      - .offset:         56
        .size:           4
        .value_kind:     by_value
      - .offset:         60
        .size:           4
        .value_kind:     by_value
      - .offset:         64
        .size:           4
        .value_kind:     by_value
      - .offset:         68
        .size:           4
        .value_kind:     by_value
    .group_segment_fixed_size: 0
    .kernarg_segment_align: 8
    .kernarg_segment_size: 72
    .language:       OpenCL C
    .language_version:
      - 2
      - 0
    .max_flat_workgroup_size: 512
    .name:           _ZN4vllm3moe17topkGatingSoftmaxIDF16_Li16ELi16ELi8ELi32ELb1ELi0ELNS0_23SharedExpertScoringFuncE0EEEvPKT_PKbPfiPiS9_iiiiii
    .private_segment_fixed_size: 0
    .sgpr_count:     54
    .sgpr_spill_count: 0
    .symbol:         _ZN4vllm3moe17topkGatingSoftmaxIDF16_Li16ELi16ELi8ELi32ELb1ELi0ELNS0_23SharedExpertScoringFuncE0EEEvPKT_PKbPfiPiS9_iiiiii.kd
    .uniform_work_group_size: 1
    .uses_dynamic_stack: false
    .vgpr_count:     38
    .vgpr_spill_count: 0
    .wavefront_size: 64
  - .agpr_count:     0
    .args:
      - .address_space:  global
        .offset:         0
        .size:           8
        .value_kind:     global_buffer
      - .address_space:  global
        .offset:         8
        .size:           8
        .value_kind:     global_buffer
      - .address_space:  global
        .offset:         16
        .size:           8
        .value_kind:     global_buffer
      - .offset:         24
        .size:           4
        .value_kind:     by_value
      - .address_space:  global
        .offset:         32
        .size:           8
        .value_kind:     global_buffer
      - .address_space:  global
        .offset:         40
        .size:           8
        .value_kind:     global_buffer
      - .offset:         48
        .size:           4
        .value_kind:     by_value
      - .offset:         52
        .size:           4
        .value_kind:     by_value
      - .offset:         56
        .size:           4
        .value_kind:     by_value
      - .offset:         60
        .size:           4
        .value_kind:     by_value
      - .offset:         64
        .size:           4
        .value_kind:     by_value
      - .offset:         68
        .size:           4
        .value_kind:     by_value
    .group_segment_fixed_size: 0
    .kernarg_segment_align: 8
    .kernarg_segment_size: 72
    .language:       OpenCL C
    .language_version:
      - 2
      - 0
    .max_flat_workgroup_size: 512
    .name:           _ZN4vllm3moe17topkGatingSoftmaxIDF16_Li16ELi16ELi8ELi32ELb0ELi0ELNS0_23SharedExpertScoringFuncE0EEEvPKT_PKbPfiPiS9_iiiiii
    .private_segment_fixed_size: 0
    .sgpr_count:     58
    .sgpr_spill_count: 0
    .symbol:         _ZN4vllm3moe17topkGatingSoftmaxIDF16_Li16ELi16ELi8ELi32ELb0ELi0ELNS0_23SharedExpertScoringFuncE0EEEvPKT_PKbPfiPiS9_iiiiii.kd
    .uniform_work_group_size: 1
    .uses_dynamic_stack: false
    .vgpr_count:     32
    .vgpr_spill_count: 0
    .wavefront_size: 64
  - .agpr_count:     0
    .args:
      - .address_space:  global
        .offset:         0
        .size:           8
        .value_kind:     global_buffer
      - .address_space:  global
        .offset:         8
        .size:           8
        .value_kind:     global_buffer
      - .address_space:  global
        .offset:         16
        .size:           8
        .value_kind:     global_buffer
      - .offset:         24
        .size:           4
        .value_kind:     by_value
      - .address_space:  global
        .offset:         32
        .size:           8
        .value_kind:     global_buffer
      - .address_space:  global
        .offset:         40
        .size:           8
        .value_kind:     global_buffer
      - .offset:         48
        .size:           4
        .value_kind:     by_value
      - .offset:         52
        .size:           4
        .value_kind:     by_value
      - .offset:         56
        .size:           4
        .value_kind:     by_value
      - .offset:         60
        .size:           4
        .value_kind:     by_value
      - .offset:         64
        .size:           4
        .value_kind:     by_value
      - .offset:         68
        .size:           4
        .value_kind:     by_value
    .group_segment_fixed_size: 0
    .kernarg_segment_align: 8
    .kernarg_segment_size: 72
    .language:       OpenCL C
    .language_version:
      - 2
      - 0
    .max_flat_workgroup_size: 512
    .name:           _ZN4vllm3moe17topkGatingSoftmaxIDF16_Li16ELi16ELi8ELi32ELb1ELi1ELNS0_23SharedExpertScoringFuncE1EEEvPKT_PKbPfiPiS9_iiiiii
    .private_segment_fixed_size: 0
    .sgpr_count:     53
    .sgpr_spill_count: 0
    .symbol:         _ZN4vllm3moe17topkGatingSoftmaxIDF16_Li16ELi16ELi8ELi32ELb1ELi1ELNS0_23SharedExpertScoringFuncE1EEEvPKT_PKbPfiPiS9_iiiiii.kd
    .uniform_work_group_size: 1
    .uses_dynamic_stack: false
    .vgpr_count:     41
    .vgpr_spill_count: 0
    .wavefront_size: 64
  - .agpr_count:     0
    .args:
      - .address_space:  global
        .offset:         0
        .size:           8
        .value_kind:     global_buffer
      - .address_space:  global
        .offset:         8
        .size:           8
        .value_kind:     global_buffer
      - .address_space:  global
        .offset:         16
        .size:           8
        .value_kind:     global_buffer
      - .offset:         24
        .size:           4
        .value_kind:     by_value
      - .address_space:  global
        .offset:         32
        .size:           8
        .value_kind:     global_buffer
      - .address_space:  global
        .offset:         40
        .size:           8
        .value_kind:     global_buffer
      - .offset:         48
        .size:           4
        .value_kind:     by_value
      - .offset:         52
        .size:           4
        .value_kind:     by_value
      - .offset:         56
        .size:           4
        .value_kind:     by_value
      - .offset:         60
        .size:           4
        .value_kind:     by_value
      - .offset:         64
        .size:           4
        .value_kind:     by_value
      - .offset:         68
        .size:           4
        .value_kind:     by_value
    .group_segment_fixed_size: 0
    .kernarg_segment_align: 8
    .kernarg_segment_size: 72
    .language:       OpenCL C
    .language_version:
      - 2
      - 0
    .max_flat_workgroup_size: 512
    .name:           _ZN4vllm3moe17topkGatingSoftmaxIDF16_Li16ELi16ELi8ELi32ELb0ELi1ELNS0_23SharedExpertScoringFuncE1EEEvPKT_PKbPfiPiS9_iiiiii
    .private_segment_fixed_size: 0
    .sgpr_count:     58
    .sgpr_spill_count: 0
    .symbol:         _ZN4vllm3moe17topkGatingSoftmaxIDF16_Li16ELi16ELi8ELi32ELb0ELi1ELNS0_23SharedExpertScoringFuncE1EEEvPKT_PKbPfiPiS9_iiiiii.kd
    .uniform_work_group_size: 1
    .uses_dynamic_stack: false
    .vgpr_count:     34
    .vgpr_spill_count: 0
    .wavefront_size: 64
  - .agpr_count:     0
    .args:
      - .address_space:  global
        .offset:         0
        .size:           8
        .value_kind:     global_buffer
      - .address_space:  global
        .offset:         8
        .size:           8
        .value_kind:     global_buffer
      - .address_space:  global
        .offset:         16
        .size:           8
        .value_kind:     global_buffer
      - .offset:         24
        .size:           4
        .value_kind:     by_value
      - .address_space:  global
        .offset:         32
        .size:           8
        .value_kind:     global_buffer
      - .address_space:  global
        .offset:         40
        .size:           8
        .value_kind:     global_buffer
      - .offset:         48
        .size:           4
        .value_kind:     by_value
      - .offset:         52
        .size:           4
        .value_kind:     by_value
      - .offset:         56
        .size:           4
        .value_kind:     by_value
      - .offset:         60
        .size:           4
        .value_kind:     by_value
      - .offset:         64
        .size:           4
        .value_kind:     by_value
      - .offset:         68
        .size:           4
        .value_kind:     by_value
    .group_segment_fixed_size: 0
    .kernarg_segment_align: 8
    .kernarg_segment_size: 72
    .language:       OpenCL C
    .language_version:
      - 2
      - 0
    .max_flat_workgroup_size: 512
    .name:           _ZN4vllm3moe17topkGatingSoftmaxIDF16_Li16ELi16ELi8ELi32ELb1ELi2ELNS0_23SharedExpertScoringFuncE1EEEvPKT_PKbPfiPiS9_iiiiii
    .private_segment_fixed_size: 0
    .sgpr_count:     53
    .sgpr_spill_count: 0
    .symbol:         _ZN4vllm3moe17topkGatingSoftmaxIDF16_Li16ELi16ELi8ELi32ELb1ELi2ELNS0_23SharedExpertScoringFuncE1EEEvPKT_PKbPfiPiS9_iiiiii.kd
    .uniform_work_group_size: 1
    .uses_dynamic_stack: false
    .vgpr_count:     41
    .vgpr_spill_count: 0
    .wavefront_size: 64
  - .agpr_count:     0
    .args:
      - .address_space:  global
        .offset:         0
        .size:           8
        .value_kind:     global_buffer
      - .address_space:  global
        .offset:         8
        .size:           8
        .value_kind:     global_buffer
      - .address_space:  global
        .offset:         16
        .size:           8
        .value_kind:     global_buffer
      - .offset:         24
        .size:           4
        .value_kind:     by_value
      - .address_space:  global
        .offset:         32
        .size:           8
        .value_kind:     global_buffer
      - .address_space:  global
        .offset:         40
        .size:           8
        .value_kind:     global_buffer
      - .offset:         48
        .size:           4
        .value_kind:     by_value
      - .offset:         52
        .size:           4
        .value_kind:     by_value
      - .offset:         56
        .size:           4
        .value_kind:     by_value
      - .offset:         60
        .size:           4
        .value_kind:     by_value
      - .offset:         64
        .size:           4
        .value_kind:     by_value
      - .offset:         68
        .size:           4
        .value_kind:     by_value
    .group_segment_fixed_size: 0
    .kernarg_segment_align: 8
    .kernarg_segment_size: 72
    .language:       OpenCL C
    .language_version:
      - 2
      - 0
    .max_flat_workgroup_size: 512
    .name:           _ZN4vllm3moe17topkGatingSoftmaxIDF16_Li16ELi16ELi8ELi32ELb0ELi2ELNS0_23SharedExpertScoringFuncE1EEEvPKT_PKbPfiPiS9_iiiiii
    .private_segment_fixed_size: 0
    .sgpr_count:     58
    .sgpr_spill_count: 0
    .symbol:         _ZN4vllm3moe17topkGatingSoftmaxIDF16_Li16ELi16ELi8ELi32ELb0ELi2ELNS0_23SharedExpertScoringFuncE1EEEvPKT_PKbPfiPiS9_iiiiii.kd
    .uniform_work_group_size: 1
    .uses_dynamic_stack: false
    .vgpr_count:     34
    .vgpr_spill_count: 0
    .wavefront_size: 64
  - .agpr_count:     0
    .args:
      - .address_space:  global
        .offset:         0
        .size:           8
        .value_kind:     global_buffer
      - .address_space:  global
        .offset:         8
        .size:           8
        .value_kind:     global_buffer
      - .address_space:  global
        .offset:         16
        .size:           8
        .value_kind:     global_buffer
      - .offset:         24
        .size:           4
        .value_kind:     by_value
      - .address_space:  global
        .offset:         32
        .size:           8
        .value_kind:     global_buffer
      - .address_space:  global
        .offset:         40
        .size:           8
        .value_kind:     global_buffer
      - .offset:         48
        .size:           4
        .value_kind:     by_value
      - .offset:         52
        .size:           4
        .value_kind:     by_value
      - .offset:         56
        .size:           4
        .value_kind:     by_value
      - .offset:         60
        .size:           4
        .value_kind:     by_value
      - .offset:         64
        .size:           4
        .value_kind:     by_value
      - .offset:         68
        .size:           4
        .value_kind:     by_value
    .group_segment_fixed_size: 0
    .kernarg_segment_align: 8
    .kernarg_segment_size: 72
    .language:       OpenCL C
    .language_version:
      - 2
      - 0
    .max_flat_workgroup_size: 512
    .name:           _ZN4vllm3moe17topkGatingSoftmaxIDF16_Li16ELi16ELi8ELi32ELb1ELi4ELNS0_23SharedExpertScoringFuncE1EEEvPKT_PKbPfiPiS9_iiiiii
    .private_segment_fixed_size: 0
    .sgpr_count:     53
    .sgpr_spill_count: 0
    .symbol:         _ZN4vllm3moe17topkGatingSoftmaxIDF16_Li16ELi16ELi8ELi32ELb1ELi4ELNS0_23SharedExpertScoringFuncE1EEEvPKT_PKbPfiPiS9_iiiiii.kd
    .uniform_work_group_size: 1
    .uses_dynamic_stack: false
    .vgpr_count:     41
    .vgpr_spill_count: 0
    .wavefront_size: 64
  - .agpr_count:     0
    .args:
      - .address_space:  global
        .offset:         0
        .size:           8
        .value_kind:     global_buffer
      - .address_space:  global
        .offset:         8
        .size:           8
        .value_kind:     global_buffer
      - .address_space:  global
        .offset:         16
        .size:           8
        .value_kind:     global_buffer
      - .offset:         24
        .size:           4
        .value_kind:     by_value
      - .address_space:  global
        .offset:         32
        .size:           8
        .value_kind:     global_buffer
      - .address_space:  global
        .offset:         40
        .size:           8
        .value_kind:     global_buffer
      - .offset:         48
        .size:           4
        .value_kind:     by_value
      - .offset:         52
        .size:           4
        .value_kind:     by_value
      - .offset:         56
        .size:           4
        .value_kind:     by_value
      - .offset:         60
        .size:           4
        .value_kind:     by_value
      - .offset:         64
        .size:           4
        .value_kind:     by_value
      - .offset:         68
        .size:           4
        .value_kind:     by_value
    .group_segment_fixed_size: 0
    .kernarg_segment_align: 8
    .kernarg_segment_size: 72
    .language:       OpenCL C
    .language_version:
      - 2
      - 0
    .max_flat_workgroup_size: 512
    .name:           _ZN4vllm3moe17topkGatingSoftmaxIDF16_Li16ELi16ELi8ELi32ELb0ELi4ELNS0_23SharedExpertScoringFuncE1EEEvPKT_PKbPfiPiS9_iiiiii
    .private_segment_fixed_size: 0
    .sgpr_count:     58
    .sgpr_spill_count: 0
    .symbol:         _ZN4vllm3moe17topkGatingSoftmaxIDF16_Li16ELi16ELi8ELi32ELb0ELi4ELNS0_23SharedExpertScoringFuncE1EEEvPKT_PKbPfiPiS9_iiiiii.kd
    .uniform_work_group_size: 1
    .uses_dynamic_stack: false
    .vgpr_count:     34
    .vgpr_spill_count: 0
    .wavefront_size: 64
  - .agpr_count:     0
    .args:
      - .address_space:  global
        .offset:         0
        .size:           8
        .value_kind:     global_buffer
      - .address_space:  global
        .offset:         8
        .size:           8
        .value_kind:     global_buffer
      - .address_space:  global
        .offset:         16
        .size:           8
        .value_kind:     global_buffer
      - .offset:         24
        .size:           4
        .value_kind:     by_value
      - .address_space:  global
        .offset:         32
        .size:           8
        .value_kind:     global_buffer
      - .address_space:  global
        .offset:         40
        .size:           8
        .value_kind:     global_buffer
      - .offset:         48
        .size:           4
        .value_kind:     by_value
      - .offset:         52
        .size:           4
        .value_kind:     by_value
      - .offset:         56
        .size:           4
        .value_kind:     by_value
      - .offset:         60
        .size:           4
        .value_kind:     by_value
      - .offset:         64
        .size:           4
        .value_kind:     by_value
      - .offset:         68
        .size:           4
        .value_kind:     by_value
    .group_segment_fixed_size: 0
    .kernarg_segment_align: 8
    .kernarg_segment_size: 72
    .language:       OpenCL C
    .language_version:
      - 2
      - 0
    .max_flat_workgroup_size: 512
    .name:           _ZN4vllm3moe17topkGatingSoftmaxIDF16_Li16ELi16ELi8ELi32ELb1ELi8ELNS0_23SharedExpertScoringFuncE1EEEvPKT_PKbPfiPiS9_iiiiii
    .private_segment_fixed_size: 0
    .sgpr_count:     53
    .sgpr_spill_count: 0
    .symbol:         _ZN4vllm3moe17topkGatingSoftmaxIDF16_Li16ELi16ELi8ELi32ELb1ELi8ELNS0_23SharedExpertScoringFuncE1EEEvPKT_PKbPfiPiS9_iiiiii.kd
    .uniform_work_group_size: 1
    .uses_dynamic_stack: false
    .vgpr_count:     37
    .vgpr_spill_count: 0
    .wavefront_size: 64
  - .agpr_count:     0
    .args:
      - .address_space:  global
        .offset:         0
        .size:           8
        .value_kind:     global_buffer
      - .address_space:  global
        .offset:         8
        .size:           8
        .value_kind:     global_buffer
      - .address_space:  global
        .offset:         16
        .size:           8
        .value_kind:     global_buffer
      - .offset:         24
        .size:           4
        .value_kind:     by_value
      - .address_space:  global
        .offset:         32
        .size:           8
        .value_kind:     global_buffer
      - .address_space:  global
        .offset:         40
        .size:           8
        .value_kind:     global_buffer
      - .offset:         48
        .size:           4
        .value_kind:     by_value
      - .offset:         52
        .size:           4
        .value_kind:     by_value
      - .offset:         56
        .size:           4
        .value_kind:     by_value
      - .offset:         60
        .size:           4
        .value_kind:     by_value
      - .offset:         64
        .size:           4
        .value_kind:     by_value
      - .offset:         68
        .size:           4
        .value_kind:     by_value
    .group_segment_fixed_size: 0
    .kernarg_segment_align: 8
    .kernarg_segment_size: 72
    .language:       OpenCL C
    .language_version:
      - 2
      - 0
    .max_flat_workgroup_size: 512
    .name:           _ZN4vllm3moe17topkGatingSoftmaxIDF16_Li16ELi16ELi8ELi32ELb0ELi8ELNS0_23SharedExpertScoringFuncE1EEEvPKT_PKbPfiPiS9_iiiiii
    .private_segment_fixed_size: 0
    .sgpr_count:     58
    .sgpr_spill_count: 0
    .symbol:         _ZN4vllm3moe17topkGatingSoftmaxIDF16_Li16ELi16ELi8ELi32ELb0ELi8ELNS0_23SharedExpertScoringFuncE1EEEvPKT_PKbPfiPiS9_iiiiii.kd
    .uniform_work_group_size: 1
    .uses_dynamic_stack: false
    .vgpr_count:     36
    .vgpr_spill_count: 0
    .wavefront_size: 64
  - .agpr_count:     0
    .args:
      - .address_space:  global
        .offset:         0
        .size:           8
        .value_kind:     global_buffer
      - .address_space:  global
        .offset:         8
        .size:           8
        .value_kind:     global_buffer
      - .address_space:  global
        .offset:         16
        .size:           8
        .value_kind:     global_buffer
      - .offset:         24
        .size:           4
        .value_kind:     by_value
      - .address_space:  global
        .offset:         32
        .size:           8
        .value_kind:     global_buffer
      - .address_space:  global
        .offset:         40
        .size:           8
        .value_kind:     global_buffer
      - .offset:         48
        .size:           4
        .value_kind:     by_value
      - .offset:         52
        .size:           4
        .value_kind:     by_value
      - .offset:         56
        .size:           4
        .value_kind:     by_value
      - .offset:         60
        .size:           4
        .value_kind:     by_value
      - .offset:         64
        .size:           4
        .value_kind:     by_value
      - .offset:         68
        .size:           4
        .value_kind:     by_value
    .group_segment_fixed_size: 0
    .kernarg_segment_align: 8
    .kernarg_segment_size: 72
    .language:       OpenCL C
    .language_version:
      - 2
      - 0
    .max_flat_workgroup_size: 512
    .name:           _ZN4vllm3moe17topkGatingSoftmaxIDF16_Li16ELi32ELi8ELi32ELb1ELi0ELNS0_23SharedExpertScoringFuncE0EEEvPKT_PKbPfiPiS9_iiiiii
    .private_segment_fixed_size: 0
    .sgpr_count:     58
    .sgpr_spill_count: 0
    .symbol:         _ZN4vllm3moe17topkGatingSoftmaxIDF16_Li16ELi32ELi8ELi32ELb1ELi0ELNS0_23SharedExpertScoringFuncE0EEEvPKT_PKbPfiPiS9_iiiiii.kd
    .uniform_work_group_size: 1
    .uses_dynamic_stack: false
    .vgpr_count:     49
    .vgpr_spill_count: 0
    .wavefront_size: 64
  - .agpr_count:     0
    .args:
      - .address_space:  global
        .offset:         0
        .size:           8
        .value_kind:     global_buffer
      - .address_space:  global
        .offset:         8
        .size:           8
        .value_kind:     global_buffer
      - .address_space:  global
        .offset:         16
        .size:           8
        .value_kind:     global_buffer
      - .offset:         24
        .size:           4
        .value_kind:     by_value
      - .address_space:  global
        .offset:         32
        .size:           8
        .value_kind:     global_buffer
      - .address_space:  global
        .offset:         40
        .size:           8
        .value_kind:     global_buffer
      - .offset:         48
        .size:           4
        .value_kind:     by_value
      - .offset:         52
        .size:           4
        .value_kind:     by_value
      - .offset:         56
        .size:           4
        .value_kind:     by_value
      - .offset:         60
        .size:           4
        .value_kind:     by_value
      - .offset:         64
        .size:           4
        .value_kind:     by_value
      - .offset:         68
        .size:           4
        .value_kind:     by_value
    .group_segment_fixed_size: 0
    .kernarg_segment_align: 8
    .kernarg_segment_size: 72
    .language:       OpenCL C
    .language_version:
      - 2
      - 0
    .max_flat_workgroup_size: 512
    .name:           _ZN4vllm3moe17topkGatingSoftmaxIDF16_Li16ELi32ELi8ELi32ELb0ELi0ELNS0_23SharedExpertScoringFuncE0EEEvPKT_PKbPfiPiS9_iiiiii
    .private_segment_fixed_size: 0
    .sgpr_count:     58
    .sgpr_spill_count: 0
    .symbol:         _ZN4vllm3moe17topkGatingSoftmaxIDF16_Li16ELi32ELi8ELi32ELb0ELi0ELNS0_23SharedExpertScoringFuncE0EEEvPKT_PKbPfiPiS9_iiiiii.kd
    .uniform_work_group_size: 1
    .uses_dynamic_stack: false
    .vgpr_count:     49
    .vgpr_spill_count: 0
    .wavefront_size: 64
  - .agpr_count:     0
    .args:
      - .address_space:  global
        .offset:         0
        .size:           8
        .value_kind:     global_buffer
      - .address_space:  global
        .offset:         8
        .size:           8
        .value_kind:     global_buffer
      - .address_space:  global
        .offset:         16
        .size:           8
        .value_kind:     global_buffer
      - .offset:         24
        .size:           4
        .value_kind:     by_value
      - .address_space:  global
        .offset:         32
        .size:           8
        .value_kind:     global_buffer
      - .address_space:  global
        .offset:         40
        .size:           8
        .value_kind:     global_buffer
      - .offset:         48
        .size:           4
        .value_kind:     by_value
      - .offset:         52
        .size:           4
        .value_kind:     by_value
      - .offset:         56
        .size:           4
        .value_kind:     by_value
      - .offset:         60
        .size:           4
        .value_kind:     by_value
      - .offset:         64
        .size:           4
        .value_kind:     by_value
      - .offset:         68
        .size:           4
        .value_kind:     by_value
    .group_segment_fixed_size: 0
    .kernarg_segment_align: 8
    .kernarg_segment_size: 72
    .language:       OpenCL C
    .language_version:
      - 2
      - 0
    .max_flat_workgroup_size: 512
    .name:           _ZN4vllm3moe17topkGatingSoftmaxIDF16_Li16ELi32ELi8ELi32ELb1ELi1ELNS0_23SharedExpertScoringFuncE1EEEvPKT_PKbPfiPiS9_iiiiii
    .private_segment_fixed_size: 0
    .sgpr_count:     58
    .sgpr_spill_count: 0
    .symbol:         _ZN4vllm3moe17topkGatingSoftmaxIDF16_Li16ELi32ELi8ELi32ELb1ELi1ELNS0_23SharedExpertScoringFuncE1EEEvPKT_PKbPfiPiS9_iiiiii.kd
    .uniform_work_group_size: 1
    .uses_dynamic_stack: false
    .vgpr_count:     49
    .vgpr_spill_count: 0
    .wavefront_size: 64
  - .agpr_count:     0
    .args:
      - .address_space:  global
        .offset:         0
        .size:           8
        .value_kind:     global_buffer
      - .address_space:  global
        .offset:         8
        .size:           8
        .value_kind:     global_buffer
      - .address_space:  global
        .offset:         16
        .size:           8
        .value_kind:     global_buffer
      - .offset:         24
        .size:           4
        .value_kind:     by_value
      - .address_space:  global
        .offset:         32
        .size:           8
        .value_kind:     global_buffer
      - .address_space:  global
        .offset:         40
        .size:           8
        .value_kind:     global_buffer
      - .offset:         48
        .size:           4
        .value_kind:     by_value
      - .offset:         52
        .size:           4
        .value_kind:     by_value
      - .offset:         56
        .size:           4
        .value_kind:     by_value
      - .offset:         60
        .size:           4
        .value_kind:     by_value
      - .offset:         64
        .size:           4
        .value_kind:     by_value
      - .offset:         68
        .size:           4
        .value_kind:     by_value
    .group_segment_fixed_size: 0
    .kernarg_segment_align: 8
    .kernarg_segment_size: 72
    .language:       OpenCL C
    .language_version:
      - 2
      - 0
    .max_flat_workgroup_size: 512
    .name:           _ZN4vllm3moe17topkGatingSoftmaxIDF16_Li16ELi32ELi8ELi32ELb0ELi1ELNS0_23SharedExpertScoringFuncE1EEEvPKT_PKbPfiPiS9_iiiiii
    .private_segment_fixed_size: 0
    .sgpr_count:     58
    .sgpr_spill_count: 0
    .symbol:         _ZN4vllm3moe17topkGatingSoftmaxIDF16_Li16ELi32ELi8ELi32ELb0ELi1ELNS0_23SharedExpertScoringFuncE1EEEvPKT_PKbPfiPiS9_iiiiii.kd
    .uniform_work_group_size: 1
    .uses_dynamic_stack: false
    .vgpr_count:     49
    .vgpr_spill_count: 0
    .wavefront_size: 64
  - .agpr_count:     0
    .args:
      - .address_space:  global
        .offset:         0
        .size:           8
        .value_kind:     global_buffer
      - .address_space:  global
        .offset:         8
        .size:           8
        .value_kind:     global_buffer
      - .address_space:  global
        .offset:         16
        .size:           8
        .value_kind:     global_buffer
      - .offset:         24
        .size:           4
        .value_kind:     by_value
      - .address_space:  global
        .offset:         32
        .size:           8
        .value_kind:     global_buffer
      - .address_space:  global
        .offset:         40
        .size:           8
        .value_kind:     global_buffer
      - .offset:         48
        .size:           4
        .value_kind:     by_value
      - .offset:         52
        .size:           4
        .value_kind:     by_value
      - .offset:         56
        .size:           4
        .value_kind:     by_value
      - .offset:         60
        .size:           4
        .value_kind:     by_value
      - .offset:         64
        .size:           4
        .value_kind:     by_value
      - .offset:         68
        .size:           4
        .value_kind:     by_value
    .group_segment_fixed_size: 0
    .kernarg_segment_align: 8
    .kernarg_segment_size: 72
    .language:       OpenCL C
    .language_version:
      - 2
      - 0
    .max_flat_workgroup_size: 512
    .name:           _ZN4vllm3moe17topkGatingSoftmaxIDF16_Li16ELi32ELi8ELi32ELb1ELi2ELNS0_23SharedExpertScoringFuncE1EEEvPKT_PKbPfiPiS9_iiiiii
    .private_segment_fixed_size: 0
    .sgpr_count:     57
    .sgpr_spill_count: 0
    .symbol:         _ZN4vllm3moe17topkGatingSoftmaxIDF16_Li16ELi32ELi8ELi32ELb1ELi2ELNS0_23SharedExpertScoringFuncE1EEEvPKT_PKbPfiPiS9_iiiiii.kd
    .uniform_work_group_size: 1
    .uses_dynamic_stack: false
    .vgpr_count:     49
    .vgpr_spill_count: 0
    .wavefront_size: 64
  - .agpr_count:     0
    .args:
      - .address_space:  global
        .offset:         0
        .size:           8
        .value_kind:     global_buffer
      - .address_space:  global
        .offset:         8
        .size:           8
        .value_kind:     global_buffer
      - .address_space:  global
        .offset:         16
        .size:           8
        .value_kind:     global_buffer
      - .offset:         24
        .size:           4
        .value_kind:     by_value
      - .address_space:  global
        .offset:         32
        .size:           8
        .value_kind:     global_buffer
      - .address_space:  global
        .offset:         40
        .size:           8
        .value_kind:     global_buffer
      - .offset:         48
        .size:           4
        .value_kind:     by_value
      - .offset:         52
        .size:           4
        .value_kind:     by_value
      - .offset:         56
        .size:           4
        .value_kind:     by_value
      - .offset:         60
        .size:           4
        .value_kind:     by_value
      - .offset:         64
        .size:           4
        .value_kind:     by_value
      - .offset:         68
        .size:           4
        .value_kind:     by_value
    .group_segment_fixed_size: 0
    .kernarg_segment_align: 8
    .kernarg_segment_size: 72
    .language:       OpenCL C
    .language_version:
      - 2
      - 0
    .max_flat_workgroup_size: 512
    .name:           _ZN4vllm3moe17topkGatingSoftmaxIDF16_Li16ELi32ELi8ELi32ELb0ELi2ELNS0_23SharedExpertScoringFuncE1EEEvPKT_PKbPfiPiS9_iiiiii
    .private_segment_fixed_size: 0
    .sgpr_count:     57
    .sgpr_spill_count: 0
    .symbol:         _ZN4vllm3moe17topkGatingSoftmaxIDF16_Li16ELi32ELi8ELi32ELb0ELi2ELNS0_23SharedExpertScoringFuncE1EEEvPKT_PKbPfiPiS9_iiiiii.kd
    .uniform_work_group_size: 1
    .uses_dynamic_stack: false
    .vgpr_count:     49
    .vgpr_spill_count: 0
    .wavefront_size: 64
  - .agpr_count:     0
    .args:
      - .address_space:  global
        .offset:         0
        .size:           8
        .value_kind:     global_buffer
      - .address_space:  global
        .offset:         8
        .size:           8
        .value_kind:     global_buffer
      - .address_space:  global
        .offset:         16
        .size:           8
        .value_kind:     global_buffer
      - .offset:         24
        .size:           4
        .value_kind:     by_value
      - .address_space:  global
        .offset:         32
        .size:           8
        .value_kind:     global_buffer
      - .address_space:  global
        .offset:         40
        .size:           8
        .value_kind:     global_buffer
      - .offset:         48
        .size:           4
        .value_kind:     by_value
      - .offset:         52
        .size:           4
        .value_kind:     by_value
      - .offset:         56
        .size:           4
        .value_kind:     by_value
      - .offset:         60
        .size:           4
        .value_kind:     by_value
      - .offset:         64
        .size:           4
        .value_kind:     by_value
      - .offset:         68
        .size:           4
        .value_kind:     by_value
    .group_segment_fixed_size: 0
    .kernarg_segment_align: 8
    .kernarg_segment_size: 72
    .language:       OpenCL C
    .language_version:
      - 2
      - 0
    .max_flat_workgroup_size: 512
    .name:           _ZN4vllm3moe17topkGatingSoftmaxIDF16_Li16ELi32ELi8ELi32ELb1ELi4ELNS0_23SharedExpertScoringFuncE1EEEvPKT_PKbPfiPiS9_iiiiii
    .private_segment_fixed_size: 0
    .sgpr_count:     57
    .sgpr_spill_count: 0
    .symbol:         _ZN4vllm3moe17topkGatingSoftmaxIDF16_Li16ELi32ELi8ELi32ELb1ELi4ELNS0_23SharedExpertScoringFuncE1EEEvPKT_PKbPfiPiS9_iiiiii.kd
    .uniform_work_group_size: 1
    .uses_dynamic_stack: false
    .vgpr_count:     49
    .vgpr_spill_count: 0
    .wavefront_size: 64
  - .agpr_count:     0
    .args:
      - .address_space:  global
        .offset:         0
        .size:           8
        .value_kind:     global_buffer
      - .address_space:  global
        .offset:         8
        .size:           8
        .value_kind:     global_buffer
      - .address_space:  global
        .offset:         16
        .size:           8
        .value_kind:     global_buffer
      - .offset:         24
        .size:           4
        .value_kind:     by_value
      - .address_space:  global
        .offset:         32
        .size:           8
        .value_kind:     global_buffer
      - .address_space:  global
        .offset:         40
        .size:           8
        .value_kind:     global_buffer
      - .offset:         48
        .size:           4
        .value_kind:     by_value
      - .offset:         52
        .size:           4
        .value_kind:     by_value
      - .offset:         56
        .size:           4
        .value_kind:     by_value
      - .offset:         60
        .size:           4
        .value_kind:     by_value
      - .offset:         64
        .size:           4
        .value_kind:     by_value
      - .offset:         68
        .size:           4
        .value_kind:     by_value
    .group_segment_fixed_size: 0
    .kernarg_segment_align: 8
    .kernarg_segment_size: 72
    .language:       OpenCL C
    .language_version:
      - 2
      - 0
    .max_flat_workgroup_size: 512
    .name:           _ZN4vllm3moe17topkGatingSoftmaxIDF16_Li16ELi32ELi8ELi32ELb0ELi4ELNS0_23SharedExpertScoringFuncE1EEEvPKT_PKbPfiPiS9_iiiiii
    .private_segment_fixed_size: 0
    .sgpr_count:     57
    .sgpr_spill_count: 0
    .symbol:         _ZN4vllm3moe17topkGatingSoftmaxIDF16_Li16ELi32ELi8ELi32ELb0ELi4ELNS0_23SharedExpertScoringFuncE1EEEvPKT_PKbPfiPiS9_iiiiii.kd
    .uniform_work_group_size: 1
    .uses_dynamic_stack: false
    .vgpr_count:     49
    .vgpr_spill_count: 0
    .wavefront_size: 64
  - .agpr_count:     0
    .args:
      - .address_space:  global
        .offset:         0
        .size:           8
        .value_kind:     global_buffer
      - .address_space:  global
        .offset:         8
        .size:           8
        .value_kind:     global_buffer
      - .address_space:  global
        .offset:         16
        .size:           8
        .value_kind:     global_buffer
      - .offset:         24
        .size:           4
        .value_kind:     by_value
      - .address_space:  global
        .offset:         32
        .size:           8
        .value_kind:     global_buffer
      - .address_space:  global
        .offset:         40
        .size:           8
        .value_kind:     global_buffer
      - .offset:         48
        .size:           4
        .value_kind:     by_value
      - .offset:         52
        .size:           4
        .value_kind:     by_value
      - .offset:         56
        .size:           4
        .value_kind:     by_value
      - .offset:         60
        .size:           4
        .value_kind:     by_value
      - .offset:         64
        .size:           4
        .value_kind:     by_value
      - .offset:         68
        .size:           4
        .value_kind:     by_value
    .group_segment_fixed_size: 0
    .kernarg_segment_align: 8
    .kernarg_segment_size: 72
    .language:       OpenCL C
    .language_version:
      - 2
      - 0
    .max_flat_workgroup_size: 512
    .name:           _ZN4vllm3moe17topkGatingSoftmaxIDF16_Li16ELi32ELi8ELi32ELb1ELi8ELNS0_23SharedExpertScoringFuncE1EEEvPKT_PKbPfiPiS9_iiiiii
    .private_segment_fixed_size: 0
    .sgpr_count:     57
    .sgpr_spill_count: 0
    .symbol:         _ZN4vllm3moe17topkGatingSoftmaxIDF16_Li16ELi32ELi8ELi32ELb1ELi8ELNS0_23SharedExpertScoringFuncE1EEEvPKT_PKbPfiPiS9_iiiiii.kd
    .uniform_work_group_size: 1
    .uses_dynamic_stack: false
    .vgpr_count:     49
    .vgpr_spill_count: 0
    .wavefront_size: 64
  - .agpr_count:     0
    .args:
      - .address_space:  global
        .offset:         0
        .size:           8
        .value_kind:     global_buffer
      - .address_space:  global
        .offset:         8
        .size:           8
        .value_kind:     global_buffer
      - .address_space:  global
        .offset:         16
        .size:           8
        .value_kind:     global_buffer
      - .offset:         24
        .size:           4
        .value_kind:     by_value
      - .address_space:  global
        .offset:         32
        .size:           8
        .value_kind:     global_buffer
      - .address_space:  global
        .offset:         40
        .size:           8
        .value_kind:     global_buffer
      - .offset:         48
        .size:           4
        .value_kind:     by_value
      - .offset:         52
        .size:           4
        .value_kind:     by_value
      - .offset:         56
        .size:           4
        .value_kind:     by_value
      - .offset:         60
        .size:           4
        .value_kind:     by_value
      - .offset:         64
        .size:           4
        .value_kind:     by_value
      - .offset:         68
        .size:           4
        .value_kind:     by_value
    .group_segment_fixed_size: 0
    .kernarg_segment_align: 8
    .kernarg_segment_size: 72
    .language:       OpenCL C
    .language_version:
      - 2
      - 0
    .max_flat_workgroup_size: 512
    .name:           _ZN4vllm3moe17topkGatingSoftmaxIDF16_Li16ELi32ELi8ELi32ELb0ELi8ELNS0_23SharedExpertScoringFuncE1EEEvPKT_PKbPfiPiS9_iiiiii
    .private_segment_fixed_size: 0
    .sgpr_count:     57
    .sgpr_spill_count: 0
    .symbol:         _ZN4vllm3moe17topkGatingSoftmaxIDF16_Li16ELi32ELi8ELi32ELb0ELi8ELNS0_23SharedExpertScoringFuncE1EEEvPKT_PKbPfiPiS9_iiiiii.kd
    .uniform_work_group_size: 1
    .uses_dynamic_stack: false
    .vgpr_count:     49
    .vgpr_spill_count: 0
    .wavefront_size: 64
  - .agpr_count:     0
    .args:
      - .address_space:  global
        .offset:         0
        .size:           8
        .value_kind:     global_buffer
      - .address_space:  global
        .offset:         8
        .size:           8
        .value_kind:     global_buffer
      - .address_space:  global
        .offset:         16
        .size:           8
        .value_kind:     global_buffer
      - .offset:         24
        .size:           4
        .value_kind:     by_value
      - .address_space:  global
        .offset:         32
        .size:           8
        .value_kind:     global_buffer
      - .address_space:  global
        .offset:         40
        .size:           8
        .value_kind:     global_buffer
      - .offset:         48
        .size:           4
        .value_kind:     by_value
      - .offset:         52
        .size:           4
        .value_kind:     by_value
      - .offset:         56
        .size:           4
        .value_kind:     by_value
      - .offset:         60
        .size:           4
        .value_kind:     by_value
      - .offset:         64
        .size:           4
        .value_kind:     by_value
      - .offset:         68
        .size:           4
        .value_kind:     by_value
    .group_segment_fixed_size: 0
    .kernarg_segment_align: 8
    .kernarg_segment_size: 72
    .language:       OpenCL C
    .language_version:
      - 2
      - 0
    .max_flat_workgroup_size: 512
    .name:           _ZN4vllm3moe17topkGatingSoftmaxIDF16_Li16ELi64ELi8ELi32ELb1ELi0ELNS0_23SharedExpertScoringFuncE0EEEvPKT_PKbPfiPiS9_iiiiii
    .private_segment_fixed_size: 0
    .sgpr_count:     58
    .sgpr_spill_count: 0
    .symbol:         _ZN4vllm3moe17topkGatingSoftmaxIDF16_Li16ELi64ELi8ELi32ELb1ELi0ELNS0_23SharedExpertScoringFuncE0EEEvPKT_PKbPfiPiS9_iiiiii.kd
    .uniform_work_group_size: 1
    .uses_dynamic_stack: false
    .vgpr_count:     49
    .vgpr_spill_count: 0
    .wavefront_size: 64
  - .agpr_count:     0
    .args:
      - .address_space:  global
        .offset:         0
        .size:           8
        .value_kind:     global_buffer
      - .address_space:  global
        .offset:         8
        .size:           8
        .value_kind:     global_buffer
      - .address_space:  global
        .offset:         16
        .size:           8
        .value_kind:     global_buffer
      - .offset:         24
        .size:           4
        .value_kind:     by_value
      - .address_space:  global
        .offset:         32
        .size:           8
        .value_kind:     global_buffer
      - .address_space:  global
        .offset:         40
        .size:           8
        .value_kind:     global_buffer
      - .offset:         48
        .size:           4
        .value_kind:     by_value
      - .offset:         52
        .size:           4
        .value_kind:     by_value
      - .offset:         56
        .size:           4
        .value_kind:     by_value
      - .offset:         60
        .size:           4
        .value_kind:     by_value
      - .offset:         64
        .size:           4
        .value_kind:     by_value
      - .offset:         68
        .size:           4
        .value_kind:     by_value
    .group_segment_fixed_size: 0
    .kernarg_segment_align: 8
    .kernarg_segment_size: 72
    .language:       OpenCL C
    .language_version:
      - 2
      - 0
    .max_flat_workgroup_size: 512
    .name:           _ZN4vllm3moe17topkGatingSoftmaxIDF16_Li16ELi64ELi8ELi32ELb0ELi0ELNS0_23SharedExpertScoringFuncE0EEEvPKT_PKbPfiPiS9_iiiiii
    .private_segment_fixed_size: 0
    .sgpr_count:     58
    .sgpr_spill_count: 0
    .symbol:         _ZN4vllm3moe17topkGatingSoftmaxIDF16_Li16ELi64ELi8ELi32ELb0ELi0ELNS0_23SharedExpertScoringFuncE0EEEvPKT_PKbPfiPiS9_iiiiii.kd
    .uniform_work_group_size: 1
    .uses_dynamic_stack: false
    .vgpr_count:     49
    .vgpr_spill_count: 0
    .wavefront_size: 64
  - .agpr_count:     0
    .args:
      - .address_space:  global
        .offset:         0
        .size:           8
        .value_kind:     global_buffer
      - .address_space:  global
        .offset:         8
        .size:           8
        .value_kind:     global_buffer
      - .address_space:  global
        .offset:         16
        .size:           8
        .value_kind:     global_buffer
      - .offset:         24
        .size:           4
        .value_kind:     by_value
      - .address_space:  global
        .offset:         32
        .size:           8
        .value_kind:     global_buffer
      - .address_space:  global
        .offset:         40
        .size:           8
        .value_kind:     global_buffer
      - .offset:         48
        .size:           4
        .value_kind:     by_value
      - .offset:         52
        .size:           4
        .value_kind:     by_value
      - .offset:         56
        .size:           4
        .value_kind:     by_value
      - .offset:         60
        .size:           4
        .value_kind:     by_value
      - .offset:         64
        .size:           4
        .value_kind:     by_value
      - .offset:         68
        .size:           4
        .value_kind:     by_value
    .group_segment_fixed_size: 0
    .kernarg_segment_align: 8
    .kernarg_segment_size: 72
    .language:       OpenCL C
    .language_version:
      - 2
      - 0
    .max_flat_workgroup_size: 512
    .name:           _ZN4vllm3moe17topkGatingSoftmaxIDF16_Li16ELi64ELi8ELi32ELb1ELi1ELNS0_23SharedExpertScoringFuncE1EEEvPKT_PKbPfiPiS9_iiiiii
    .private_segment_fixed_size: 0
    .sgpr_count:     58
    .sgpr_spill_count: 0
    .symbol:         _ZN4vllm3moe17topkGatingSoftmaxIDF16_Li16ELi64ELi8ELi32ELb1ELi1ELNS0_23SharedExpertScoringFuncE1EEEvPKT_PKbPfiPiS9_iiiiii.kd
    .uniform_work_group_size: 1
    .uses_dynamic_stack: false
    .vgpr_count:     49
    .vgpr_spill_count: 0
    .wavefront_size: 64
  - .agpr_count:     0
    .args:
      - .address_space:  global
        .offset:         0
        .size:           8
        .value_kind:     global_buffer
      - .address_space:  global
        .offset:         8
        .size:           8
        .value_kind:     global_buffer
      - .address_space:  global
        .offset:         16
        .size:           8
        .value_kind:     global_buffer
      - .offset:         24
        .size:           4
        .value_kind:     by_value
      - .address_space:  global
        .offset:         32
        .size:           8
        .value_kind:     global_buffer
      - .address_space:  global
        .offset:         40
        .size:           8
        .value_kind:     global_buffer
      - .offset:         48
        .size:           4
        .value_kind:     by_value
      - .offset:         52
        .size:           4
        .value_kind:     by_value
      - .offset:         56
        .size:           4
        .value_kind:     by_value
      - .offset:         60
        .size:           4
        .value_kind:     by_value
      - .offset:         64
        .size:           4
        .value_kind:     by_value
      - .offset:         68
        .size:           4
        .value_kind:     by_value
    .group_segment_fixed_size: 0
    .kernarg_segment_align: 8
    .kernarg_segment_size: 72
    .language:       OpenCL C
    .language_version:
      - 2
      - 0
    .max_flat_workgroup_size: 512
    .name:           _ZN4vllm3moe17topkGatingSoftmaxIDF16_Li16ELi64ELi8ELi32ELb0ELi1ELNS0_23SharedExpertScoringFuncE1EEEvPKT_PKbPfiPiS9_iiiiii
    .private_segment_fixed_size: 0
    .sgpr_count:     58
    .sgpr_spill_count: 0
    .symbol:         _ZN4vllm3moe17topkGatingSoftmaxIDF16_Li16ELi64ELi8ELi32ELb0ELi1ELNS0_23SharedExpertScoringFuncE1EEEvPKT_PKbPfiPiS9_iiiiii.kd
    .uniform_work_group_size: 1
    .uses_dynamic_stack: false
    .vgpr_count:     49
    .vgpr_spill_count: 0
    .wavefront_size: 64
  - .agpr_count:     0
    .args:
      - .address_space:  global
        .offset:         0
        .size:           8
        .value_kind:     global_buffer
      - .address_space:  global
        .offset:         8
        .size:           8
        .value_kind:     global_buffer
      - .address_space:  global
        .offset:         16
        .size:           8
        .value_kind:     global_buffer
      - .offset:         24
        .size:           4
        .value_kind:     by_value
      - .address_space:  global
        .offset:         32
        .size:           8
        .value_kind:     global_buffer
      - .address_space:  global
        .offset:         40
        .size:           8
        .value_kind:     global_buffer
      - .offset:         48
        .size:           4
        .value_kind:     by_value
      - .offset:         52
        .size:           4
        .value_kind:     by_value
      - .offset:         56
        .size:           4
        .value_kind:     by_value
      - .offset:         60
        .size:           4
        .value_kind:     by_value
      - .offset:         64
        .size:           4
        .value_kind:     by_value
      - .offset:         68
        .size:           4
        .value_kind:     by_value
    .group_segment_fixed_size: 0
    .kernarg_segment_align: 8
    .kernarg_segment_size: 72
    .language:       OpenCL C
    .language_version:
      - 2
      - 0
    .max_flat_workgroup_size: 512
    .name:           _ZN4vllm3moe17topkGatingSoftmaxIDF16_Li16ELi64ELi8ELi32ELb1ELi2ELNS0_23SharedExpertScoringFuncE1EEEvPKT_PKbPfiPiS9_iiiiii
    .private_segment_fixed_size: 0
    .sgpr_count:     58
    .sgpr_spill_count: 0
    .symbol:         _ZN4vllm3moe17topkGatingSoftmaxIDF16_Li16ELi64ELi8ELi32ELb1ELi2ELNS0_23SharedExpertScoringFuncE1EEEvPKT_PKbPfiPiS9_iiiiii.kd
    .uniform_work_group_size: 1
    .uses_dynamic_stack: false
    .vgpr_count:     49
    .vgpr_spill_count: 0
    .wavefront_size: 64
  - .agpr_count:     0
    .args:
      - .address_space:  global
        .offset:         0
        .size:           8
        .value_kind:     global_buffer
      - .address_space:  global
        .offset:         8
        .size:           8
        .value_kind:     global_buffer
      - .address_space:  global
        .offset:         16
        .size:           8
        .value_kind:     global_buffer
      - .offset:         24
        .size:           4
        .value_kind:     by_value
      - .address_space:  global
        .offset:         32
        .size:           8
        .value_kind:     global_buffer
      - .address_space:  global
        .offset:         40
        .size:           8
        .value_kind:     global_buffer
      - .offset:         48
        .size:           4
        .value_kind:     by_value
      - .offset:         52
        .size:           4
        .value_kind:     by_value
      - .offset:         56
        .size:           4
        .value_kind:     by_value
      - .offset:         60
        .size:           4
        .value_kind:     by_value
      - .offset:         64
        .size:           4
        .value_kind:     by_value
      - .offset:         68
        .size:           4
        .value_kind:     by_value
    .group_segment_fixed_size: 0
    .kernarg_segment_align: 8
    .kernarg_segment_size: 72
    .language:       OpenCL C
    .language_version:
      - 2
      - 0
    .max_flat_workgroup_size: 512
    .name:           _ZN4vllm3moe17topkGatingSoftmaxIDF16_Li16ELi64ELi8ELi32ELb0ELi2ELNS0_23SharedExpertScoringFuncE1EEEvPKT_PKbPfiPiS9_iiiiii
    .private_segment_fixed_size: 0
    .sgpr_count:     58
    .sgpr_spill_count: 0
    .symbol:         _ZN4vllm3moe17topkGatingSoftmaxIDF16_Li16ELi64ELi8ELi32ELb0ELi2ELNS0_23SharedExpertScoringFuncE1EEEvPKT_PKbPfiPiS9_iiiiii.kd
    .uniform_work_group_size: 1
    .uses_dynamic_stack: false
    .vgpr_count:     49
    .vgpr_spill_count: 0
    .wavefront_size: 64
  - .agpr_count:     0
    .args:
      - .address_space:  global
        .offset:         0
        .size:           8
        .value_kind:     global_buffer
      - .address_space:  global
        .offset:         8
        .size:           8
        .value_kind:     global_buffer
      - .address_space:  global
        .offset:         16
        .size:           8
        .value_kind:     global_buffer
      - .offset:         24
        .size:           4
        .value_kind:     by_value
      - .address_space:  global
        .offset:         32
        .size:           8
        .value_kind:     global_buffer
      - .address_space:  global
        .offset:         40
        .size:           8
        .value_kind:     global_buffer
      - .offset:         48
        .size:           4
        .value_kind:     by_value
      - .offset:         52
        .size:           4
        .value_kind:     by_value
      - .offset:         56
        .size:           4
        .value_kind:     by_value
      - .offset:         60
        .size:           4
        .value_kind:     by_value
      - .offset:         64
        .size:           4
        .value_kind:     by_value
      - .offset:         68
        .size:           4
        .value_kind:     by_value
    .group_segment_fixed_size: 0
    .kernarg_segment_align: 8
    .kernarg_segment_size: 72
    .language:       OpenCL C
    .language_version:
      - 2
      - 0
    .max_flat_workgroup_size: 512
    .name:           _ZN4vllm3moe17topkGatingSoftmaxIDF16_Li16ELi64ELi8ELi32ELb1ELi4ELNS0_23SharedExpertScoringFuncE1EEEvPKT_PKbPfiPiS9_iiiiii
    .private_segment_fixed_size: 0
    .sgpr_count:     57
    .sgpr_spill_count: 0
    .symbol:         _ZN4vllm3moe17topkGatingSoftmaxIDF16_Li16ELi64ELi8ELi32ELb1ELi4ELNS0_23SharedExpertScoringFuncE1EEEvPKT_PKbPfiPiS9_iiiiii.kd
    .uniform_work_group_size: 1
    .uses_dynamic_stack: false
    .vgpr_count:     49
    .vgpr_spill_count: 0
    .wavefront_size: 64
  - .agpr_count:     0
    .args:
      - .address_space:  global
        .offset:         0
        .size:           8
        .value_kind:     global_buffer
      - .address_space:  global
        .offset:         8
        .size:           8
        .value_kind:     global_buffer
      - .address_space:  global
        .offset:         16
        .size:           8
        .value_kind:     global_buffer
      - .offset:         24
        .size:           4
        .value_kind:     by_value
      - .address_space:  global
        .offset:         32
        .size:           8
        .value_kind:     global_buffer
      - .address_space:  global
        .offset:         40
        .size:           8
        .value_kind:     global_buffer
      - .offset:         48
        .size:           4
        .value_kind:     by_value
      - .offset:         52
        .size:           4
        .value_kind:     by_value
      - .offset:         56
        .size:           4
        .value_kind:     by_value
      - .offset:         60
        .size:           4
        .value_kind:     by_value
      - .offset:         64
        .size:           4
        .value_kind:     by_value
      - .offset:         68
        .size:           4
        .value_kind:     by_value
    .group_segment_fixed_size: 0
    .kernarg_segment_align: 8
    .kernarg_segment_size: 72
    .language:       OpenCL C
    .language_version:
      - 2
      - 0
    .max_flat_workgroup_size: 512
    .name:           _ZN4vllm3moe17topkGatingSoftmaxIDF16_Li16ELi64ELi8ELi32ELb0ELi4ELNS0_23SharedExpertScoringFuncE1EEEvPKT_PKbPfiPiS9_iiiiii
    .private_segment_fixed_size: 0
    .sgpr_count:     57
    .sgpr_spill_count: 0
    .symbol:         _ZN4vllm3moe17topkGatingSoftmaxIDF16_Li16ELi64ELi8ELi32ELb0ELi4ELNS0_23SharedExpertScoringFuncE1EEEvPKT_PKbPfiPiS9_iiiiii.kd
    .uniform_work_group_size: 1
    .uses_dynamic_stack: false
    .vgpr_count:     49
    .vgpr_spill_count: 0
    .wavefront_size: 64
  - .agpr_count:     0
    .args:
      - .address_space:  global
        .offset:         0
        .size:           8
        .value_kind:     global_buffer
      - .address_space:  global
        .offset:         8
        .size:           8
        .value_kind:     global_buffer
      - .address_space:  global
        .offset:         16
        .size:           8
        .value_kind:     global_buffer
      - .offset:         24
        .size:           4
        .value_kind:     by_value
      - .address_space:  global
        .offset:         32
        .size:           8
        .value_kind:     global_buffer
      - .address_space:  global
        .offset:         40
        .size:           8
        .value_kind:     global_buffer
      - .offset:         48
        .size:           4
        .value_kind:     by_value
      - .offset:         52
        .size:           4
        .value_kind:     by_value
      - .offset:         56
        .size:           4
        .value_kind:     by_value
      - .offset:         60
        .size:           4
        .value_kind:     by_value
      - .offset:         64
        .size:           4
        .value_kind:     by_value
      - .offset:         68
        .size:           4
        .value_kind:     by_value
    .group_segment_fixed_size: 0
    .kernarg_segment_align: 8
    .kernarg_segment_size: 72
    .language:       OpenCL C
    .language_version:
      - 2
      - 0
    .max_flat_workgroup_size: 512
    .name:           _ZN4vllm3moe17topkGatingSoftmaxIDF16_Li16ELi64ELi8ELi32ELb1ELi8ELNS0_23SharedExpertScoringFuncE1EEEvPKT_PKbPfiPiS9_iiiiii
    .private_segment_fixed_size: 0
    .sgpr_count:     57
    .sgpr_spill_count: 0
    .symbol:         _ZN4vllm3moe17topkGatingSoftmaxIDF16_Li16ELi64ELi8ELi32ELb1ELi8ELNS0_23SharedExpertScoringFuncE1EEEvPKT_PKbPfiPiS9_iiiiii.kd
    .uniform_work_group_size: 1
    .uses_dynamic_stack: false
    .vgpr_count:     49
    .vgpr_spill_count: 0
    .wavefront_size: 64
  - .agpr_count:     0
    .args:
      - .address_space:  global
        .offset:         0
        .size:           8
        .value_kind:     global_buffer
      - .address_space:  global
        .offset:         8
        .size:           8
        .value_kind:     global_buffer
      - .address_space:  global
        .offset:         16
        .size:           8
        .value_kind:     global_buffer
      - .offset:         24
        .size:           4
        .value_kind:     by_value
      - .address_space:  global
        .offset:         32
        .size:           8
        .value_kind:     global_buffer
      - .address_space:  global
        .offset:         40
        .size:           8
        .value_kind:     global_buffer
      - .offset:         48
        .size:           4
        .value_kind:     by_value
      - .offset:         52
        .size:           4
        .value_kind:     by_value
      - .offset:         56
        .size:           4
        .value_kind:     by_value
      - .offset:         60
        .size:           4
        .value_kind:     by_value
      - .offset:         64
        .size:           4
        .value_kind:     by_value
      - .offset:         68
        .size:           4
        .value_kind:     by_value
    .group_segment_fixed_size: 0
    .kernarg_segment_align: 8
    .kernarg_segment_size: 72
    .language:       OpenCL C
    .language_version:
      - 2
      - 0
    .max_flat_workgroup_size: 512
    .name:           _ZN4vllm3moe17topkGatingSoftmaxIDF16_Li16ELi64ELi8ELi32ELb0ELi8ELNS0_23SharedExpertScoringFuncE1EEEvPKT_PKbPfiPiS9_iiiiii
    .private_segment_fixed_size: 0
    .sgpr_count:     57
    .sgpr_spill_count: 0
    .symbol:         _ZN4vllm3moe17topkGatingSoftmaxIDF16_Li16ELi64ELi8ELi32ELb0ELi8ELNS0_23SharedExpertScoringFuncE1EEEvPKT_PKbPfiPiS9_iiiiii.kd
    .uniform_work_group_size: 1
    .uses_dynamic_stack: false
    .vgpr_count:     49
    .vgpr_spill_count: 0
    .wavefront_size: 64
  - .agpr_count:     0
    .args:
      - .address_space:  global
        .offset:         0
        .size:           8
        .value_kind:     global_buffer
      - .address_space:  global
        .offset:         8
        .size:           8
        .value_kind:     global_buffer
      - .address_space:  global
        .offset:         16
        .size:           8
        .value_kind:     global_buffer
      - .offset:         24
        .size:           4
        .value_kind:     by_value
      - .address_space:  global
        .offset:         32
        .size:           8
        .value_kind:     global_buffer
      - .address_space:  global
        .offset:         40
        .size:           8
        .value_kind:     global_buffer
      - .offset:         48
        .size:           4
        .value_kind:     by_value
      - .offset:         52
        .size:           4
        .value_kind:     by_value
      - .offset:         56
        .size:           4
        .value_kind:     by_value
      - .offset:         60
        .size:           4
        .value_kind:     by_value
      - .offset:         64
        .size:           4
        .value_kind:     by_value
      - .offset:         68
        .size:           4
        .value_kind:     by_value
    .group_segment_fixed_size: 0
    .kernarg_segment_align: 8
    .kernarg_segment_size: 72
    .language:       OpenCL C
    .language_version:
      - 2
      - 0
    .max_flat_workgroup_size: 512
    .name:           _ZN4vllm3moe17topkGatingSoftmaxIDF16_Li16ELi128ELi8ELi32ELb1ELi0ELNS0_23SharedExpertScoringFuncE0EEEvPKT_PKbPfiPiS9_iiiiii
    .private_segment_fixed_size: 0
    .sgpr_count:     58
    .sgpr_spill_count: 0
    .symbol:         _ZN4vllm3moe17topkGatingSoftmaxIDF16_Li16ELi128ELi8ELi32ELb1ELi0ELNS0_23SharedExpertScoringFuncE0EEEvPKT_PKbPfiPiS9_iiiiii.kd
    .uniform_work_group_size: 1
    .uses_dynamic_stack: false
    .vgpr_count:     50
    .vgpr_spill_count: 0
    .wavefront_size: 64
  - .agpr_count:     0
    .args:
      - .address_space:  global
        .offset:         0
        .size:           8
        .value_kind:     global_buffer
      - .address_space:  global
        .offset:         8
        .size:           8
        .value_kind:     global_buffer
      - .address_space:  global
        .offset:         16
        .size:           8
        .value_kind:     global_buffer
      - .offset:         24
        .size:           4
        .value_kind:     by_value
      - .address_space:  global
        .offset:         32
        .size:           8
        .value_kind:     global_buffer
      - .address_space:  global
        .offset:         40
        .size:           8
        .value_kind:     global_buffer
      - .offset:         48
        .size:           4
        .value_kind:     by_value
      - .offset:         52
        .size:           4
        .value_kind:     by_value
      - .offset:         56
        .size:           4
        .value_kind:     by_value
      - .offset:         60
        .size:           4
        .value_kind:     by_value
      - .offset:         64
        .size:           4
        .value_kind:     by_value
      - .offset:         68
        .size:           4
        .value_kind:     by_value
    .group_segment_fixed_size: 0
    .kernarg_segment_align: 8
    .kernarg_segment_size: 72
    .language:       OpenCL C
    .language_version:
      - 2
      - 0
    .max_flat_workgroup_size: 512
    .name:           _ZN4vllm3moe17topkGatingSoftmaxIDF16_Li16ELi128ELi8ELi32ELb0ELi0ELNS0_23SharedExpertScoringFuncE0EEEvPKT_PKbPfiPiS9_iiiiii
    .private_segment_fixed_size: 0
    .sgpr_count:     58
    .sgpr_spill_count: 0
    .symbol:         _ZN4vllm3moe17topkGatingSoftmaxIDF16_Li16ELi128ELi8ELi32ELb0ELi0ELNS0_23SharedExpertScoringFuncE0EEEvPKT_PKbPfiPiS9_iiiiii.kd
    .uniform_work_group_size: 1
    .uses_dynamic_stack: false
    .vgpr_count:     50
    .vgpr_spill_count: 0
    .wavefront_size: 64
  - .agpr_count:     0
    .args:
      - .address_space:  global
        .offset:         0
        .size:           8
        .value_kind:     global_buffer
      - .address_space:  global
        .offset:         8
        .size:           8
        .value_kind:     global_buffer
      - .address_space:  global
        .offset:         16
        .size:           8
        .value_kind:     global_buffer
      - .offset:         24
        .size:           4
        .value_kind:     by_value
      - .address_space:  global
        .offset:         32
        .size:           8
        .value_kind:     global_buffer
      - .address_space:  global
        .offset:         40
        .size:           8
        .value_kind:     global_buffer
      - .offset:         48
        .size:           4
        .value_kind:     by_value
      - .offset:         52
        .size:           4
        .value_kind:     by_value
      - .offset:         56
        .size:           4
        .value_kind:     by_value
      - .offset:         60
        .size:           4
        .value_kind:     by_value
      - .offset:         64
        .size:           4
        .value_kind:     by_value
      - .offset:         68
        .size:           4
        .value_kind:     by_value
    .group_segment_fixed_size: 0
    .kernarg_segment_align: 8
    .kernarg_segment_size: 72
    .language:       OpenCL C
    .language_version:
      - 2
      - 0
    .max_flat_workgroup_size: 512
    .name:           _ZN4vllm3moe17topkGatingSoftmaxIDF16_Li16ELi128ELi8ELi32ELb1ELi1ELNS0_23SharedExpertScoringFuncE1EEEvPKT_PKbPfiPiS9_iiiiii
    .private_segment_fixed_size: 0
    .sgpr_count:     58
    .sgpr_spill_count: 0
    .symbol:         _ZN4vllm3moe17topkGatingSoftmaxIDF16_Li16ELi128ELi8ELi32ELb1ELi1ELNS0_23SharedExpertScoringFuncE1EEEvPKT_PKbPfiPiS9_iiiiii.kd
    .uniform_work_group_size: 1
    .uses_dynamic_stack: false
    .vgpr_count:     50
    .vgpr_spill_count: 0
    .wavefront_size: 64
  - .agpr_count:     0
    .args:
      - .address_space:  global
        .offset:         0
        .size:           8
        .value_kind:     global_buffer
      - .address_space:  global
        .offset:         8
        .size:           8
        .value_kind:     global_buffer
      - .address_space:  global
        .offset:         16
        .size:           8
        .value_kind:     global_buffer
      - .offset:         24
        .size:           4
        .value_kind:     by_value
      - .address_space:  global
        .offset:         32
        .size:           8
        .value_kind:     global_buffer
      - .address_space:  global
        .offset:         40
        .size:           8
        .value_kind:     global_buffer
      - .offset:         48
        .size:           4
        .value_kind:     by_value
      - .offset:         52
        .size:           4
        .value_kind:     by_value
      - .offset:         56
        .size:           4
        .value_kind:     by_value
      - .offset:         60
        .size:           4
        .value_kind:     by_value
      - .offset:         64
        .size:           4
        .value_kind:     by_value
      - .offset:         68
        .size:           4
        .value_kind:     by_value
    .group_segment_fixed_size: 0
    .kernarg_segment_align: 8
    .kernarg_segment_size: 72
    .language:       OpenCL C
    .language_version:
      - 2
      - 0
    .max_flat_workgroup_size: 512
    .name:           _ZN4vllm3moe17topkGatingSoftmaxIDF16_Li16ELi128ELi8ELi32ELb0ELi1ELNS0_23SharedExpertScoringFuncE1EEEvPKT_PKbPfiPiS9_iiiiii
    .private_segment_fixed_size: 0
    .sgpr_count:     58
    .sgpr_spill_count: 0
    .symbol:         _ZN4vllm3moe17topkGatingSoftmaxIDF16_Li16ELi128ELi8ELi32ELb0ELi1ELNS0_23SharedExpertScoringFuncE1EEEvPKT_PKbPfiPiS9_iiiiii.kd
    .uniform_work_group_size: 1
    .uses_dynamic_stack: false
    .vgpr_count:     50
    .vgpr_spill_count: 0
    .wavefront_size: 64
  - .agpr_count:     0
    .args:
      - .address_space:  global
        .offset:         0
        .size:           8
        .value_kind:     global_buffer
      - .address_space:  global
        .offset:         8
        .size:           8
        .value_kind:     global_buffer
      - .address_space:  global
        .offset:         16
        .size:           8
        .value_kind:     global_buffer
      - .offset:         24
        .size:           4
        .value_kind:     by_value
      - .address_space:  global
        .offset:         32
        .size:           8
        .value_kind:     global_buffer
      - .address_space:  global
        .offset:         40
        .size:           8
        .value_kind:     global_buffer
      - .offset:         48
        .size:           4
        .value_kind:     by_value
      - .offset:         52
        .size:           4
        .value_kind:     by_value
      - .offset:         56
        .size:           4
        .value_kind:     by_value
      - .offset:         60
        .size:           4
        .value_kind:     by_value
      - .offset:         64
        .size:           4
        .value_kind:     by_value
      - .offset:         68
        .size:           4
        .value_kind:     by_value
    .group_segment_fixed_size: 0
    .kernarg_segment_align: 8
    .kernarg_segment_size: 72
    .language:       OpenCL C
    .language_version:
      - 2
      - 0
    .max_flat_workgroup_size: 512
    .name:           _ZN4vllm3moe17topkGatingSoftmaxIDF16_Li16ELi128ELi8ELi32ELb1ELi2ELNS0_23SharedExpertScoringFuncE1EEEvPKT_PKbPfiPiS9_iiiiii
    .private_segment_fixed_size: 0
    .sgpr_count:     58
    .sgpr_spill_count: 0
    .symbol:         _ZN4vllm3moe17topkGatingSoftmaxIDF16_Li16ELi128ELi8ELi32ELb1ELi2ELNS0_23SharedExpertScoringFuncE1EEEvPKT_PKbPfiPiS9_iiiiii.kd
    .uniform_work_group_size: 1
    .uses_dynamic_stack: false
    .vgpr_count:     50
    .vgpr_spill_count: 0
    .wavefront_size: 64
  - .agpr_count:     0
    .args:
      - .address_space:  global
        .offset:         0
        .size:           8
        .value_kind:     global_buffer
      - .address_space:  global
        .offset:         8
        .size:           8
        .value_kind:     global_buffer
      - .address_space:  global
        .offset:         16
        .size:           8
        .value_kind:     global_buffer
      - .offset:         24
        .size:           4
        .value_kind:     by_value
      - .address_space:  global
        .offset:         32
        .size:           8
        .value_kind:     global_buffer
      - .address_space:  global
        .offset:         40
        .size:           8
        .value_kind:     global_buffer
      - .offset:         48
        .size:           4
        .value_kind:     by_value
      - .offset:         52
        .size:           4
        .value_kind:     by_value
      - .offset:         56
        .size:           4
        .value_kind:     by_value
      - .offset:         60
        .size:           4
        .value_kind:     by_value
      - .offset:         64
        .size:           4
        .value_kind:     by_value
      - .offset:         68
        .size:           4
        .value_kind:     by_value
    .group_segment_fixed_size: 0
    .kernarg_segment_align: 8
    .kernarg_segment_size: 72
    .language:       OpenCL C
    .language_version:
      - 2
      - 0
    .max_flat_workgroup_size: 512
    .name:           _ZN4vllm3moe17topkGatingSoftmaxIDF16_Li16ELi128ELi8ELi32ELb0ELi2ELNS0_23SharedExpertScoringFuncE1EEEvPKT_PKbPfiPiS9_iiiiii
    .private_segment_fixed_size: 0
    .sgpr_count:     58
    .sgpr_spill_count: 0
    .symbol:         _ZN4vllm3moe17topkGatingSoftmaxIDF16_Li16ELi128ELi8ELi32ELb0ELi2ELNS0_23SharedExpertScoringFuncE1EEEvPKT_PKbPfiPiS9_iiiiii.kd
    .uniform_work_group_size: 1
    .uses_dynamic_stack: false
    .vgpr_count:     50
    .vgpr_spill_count: 0
    .wavefront_size: 64
  - .agpr_count:     0
    .args:
      - .address_space:  global
        .offset:         0
        .size:           8
        .value_kind:     global_buffer
      - .address_space:  global
        .offset:         8
        .size:           8
        .value_kind:     global_buffer
      - .address_space:  global
        .offset:         16
        .size:           8
        .value_kind:     global_buffer
      - .offset:         24
        .size:           4
        .value_kind:     by_value
      - .address_space:  global
        .offset:         32
        .size:           8
        .value_kind:     global_buffer
      - .address_space:  global
        .offset:         40
        .size:           8
        .value_kind:     global_buffer
      - .offset:         48
        .size:           4
        .value_kind:     by_value
      - .offset:         52
        .size:           4
        .value_kind:     by_value
      - .offset:         56
        .size:           4
        .value_kind:     by_value
      - .offset:         60
        .size:           4
        .value_kind:     by_value
      - .offset:         64
        .size:           4
        .value_kind:     by_value
      - .offset:         68
        .size:           4
        .value_kind:     by_value
    .group_segment_fixed_size: 0
    .kernarg_segment_align: 8
    .kernarg_segment_size: 72
    .language:       OpenCL C
    .language_version:
      - 2
      - 0
    .max_flat_workgroup_size: 512
    .name:           _ZN4vllm3moe17topkGatingSoftmaxIDF16_Li16ELi128ELi8ELi32ELb1ELi4ELNS0_23SharedExpertScoringFuncE1EEEvPKT_PKbPfiPiS9_iiiiii
    .private_segment_fixed_size: 0
    .sgpr_count:     58
    .sgpr_spill_count: 0
    .symbol:         _ZN4vllm3moe17topkGatingSoftmaxIDF16_Li16ELi128ELi8ELi32ELb1ELi4ELNS0_23SharedExpertScoringFuncE1EEEvPKT_PKbPfiPiS9_iiiiii.kd
    .uniform_work_group_size: 1
    .uses_dynamic_stack: false
    .vgpr_count:     50
    .vgpr_spill_count: 0
    .wavefront_size: 64
  - .agpr_count:     0
    .args:
      - .address_space:  global
        .offset:         0
        .size:           8
        .value_kind:     global_buffer
      - .address_space:  global
        .offset:         8
        .size:           8
        .value_kind:     global_buffer
      - .address_space:  global
        .offset:         16
        .size:           8
        .value_kind:     global_buffer
      - .offset:         24
        .size:           4
        .value_kind:     by_value
      - .address_space:  global
        .offset:         32
        .size:           8
        .value_kind:     global_buffer
      - .address_space:  global
        .offset:         40
        .size:           8
        .value_kind:     global_buffer
      - .offset:         48
        .size:           4
        .value_kind:     by_value
      - .offset:         52
        .size:           4
        .value_kind:     by_value
      - .offset:         56
        .size:           4
        .value_kind:     by_value
      - .offset:         60
        .size:           4
        .value_kind:     by_value
      - .offset:         64
        .size:           4
        .value_kind:     by_value
      - .offset:         68
        .size:           4
        .value_kind:     by_value
    .group_segment_fixed_size: 0
    .kernarg_segment_align: 8
    .kernarg_segment_size: 72
    .language:       OpenCL C
    .language_version:
      - 2
      - 0
    .max_flat_workgroup_size: 512
    .name:           _ZN4vllm3moe17topkGatingSoftmaxIDF16_Li16ELi128ELi8ELi32ELb0ELi4ELNS0_23SharedExpertScoringFuncE1EEEvPKT_PKbPfiPiS9_iiiiii
    .private_segment_fixed_size: 0
    .sgpr_count:     58
    .sgpr_spill_count: 0
    .symbol:         _ZN4vllm3moe17topkGatingSoftmaxIDF16_Li16ELi128ELi8ELi32ELb0ELi4ELNS0_23SharedExpertScoringFuncE1EEEvPKT_PKbPfiPiS9_iiiiii.kd
    .uniform_work_group_size: 1
    .uses_dynamic_stack: false
    .vgpr_count:     50
    .vgpr_spill_count: 0
    .wavefront_size: 64
  - .agpr_count:     0
    .args:
      - .address_space:  global
        .offset:         0
        .size:           8
        .value_kind:     global_buffer
      - .address_space:  global
        .offset:         8
        .size:           8
        .value_kind:     global_buffer
      - .address_space:  global
        .offset:         16
        .size:           8
        .value_kind:     global_buffer
      - .offset:         24
        .size:           4
        .value_kind:     by_value
      - .address_space:  global
        .offset:         32
        .size:           8
        .value_kind:     global_buffer
      - .address_space:  global
        .offset:         40
        .size:           8
        .value_kind:     global_buffer
      - .offset:         48
        .size:           4
        .value_kind:     by_value
      - .offset:         52
        .size:           4
        .value_kind:     by_value
      - .offset:         56
        .size:           4
        .value_kind:     by_value
      - .offset:         60
        .size:           4
        .value_kind:     by_value
      - .offset:         64
        .size:           4
        .value_kind:     by_value
      - .offset:         68
        .size:           4
        .value_kind:     by_value
    .group_segment_fixed_size: 0
    .kernarg_segment_align: 8
    .kernarg_segment_size: 72
    .language:       OpenCL C
    .language_version:
      - 2
      - 0
    .max_flat_workgroup_size: 512
    .name:           _ZN4vllm3moe17topkGatingSoftmaxIDF16_Li16ELi128ELi8ELi32ELb1ELi8ELNS0_23SharedExpertScoringFuncE1EEEvPKT_PKbPfiPiS9_iiiiii
    .private_segment_fixed_size: 0
    .sgpr_count:     57
    .sgpr_spill_count: 0
    .symbol:         _ZN4vllm3moe17topkGatingSoftmaxIDF16_Li16ELi128ELi8ELi32ELb1ELi8ELNS0_23SharedExpertScoringFuncE1EEEvPKT_PKbPfiPiS9_iiiiii.kd
    .uniform_work_group_size: 1
    .uses_dynamic_stack: false
    .vgpr_count:     50
    .vgpr_spill_count: 0
    .wavefront_size: 64
  - .agpr_count:     0
    .args:
      - .address_space:  global
        .offset:         0
        .size:           8
        .value_kind:     global_buffer
      - .address_space:  global
        .offset:         8
        .size:           8
        .value_kind:     global_buffer
      - .address_space:  global
        .offset:         16
        .size:           8
        .value_kind:     global_buffer
      - .offset:         24
        .size:           4
        .value_kind:     by_value
      - .address_space:  global
        .offset:         32
        .size:           8
        .value_kind:     global_buffer
      - .address_space:  global
        .offset:         40
        .size:           8
        .value_kind:     global_buffer
      - .offset:         48
        .size:           4
        .value_kind:     by_value
      - .offset:         52
        .size:           4
        .value_kind:     by_value
      - .offset:         56
        .size:           4
        .value_kind:     by_value
      - .offset:         60
        .size:           4
        .value_kind:     by_value
      - .offset:         64
        .size:           4
        .value_kind:     by_value
      - .offset:         68
        .size:           4
        .value_kind:     by_value
    .group_segment_fixed_size: 0
    .kernarg_segment_align: 8
    .kernarg_segment_size: 72
    .language:       OpenCL C
    .language_version:
      - 2
      - 0
    .max_flat_workgroup_size: 512
    .name:           _ZN4vllm3moe17topkGatingSoftmaxIDF16_Li16ELi128ELi8ELi32ELb0ELi8ELNS0_23SharedExpertScoringFuncE1EEEvPKT_PKbPfiPiS9_iiiiii
    .private_segment_fixed_size: 0
    .sgpr_count:     57
    .sgpr_spill_count: 0
    .symbol:         _ZN4vllm3moe17topkGatingSoftmaxIDF16_Li16ELi128ELi8ELi32ELb0ELi8ELNS0_23SharedExpertScoringFuncE1EEEvPKT_PKbPfiPiS9_iiiiii.kd
    .uniform_work_group_size: 1
    .uses_dynamic_stack: false
    .vgpr_count:     50
    .vgpr_spill_count: 0
    .wavefront_size: 64
  - .agpr_count:     0
    .args:
      - .address_space:  global
        .offset:         0
        .size:           8
        .value_kind:     global_buffer
      - .address_space:  global
        .offset:         8
        .size:           8
        .value_kind:     global_buffer
      - .address_space:  global
        .offset:         16
        .size:           8
        .value_kind:     global_buffer
      - .offset:         24
        .size:           4
        .value_kind:     by_value
      - .address_space:  global
        .offset:         32
        .size:           8
        .value_kind:     global_buffer
      - .address_space:  global
        .offset:         40
        .size:           8
        .value_kind:     global_buffer
      - .offset:         48
        .size:           4
        .value_kind:     by_value
      - .offset:         52
        .size:           4
        .value_kind:     by_value
      - .offset:         56
        .size:           4
        .value_kind:     by_value
      - .offset:         60
        .size:           4
        .value_kind:     by_value
      - .offset:         64
        .size:           4
        .value_kind:     by_value
      - .offset:         68
        .size:           4
        .value_kind:     by_value
    .group_segment_fixed_size: 0
    .kernarg_segment_align: 8
    .kernarg_segment_size: 72
    .language:       OpenCL C
    .language_version:
      - 2
      - 0
    .max_flat_workgroup_size: 512
    .name:           _ZN4vllm3moe17topkGatingSoftmaxIDF16_Li16ELi256ELi8ELi32ELb1ELi0ELNS0_23SharedExpertScoringFuncE0EEEvPKT_PKbPfiPiS9_iiiiii
    .private_segment_fixed_size: 0
    .sgpr_count:     58
    .sgpr_spill_count: 0
    .symbol:         _ZN4vllm3moe17topkGatingSoftmaxIDF16_Li16ELi256ELi8ELi32ELb1ELi0ELNS0_23SharedExpertScoringFuncE0EEEvPKT_PKbPfiPiS9_iiiiii.kd
    .uniform_work_group_size: 1
    .uses_dynamic_stack: false
    .vgpr_count:     50
    .vgpr_spill_count: 0
    .wavefront_size: 64
  - .agpr_count:     0
    .args:
      - .address_space:  global
        .offset:         0
        .size:           8
        .value_kind:     global_buffer
      - .address_space:  global
        .offset:         8
        .size:           8
        .value_kind:     global_buffer
      - .address_space:  global
        .offset:         16
        .size:           8
        .value_kind:     global_buffer
      - .offset:         24
        .size:           4
        .value_kind:     by_value
      - .address_space:  global
        .offset:         32
        .size:           8
        .value_kind:     global_buffer
      - .address_space:  global
        .offset:         40
        .size:           8
        .value_kind:     global_buffer
      - .offset:         48
        .size:           4
        .value_kind:     by_value
      - .offset:         52
        .size:           4
        .value_kind:     by_value
      - .offset:         56
        .size:           4
        .value_kind:     by_value
      - .offset:         60
        .size:           4
        .value_kind:     by_value
      - .offset:         64
        .size:           4
        .value_kind:     by_value
      - .offset:         68
        .size:           4
        .value_kind:     by_value
    .group_segment_fixed_size: 0
    .kernarg_segment_align: 8
    .kernarg_segment_size: 72
    .language:       OpenCL C
    .language_version:
      - 2
      - 0
    .max_flat_workgroup_size: 512
    .name:           _ZN4vllm3moe17topkGatingSoftmaxIDF16_Li16ELi256ELi8ELi32ELb0ELi0ELNS0_23SharedExpertScoringFuncE0EEEvPKT_PKbPfiPiS9_iiiiii
    .private_segment_fixed_size: 0
    .sgpr_count:     58
    .sgpr_spill_count: 0
    .symbol:         _ZN4vllm3moe17topkGatingSoftmaxIDF16_Li16ELi256ELi8ELi32ELb0ELi0ELNS0_23SharedExpertScoringFuncE0EEEvPKT_PKbPfiPiS9_iiiiii.kd
    .uniform_work_group_size: 1
    .uses_dynamic_stack: false
    .vgpr_count:     50
    .vgpr_spill_count: 0
    .wavefront_size: 64
  - .agpr_count:     0
    .args:
      - .address_space:  global
        .offset:         0
        .size:           8
        .value_kind:     global_buffer
      - .address_space:  global
        .offset:         8
        .size:           8
        .value_kind:     global_buffer
      - .address_space:  global
        .offset:         16
        .size:           8
        .value_kind:     global_buffer
      - .offset:         24
        .size:           4
        .value_kind:     by_value
      - .address_space:  global
        .offset:         32
        .size:           8
        .value_kind:     global_buffer
      - .address_space:  global
        .offset:         40
        .size:           8
        .value_kind:     global_buffer
      - .offset:         48
        .size:           4
        .value_kind:     by_value
      - .offset:         52
        .size:           4
        .value_kind:     by_value
      - .offset:         56
        .size:           4
        .value_kind:     by_value
      - .offset:         60
        .size:           4
        .value_kind:     by_value
      - .offset:         64
        .size:           4
        .value_kind:     by_value
      - .offset:         68
        .size:           4
        .value_kind:     by_value
    .group_segment_fixed_size: 0
    .kernarg_segment_align: 8
    .kernarg_segment_size: 72
    .language:       OpenCL C
    .language_version:
      - 2
      - 0
    .max_flat_workgroup_size: 512
    .name:           _ZN4vllm3moe17topkGatingSoftmaxIDF16_Li16ELi256ELi8ELi32ELb1ELi1ELNS0_23SharedExpertScoringFuncE1EEEvPKT_PKbPfiPiS9_iiiiii
    .private_segment_fixed_size: 0
    .sgpr_count:     58
    .sgpr_spill_count: 0
    .symbol:         _ZN4vllm3moe17topkGatingSoftmaxIDF16_Li16ELi256ELi8ELi32ELb1ELi1ELNS0_23SharedExpertScoringFuncE1EEEvPKT_PKbPfiPiS9_iiiiii.kd
    .uniform_work_group_size: 1
    .uses_dynamic_stack: false
    .vgpr_count:     50
    .vgpr_spill_count: 0
    .wavefront_size: 64
  - .agpr_count:     0
    .args:
      - .address_space:  global
        .offset:         0
        .size:           8
        .value_kind:     global_buffer
      - .address_space:  global
        .offset:         8
        .size:           8
        .value_kind:     global_buffer
      - .address_space:  global
        .offset:         16
        .size:           8
        .value_kind:     global_buffer
      - .offset:         24
        .size:           4
        .value_kind:     by_value
      - .address_space:  global
        .offset:         32
        .size:           8
        .value_kind:     global_buffer
      - .address_space:  global
        .offset:         40
        .size:           8
        .value_kind:     global_buffer
      - .offset:         48
        .size:           4
        .value_kind:     by_value
      - .offset:         52
        .size:           4
        .value_kind:     by_value
      - .offset:         56
        .size:           4
        .value_kind:     by_value
      - .offset:         60
        .size:           4
        .value_kind:     by_value
      - .offset:         64
        .size:           4
        .value_kind:     by_value
      - .offset:         68
        .size:           4
        .value_kind:     by_value
    .group_segment_fixed_size: 0
    .kernarg_segment_align: 8
    .kernarg_segment_size: 72
    .language:       OpenCL C
    .language_version:
      - 2
      - 0
    .max_flat_workgroup_size: 512
    .name:           _ZN4vllm3moe17topkGatingSoftmaxIDF16_Li16ELi256ELi8ELi32ELb0ELi1ELNS0_23SharedExpertScoringFuncE1EEEvPKT_PKbPfiPiS9_iiiiii
    .private_segment_fixed_size: 0
    .sgpr_count:     58
    .sgpr_spill_count: 0
    .symbol:         _ZN4vllm3moe17topkGatingSoftmaxIDF16_Li16ELi256ELi8ELi32ELb0ELi1ELNS0_23SharedExpertScoringFuncE1EEEvPKT_PKbPfiPiS9_iiiiii.kd
    .uniform_work_group_size: 1
    .uses_dynamic_stack: false
    .vgpr_count:     50
    .vgpr_spill_count: 0
    .wavefront_size: 64
  - .agpr_count:     0
    .args:
      - .address_space:  global
        .offset:         0
        .size:           8
        .value_kind:     global_buffer
      - .address_space:  global
        .offset:         8
        .size:           8
        .value_kind:     global_buffer
      - .address_space:  global
        .offset:         16
        .size:           8
        .value_kind:     global_buffer
      - .offset:         24
        .size:           4
        .value_kind:     by_value
      - .address_space:  global
        .offset:         32
        .size:           8
        .value_kind:     global_buffer
      - .address_space:  global
        .offset:         40
        .size:           8
        .value_kind:     global_buffer
      - .offset:         48
        .size:           4
        .value_kind:     by_value
      - .offset:         52
        .size:           4
        .value_kind:     by_value
      - .offset:         56
        .size:           4
        .value_kind:     by_value
      - .offset:         60
        .size:           4
        .value_kind:     by_value
      - .offset:         64
        .size:           4
        .value_kind:     by_value
      - .offset:         68
        .size:           4
        .value_kind:     by_value
    .group_segment_fixed_size: 0
    .kernarg_segment_align: 8
    .kernarg_segment_size: 72
    .language:       OpenCL C
    .language_version:
      - 2
      - 0
    .max_flat_workgroup_size: 512
    .name:           _ZN4vllm3moe17topkGatingSoftmaxIDF16_Li16ELi256ELi8ELi32ELb1ELi2ELNS0_23SharedExpertScoringFuncE1EEEvPKT_PKbPfiPiS9_iiiiii
    .private_segment_fixed_size: 0
    .sgpr_count:     58
    .sgpr_spill_count: 0
    .symbol:         _ZN4vllm3moe17topkGatingSoftmaxIDF16_Li16ELi256ELi8ELi32ELb1ELi2ELNS0_23SharedExpertScoringFuncE1EEEvPKT_PKbPfiPiS9_iiiiii.kd
    .uniform_work_group_size: 1
    .uses_dynamic_stack: false
    .vgpr_count:     50
    .vgpr_spill_count: 0
    .wavefront_size: 64
  - .agpr_count:     0
    .args:
      - .address_space:  global
        .offset:         0
        .size:           8
        .value_kind:     global_buffer
      - .address_space:  global
        .offset:         8
        .size:           8
        .value_kind:     global_buffer
      - .address_space:  global
        .offset:         16
        .size:           8
        .value_kind:     global_buffer
      - .offset:         24
        .size:           4
        .value_kind:     by_value
      - .address_space:  global
        .offset:         32
        .size:           8
        .value_kind:     global_buffer
      - .address_space:  global
        .offset:         40
        .size:           8
        .value_kind:     global_buffer
      - .offset:         48
        .size:           4
        .value_kind:     by_value
      - .offset:         52
        .size:           4
        .value_kind:     by_value
      - .offset:         56
        .size:           4
        .value_kind:     by_value
      - .offset:         60
        .size:           4
        .value_kind:     by_value
      - .offset:         64
        .size:           4
        .value_kind:     by_value
      - .offset:         68
        .size:           4
        .value_kind:     by_value
    .group_segment_fixed_size: 0
    .kernarg_segment_align: 8
    .kernarg_segment_size: 72
    .language:       OpenCL C
    .language_version:
      - 2
      - 0
    .max_flat_workgroup_size: 512
    .name:           _ZN4vllm3moe17topkGatingSoftmaxIDF16_Li16ELi256ELi8ELi32ELb0ELi2ELNS0_23SharedExpertScoringFuncE1EEEvPKT_PKbPfiPiS9_iiiiii
    .private_segment_fixed_size: 0
    .sgpr_count:     58
    .sgpr_spill_count: 0
    .symbol:         _ZN4vllm3moe17topkGatingSoftmaxIDF16_Li16ELi256ELi8ELi32ELb0ELi2ELNS0_23SharedExpertScoringFuncE1EEEvPKT_PKbPfiPiS9_iiiiii.kd
    .uniform_work_group_size: 1
    .uses_dynamic_stack: false
    .vgpr_count:     50
    .vgpr_spill_count: 0
    .wavefront_size: 64
  - .agpr_count:     0
    .args:
      - .address_space:  global
        .offset:         0
        .size:           8
        .value_kind:     global_buffer
      - .address_space:  global
        .offset:         8
        .size:           8
        .value_kind:     global_buffer
      - .address_space:  global
        .offset:         16
        .size:           8
        .value_kind:     global_buffer
      - .offset:         24
        .size:           4
        .value_kind:     by_value
      - .address_space:  global
        .offset:         32
        .size:           8
        .value_kind:     global_buffer
      - .address_space:  global
        .offset:         40
        .size:           8
        .value_kind:     global_buffer
      - .offset:         48
        .size:           4
        .value_kind:     by_value
      - .offset:         52
        .size:           4
        .value_kind:     by_value
      - .offset:         56
        .size:           4
        .value_kind:     by_value
      - .offset:         60
        .size:           4
        .value_kind:     by_value
      - .offset:         64
        .size:           4
        .value_kind:     by_value
      - .offset:         68
        .size:           4
        .value_kind:     by_value
    .group_segment_fixed_size: 0
    .kernarg_segment_align: 8
    .kernarg_segment_size: 72
    .language:       OpenCL C
    .language_version:
      - 2
      - 0
    .max_flat_workgroup_size: 512
    .name:           _ZN4vllm3moe17topkGatingSoftmaxIDF16_Li16ELi256ELi8ELi32ELb1ELi4ELNS0_23SharedExpertScoringFuncE1EEEvPKT_PKbPfiPiS9_iiiiii
    .private_segment_fixed_size: 0
    .sgpr_count:     58
    .sgpr_spill_count: 0
    .symbol:         _ZN4vllm3moe17topkGatingSoftmaxIDF16_Li16ELi256ELi8ELi32ELb1ELi4ELNS0_23SharedExpertScoringFuncE1EEEvPKT_PKbPfiPiS9_iiiiii.kd
    .uniform_work_group_size: 1
    .uses_dynamic_stack: false
    .vgpr_count:     50
    .vgpr_spill_count: 0
    .wavefront_size: 64
  - .agpr_count:     0
    .args:
      - .address_space:  global
        .offset:         0
        .size:           8
        .value_kind:     global_buffer
      - .address_space:  global
        .offset:         8
        .size:           8
        .value_kind:     global_buffer
      - .address_space:  global
        .offset:         16
        .size:           8
        .value_kind:     global_buffer
      - .offset:         24
        .size:           4
        .value_kind:     by_value
      - .address_space:  global
        .offset:         32
        .size:           8
        .value_kind:     global_buffer
      - .address_space:  global
        .offset:         40
        .size:           8
        .value_kind:     global_buffer
      - .offset:         48
        .size:           4
        .value_kind:     by_value
      - .offset:         52
        .size:           4
        .value_kind:     by_value
      - .offset:         56
        .size:           4
        .value_kind:     by_value
      - .offset:         60
        .size:           4
        .value_kind:     by_value
      - .offset:         64
        .size:           4
        .value_kind:     by_value
      - .offset:         68
        .size:           4
        .value_kind:     by_value
    .group_segment_fixed_size: 0
    .kernarg_segment_align: 8
    .kernarg_segment_size: 72
    .language:       OpenCL C
    .language_version:
      - 2
      - 0
    .max_flat_workgroup_size: 512
    .name:           _ZN4vllm3moe17topkGatingSoftmaxIDF16_Li16ELi256ELi8ELi32ELb0ELi4ELNS0_23SharedExpertScoringFuncE1EEEvPKT_PKbPfiPiS9_iiiiii
    .private_segment_fixed_size: 0
    .sgpr_count:     58
    .sgpr_spill_count: 0
    .symbol:         _ZN4vllm3moe17topkGatingSoftmaxIDF16_Li16ELi256ELi8ELi32ELb0ELi4ELNS0_23SharedExpertScoringFuncE1EEEvPKT_PKbPfiPiS9_iiiiii.kd
    .uniform_work_group_size: 1
    .uses_dynamic_stack: false
    .vgpr_count:     50
    .vgpr_spill_count: 0
    .wavefront_size: 64
  - .agpr_count:     0
    .args:
      - .address_space:  global
        .offset:         0
        .size:           8
        .value_kind:     global_buffer
      - .address_space:  global
        .offset:         8
        .size:           8
        .value_kind:     global_buffer
      - .address_space:  global
        .offset:         16
        .size:           8
        .value_kind:     global_buffer
      - .offset:         24
        .size:           4
        .value_kind:     by_value
      - .address_space:  global
        .offset:         32
        .size:           8
        .value_kind:     global_buffer
      - .address_space:  global
        .offset:         40
        .size:           8
        .value_kind:     global_buffer
      - .offset:         48
        .size:           4
        .value_kind:     by_value
      - .offset:         52
        .size:           4
        .value_kind:     by_value
      - .offset:         56
        .size:           4
        .value_kind:     by_value
      - .offset:         60
        .size:           4
        .value_kind:     by_value
      - .offset:         64
        .size:           4
        .value_kind:     by_value
      - .offset:         68
        .size:           4
        .value_kind:     by_value
    .group_segment_fixed_size: 0
    .kernarg_segment_align: 8
    .kernarg_segment_size: 72
    .language:       OpenCL C
    .language_version:
      - 2
      - 0
    .max_flat_workgroup_size: 512
    .name:           _ZN4vllm3moe17topkGatingSoftmaxIDF16_Li16ELi256ELi8ELi32ELb1ELi8ELNS0_23SharedExpertScoringFuncE1EEEvPKT_PKbPfiPiS9_iiiiii
    .private_segment_fixed_size: 0
    .sgpr_count:     58
    .sgpr_spill_count: 0
    .symbol:         _ZN4vllm3moe17topkGatingSoftmaxIDF16_Li16ELi256ELi8ELi32ELb1ELi8ELNS0_23SharedExpertScoringFuncE1EEEvPKT_PKbPfiPiS9_iiiiii.kd
    .uniform_work_group_size: 1
    .uses_dynamic_stack: false
    .vgpr_count:     50
    .vgpr_spill_count: 0
    .wavefront_size: 64
  - .agpr_count:     0
    .args:
      - .address_space:  global
        .offset:         0
        .size:           8
        .value_kind:     global_buffer
      - .address_space:  global
        .offset:         8
        .size:           8
        .value_kind:     global_buffer
      - .address_space:  global
        .offset:         16
        .size:           8
        .value_kind:     global_buffer
      - .offset:         24
        .size:           4
        .value_kind:     by_value
      - .address_space:  global
        .offset:         32
        .size:           8
        .value_kind:     global_buffer
      - .address_space:  global
        .offset:         40
        .size:           8
        .value_kind:     global_buffer
      - .offset:         48
        .size:           4
        .value_kind:     by_value
      - .offset:         52
        .size:           4
        .value_kind:     by_value
      - .offset:         56
        .size:           4
        .value_kind:     by_value
      - .offset:         60
        .size:           4
        .value_kind:     by_value
      - .offset:         64
        .size:           4
        .value_kind:     by_value
      - .offset:         68
        .size:           4
        .value_kind:     by_value
    .group_segment_fixed_size: 0
    .kernarg_segment_align: 8
    .kernarg_segment_size: 72
    .language:       OpenCL C
    .language_version:
      - 2
      - 0
    .max_flat_workgroup_size: 512
    .name:           _ZN4vllm3moe17topkGatingSoftmaxIDF16_Li16ELi256ELi8ELi32ELb0ELi8ELNS0_23SharedExpertScoringFuncE1EEEvPKT_PKbPfiPiS9_iiiiii
    .private_segment_fixed_size: 0
    .sgpr_count:     58
    .sgpr_spill_count: 0
    .symbol:         _ZN4vllm3moe17topkGatingSoftmaxIDF16_Li16ELi256ELi8ELi32ELb0ELi8ELNS0_23SharedExpertScoringFuncE1EEEvPKT_PKbPfiPiS9_iiiiii.kd
    .uniform_work_group_size: 1
    .uses_dynamic_stack: false
    .vgpr_count:     50
    .vgpr_spill_count: 0
    .wavefront_size: 64
  - .agpr_count:     0
    .args:
      - .address_space:  global
        .offset:         0
        .size:           8
        .value_kind:     global_buffer
      - .address_space:  global
        .offset:         8
        .size:           8
        .value_kind:     global_buffer
      - .address_space:  global
        .offset:         16
        .size:           8
        .value_kind:     global_buffer
      - .offset:         24
        .size:           4
        .value_kind:     by_value
      - .address_space:  global
        .offset:         32
        .size:           8
        .value_kind:     global_buffer
      - .address_space:  global
        .offset:         40
        .size:           8
        .value_kind:     global_buffer
      - .offset:         48
        .size:           4
        .value_kind:     by_value
      - .offset:         52
        .size:           4
        .value_kind:     by_value
      - .offset:         56
        .size:           4
        .value_kind:     by_value
      - .offset:         60
        .size:           4
        .value_kind:     by_value
      - .offset:         64
        .size:           4
        .value_kind:     by_value
      - .offset:         68
        .size:           4
        .value_kind:     by_value
    .group_segment_fixed_size: 0
    .kernarg_segment_align: 8
    .kernarg_segment_size: 72
    .language:       OpenCL C
    .language_version:
      - 2
      - 0
    .max_flat_workgroup_size: 128
    .name:           _ZN4vllm3moe17topkGatingSoftmaxIDF16_Li32ELi512ELi2ELi64ELb1ELi0ELNS0_23SharedExpertScoringFuncE0EEEvPKT_PKbPfiPiS9_iiiiii
    .private_segment_fixed_size: 144
    .sgpr_count:     34
    .sgpr_spill_count: 0
    .symbol:         _ZN4vllm3moe17topkGatingSoftmaxIDF16_Li32ELi512ELi2ELi64ELb1ELi0ELNS0_23SharedExpertScoringFuncE0EEEvPKT_PKbPfiPiS9_iiiiii.kd
    .uniform_work_group_size: 1
    .uses_dynamic_stack: false
    .vgpr_count:     76
    .vgpr_spill_count: 0
    .wavefront_size: 64
  - .agpr_count:     0
    .args:
      - .address_space:  global
        .offset:         0
        .size:           8
        .value_kind:     global_buffer
      - .address_space:  global
        .offset:         8
        .size:           8
        .value_kind:     global_buffer
      - .address_space:  global
        .offset:         16
        .size:           8
        .value_kind:     global_buffer
      - .offset:         24
        .size:           4
        .value_kind:     by_value
      - .address_space:  global
        .offset:         32
        .size:           8
        .value_kind:     global_buffer
      - .address_space:  global
        .offset:         40
        .size:           8
        .value_kind:     global_buffer
      - .offset:         48
        .size:           4
        .value_kind:     by_value
      - .offset:         52
        .size:           4
        .value_kind:     by_value
      - .offset:         56
        .size:           4
        .value_kind:     by_value
      - .offset:         60
        .size:           4
        .value_kind:     by_value
      - .offset:         64
        .size:           4
        .value_kind:     by_value
      - .offset:         68
        .size:           4
        .value_kind:     by_value
    .group_segment_fixed_size: 0
    .kernarg_segment_align: 8
    .kernarg_segment_size: 72
    .language:       OpenCL C
    .language_version:
      - 2
      - 0
    .max_flat_workgroup_size: 128
    .name:           _ZN4vllm3moe17topkGatingSoftmaxIDF16_Li32ELi512ELi2ELi64ELb0ELi0ELNS0_23SharedExpertScoringFuncE0EEEvPKT_PKbPfiPiS9_iiiiii
    .private_segment_fixed_size: 144
    .sgpr_count:     33
    .sgpr_spill_count: 0
    .symbol:         _ZN4vllm3moe17topkGatingSoftmaxIDF16_Li32ELi512ELi2ELi64ELb0ELi0ELNS0_23SharedExpertScoringFuncE0EEEvPKT_PKbPfiPiS9_iiiiii.kd
    .uniform_work_group_size: 1
    .uses_dynamic_stack: false
    .vgpr_count:     61
    .vgpr_spill_count: 0
    .wavefront_size: 64
  - .agpr_count:     0
    .args:
      - .address_space:  global
        .offset:         0
        .size:           8
        .value_kind:     global_buffer
      - .address_space:  global
        .offset:         8
        .size:           8
        .value_kind:     global_buffer
      - .address_space:  global
        .offset:         16
        .size:           8
        .value_kind:     global_buffer
      - .offset:         24
        .size:           4
        .value_kind:     by_value
      - .address_space:  global
        .offset:         32
        .size:           8
        .value_kind:     global_buffer
      - .address_space:  global
        .offset:         40
        .size:           8
        .value_kind:     global_buffer
      - .offset:         48
        .size:           4
        .value_kind:     by_value
      - .offset:         52
        .size:           4
        .value_kind:     by_value
      - .offset:         56
        .size:           4
        .value_kind:     by_value
      - .offset:         60
        .size:           4
        .value_kind:     by_value
      - .offset:         64
        .size:           4
        .value_kind:     by_value
      - .offset:         68
        .size:           4
        .value_kind:     by_value
    .group_segment_fixed_size: 0
    .kernarg_segment_align: 8
    .kernarg_segment_size: 72
    .language:       OpenCL C
    .language_version:
      - 2
      - 0
    .max_flat_workgroup_size: 128
    .name:           _ZN4vllm3moe17topkGatingSoftmaxIDF16_Li32ELi512ELi2ELi64ELb1ELi1ELNS0_23SharedExpertScoringFuncE1EEEvPKT_PKbPfiPiS9_iiiiii
    .private_segment_fixed_size: 144
    .sgpr_count:     34
    .sgpr_spill_count: 0
    .symbol:         _ZN4vllm3moe17topkGatingSoftmaxIDF16_Li32ELi512ELi2ELi64ELb1ELi1ELNS0_23SharedExpertScoringFuncE1EEEvPKT_PKbPfiPiS9_iiiiii.kd
    .uniform_work_group_size: 1
    .uses_dynamic_stack: false
    .vgpr_count:     61
    .vgpr_spill_count: 0
    .wavefront_size: 64
  - .agpr_count:     0
    .args:
      - .address_space:  global
        .offset:         0
        .size:           8
        .value_kind:     global_buffer
      - .address_space:  global
        .offset:         8
        .size:           8
        .value_kind:     global_buffer
      - .address_space:  global
        .offset:         16
        .size:           8
        .value_kind:     global_buffer
      - .offset:         24
        .size:           4
        .value_kind:     by_value
      - .address_space:  global
        .offset:         32
        .size:           8
        .value_kind:     global_buffer
      - .address_space:  global
        .offset:         40
        .size:           8
        .value_kind:     global_buffer
      - .offset:         48
        .size:           4
        .value_kind:     by_value
      - .offset:         52
        .size:           4
        .value_kind:     by_value
      - .offset:         56
        .size:           4
        .value_kind:     by_value
      - .offset:         60
        .size:           4
        .value_kind:     by_value
      - .offset:         64
        .size:           4
        .value_kind:     by_value
      - .offset:         68
        .size:           4
        .value_kind:     by_value
    .group_segment_fixed_size: 0
    .kernarg_segment_align: 8
    .kernarg_segment_size: 72
    .language:       OpenCL C
    .language_version:
      - 2
      - 0
    .max_flat_workgroup_size: 128
    .name:           _ZN4vllm3moe17topkGatingSoftmaxIDF16_Li32ELi512ELi2ELi64ELb0ELi1ELNS0_23SharedExpertScoringFuncE1EEEvPKT_PKbPfiPiS9_iiiiii
    .private_segment_fixed_size: 144
    .sgpr_count:     33
    .sgpr_spill_count: 0
    .symbol:         _ZN4vllm3moe17topkGatingSoftmaxIDF16_Li32ELi512ELi2ELi64ELb0ELi1ELNS0_23SharedExpertScoringFuncE1EEEvPKT_PKbPfiPiS9_iiiiii.kd
    .uniform_work_group_size: 1
    .uses_dynamic_stack: false
    .vgpr_count:     61
    .vgpr_spill_count: 0
    .wavefront_size: 64
  - .agpr_count:     0
    .args:
      - .address_space:  global
        .offset:         0
        .size:           8
        .value_kind:     global_buffer
      - .address_space:  global
        .offset:         8
        .size:           8
        .value_kind:     global_buffer
      - .address_space:  global
        .offset:         16
        .size:           8
        .value_kind:     global_buffer
      - .offset:         24
        .size:           4
        .value_kind:     by_value
      - .address_space:  global
        .offset:         32
        .size:           8
        .value_kind:     global_buffer
      - .address_space:  global
        .offset:         40
        .size:           8
        .value_kind:     global_buffer
      - .offset:         48
        .size:           4
        .value_kind:     by_value
      - .offset:         52
        .size:           4
        .value_kind:     by_value
      - .offset:         56
        .size:           4
        .value_kind:     by_value
      - .offset:         60
        .size:           4
        .value_kind:     by_value
      - .offset:         64
        .size:           4
        .value_kind:     by_value
      - .offset:         68
        .size:           4
        .value_kind:     by_value
    .group_segment_fixed_size: 0
    .kernarg_segment_align: 8
    .kernarg_segment_size: 72
    .language:       OpenCL C
    .language_version:
      - 2
      - 0
    .max_flat_workgroup_size: 128
    .name:           _ZN4vllm3moe17topkGatingSoftmaxIDF16_Li32ELi512ELi2ELi64ELb1ELi2ELNS0_23SharedExpertScoringFuncE1EEEvPKT_PKbPfiPiS9_iiiiii
    .private_segment_fixed_size: 144
    .sgpr_count:     34
    .sgpr_spill_count: 0
    .symbol:         _ZN4vllm3moe17topkGatingSoftmaxIDF16_Li32ELi512ELi2ELi64ELb1ELi2ELNS0_23SharedExpertScoringFuncE1EEEvPKT_PKbPfiPiS9_iiiiii.kd
    .uniform_work_group_size: 1
    .uses_dynamic_stack: false
    .vgpr_count:     61
    .vgpr_spill_count: 0
    .wavefront_size: 64
  - .agpr_count:     0
    .args:
      - .address_space:  global
        .offset:         0
        .size:           8
        .value_kind:     global_buffer
      - .address_space:  global
        .offset:         8
        .size:           8
        .value_kind:     global_buffer
      - .address_space:  global
        .offset:         16
        .size:           8
        .value_kind:     global_buffer
      - .offset:         24
        .size:           4
        .value_kind:     by_value
      - .address_space:  global
        .offset:         32
        .size:           8
        .value_kind:     global_buffer
      - .address_space:  global
        .offset:         40
        .size:           8
        .value_kind:     global_buffer
      - .offset:         48
        .size:           4
        .value_kind:     by_value
      - .offset:         52
        .size:           4
        .value_kind:     by_value
      - .offset:         56
        .size:           4
        .value_kind:     by_value
      - .offset:         60
        .size:           4
        .value_kind:     by_value
      - .offset:         64
        .size:           4
        .value_kind:     by_value
      - .offset:         68
        .size:           4
        .value_kind:     by_value
    .group_segment_fixed_size: 0
    .kernarg_segment_align: 8
    .kernarg_segment_size: 72
    .language:       OpenCL C
    .language_version:
      - 2
      - 0
    .max_flat_workgroup_size: 128
    .name:           _ZN4vllm3moe17topkGatingSoftmaxIDF16_Li32ELi512ELi2ELi64ELb0ELi2ELNS0_23SharedExpertScoringFuncE1EEEvPKT_PKbPfiPiS9_iiiiii
    .private_segment_fixed_size: 144
    .sgpr_count:     33
    .sgpr_spill_count: 0
    .symbol:         _ZN4vllm3moe17topkGatingSoftmaxIDF16_Li32ELi512ELi2ELi64ELb0ELi2ELNS0_23SharedExpertScoringFuncE1EEEvPKT_PKbPfiPiS9_iiiiii.kd
    .uniform_work_group_size: 1
    .uses_dynamic_stack: false
    .vgpr_count:     61
    .vgpr_spill_count: 0
    .wavefront_size: 64
  - .agpr_count:     0
    .args:
      - .address_space:  global
        .offset:         0
        .size:           8
        .value_kind:     global_buffer
      - .address_space:  global
        .offset:         8
        .size:           8
        .value_kind:     global_buffer
      - .address_space:  global
        .offset:         16
        .size:           8
        .value_kind:     global_buffer
      - .offset:         24
        .size:           4
        .value_kind:     by_value
      - .address_space:  global
        .offset:         32
        .size:           8
        .value_kind:     global_buffer
      - .address_space:  global
        .offset:         40
        .size:           8
        .value_kind:     global_buffer
      - .offset:         48
        .size:           4
        .value_kind:     by_value
      - .offset:         52
        .size:           4
        .value_kind:     by_value
      - .offset:         56
        .size:           4
        .value_kind:     by_value
      - .offset:         60
        .size:           4
        .value_kind:     by_value
      - .offset:         64
        .size:           4
        .value_kind:     by_value
      - .offset:         68
        .size:           4
        .value_kind:     by_value
    .group_segment_fixed_size: 0
    .kernarg_segment_align: 8
    .kernarg_segment_size: 72
    .language:       OpenCL C
    .language_version:
      - 2
      - 0
    .max_flat_workgroup_size: 128
    .name:           _ZN4vllm3moe17topkGatingSoftmaxIDF16_Li32ELi512ELi2ELi64ELb1ELi4ELNS0_23SharedExpertScoringFuncE1EEEvPKT_PKbPfiPiS9_iiiiii
    .private_segment_fixed_size: 144
    .sgpr_count:     34
    .sgpr_spill_count: 0
    .symbol:         _ZN4vllm3moe17topkGatingSoftmaxIDF16_Li32ELi512ELi2ELi64ELb1ELi4ELNS0_23SharedExpertScoringFuncE1EEEvPKT_PKbPfiPiS9_iiiiii.kd
    .uniform_work_group_size: 1
    .uses_dynamic_stack: false
    .vgpr_count:     61
    .vgpr_spill_count: 0
    .wavefront_size: 64
  - .agpr_count:     0
    .args:
      - .address_space:  global
        .offset:         0
        .size:           8
        .value_kind:     global_buffer
      - .address_space:  global
        .offset:         8
        .size:           8
        .value_kind:     global_buffer
      - .address_space:  global
        .offset:         16
        .size:           8
        .value_kind:     global_buffer
      - .offset:         24
        .size:           4
        .value_kind:     by_value
      - .address_space:  global
        .offset:         32
        .size:           8
        .value_kind:     global_buffer
      - .address_space:  global
        .offset:         40
        .size:           8
        .value_kind:     global_buffer
      - .offset:         48
        .size:           4
        .value_kind:     by_value
      - .offset:         52
        .size:           4
        .value_kind:     by_value
      - .offset:         56
        .size:           4
        .value_kind:     by_value
      - .offset:         60
        .size:           4
        .value_kind:     by_value
      - .offset:         64
        .size:           4
        .value_kind:     by_value
      - .offset:         68
        .size:           4
        .value_kind:     by_value
    .group_segment_fixed_size: 0
    .kernarg_segment_align: 8
    .kernarg_segment_size: 72
    .language:       OpenCL C
    .language_version:
      - 2
      - 0
    .max_flat_workgroup_size: 128
    .name:           _ZN4vllm3moe17topkGatingSoftmaxIDF16_Li32ELi512ELi2ELi64ELb0ELi4ELNS0_23SharedExpertScoringFuncE1EEEvPKT_PKbPfiPiS9_iiiiii
    .private_segment_fixed_size: 144
    .sgpr_count:     33
    .sgpr_spill_count: 0
    .symbol:         _ZN4vllm3moe17topkGatingSoftmaxIDF16_Li32ELi512ELi2ELi64ELb0ELi4ELNS0_23SharedExpertScoringFuncE1EEEvPKT_PKbPfiPiS9_iiiiii.kd
    .uniform_work_group_size: 1
    .uses_dynamic_stack: false
    .vgpr_count:     61
    .vgpr_spill_count: 0
    .wavefront_size: 64
  - .agpr_count:     0
    .args:
      - .address_space:  global
        .offset:         0
        .size:           8
        .value_kind:     global_buffer
      - .address_space:  global
        .offset:         8
        .size:           8
        .value_kind:     global_buffer
      - .address_space:  global
        .offset:         16
        .size:           8
        .value_kind:     global_buffer
      - .offset:         24
        .size:           4
        .value_kind:     by_value
      - .address_space:  global
        .offset:         32
        .size:           8
        .value_kind:     global_buffer
      - .address_space:  global
        .offset:         40
        .size:           8
        .value_kind:     global_buffer
      - .offset:         48
        .size:           4
        .value_kind:     by_value
      - .offset:         52
        .size:           4
        .value_kind:     by_value
      - .offset:         56
        .size:           4
        .value_kind:     by_value
      - .offset:         60
        .size:           4
        .value_kind:     by_value
      - .offset:         64
        .size:           4
        .value_kind:     by_value
      - .offset:         68
        .size:           4
        .value_kind:     by_value
    .group_segment_fixed_size: 0
    .kernarg_segment_align: 8
    .kernarg_segment_size: 72
    .language:       OpenCL C
    .language_version:
      - 2
      - 0
    .max_flat_workgroup_size: 128
    .name:           _ZN4vllm3moe17topkGatingSoftmaxIDF16_Li32ELi512ELi2ELi64ELb1ELi8ELNS0_23SharedExpertScoringFuncE1EEEvPKT_PKbPfiPiS9_iiiiii
    .private_segment_fixed_size: 144
    .sgpr_count:     34
    .sgpr_spill_count: 0
    .symbol:         _ZN4vllm3moe17topkGatingSoftmaxIDF16_Li32ELi512ELi2ELi64ELb1ELi8ELNS0_23SharedExpertScoringFuncE1EEEvPKT_PKbPfiPiS9_iiiiii.kd
    .uniform_work_group_size: 1
    .uses_dynamic_stack: false
    .vgpr_count:     61
    .vgpr_spill_count: 0
    .wavefront_size: 64
  - .agpr_count:     0
    .args:
      - .address_space:  global
        .offset:         0
        .size:           8
        .value_kind:     global_buffer
      - .address_space:  global
        .offset:         8
        .size:           8
        .value_kind:     global_buffer
      - .address_space:  global
        .offset:         16
        .size:           8
        .value_kind:     global_buffer
      - .offset:         24
        .size:           4
        .value_kind:     by_value
      - .address_space:  global
        .offset:         32
        .size:           8
        .value_kind:     global_buffer
      - .address_space:  global
        .offset:         40
        .size:           8
        .value_kind:     global_buffer
      - .offset:         48
        .size:           4
        .value_kind:     by_value
      - .offset:         52
        .size:           4
        .value_kind:     by_value
      - .offset:         56
        .size:           4
        .value_kind:     by_value
      - .offset:         60
        .size:           4
        .value_kind:     by_value
      - .offset:         64
        .size:           4
        .value_kind:     by_value
      - .offset:         68
        .size:           4
        .value_kind:     by_value
    .group_segment_fixed_size: 0
    .kernarg_segment_align: 8
    .kernarg_segment_size: 72
    .language:       OpenCL C
    .language_version:
      - 2
      - 0
    .max_flat_workgroup_size: 128
    .name:           _ZN4vllm3moe17topkGatingSoftmaxIDF16_Li32ELi512ELi2ELi64ELb0ELi8ELNS0_23SharedExpertScoringFuncE1EEEvPKT_PKbPfiPiS9_iiiiii
    .private_segment_fixed_size: 144
    .sgpr_count:     33
    .sgpr_spill_count: 0
    .symbol:         _ZN4vllm3moe17topkGatingSoftmaxIDF16_Li32ELi512ELi2ELi64ELb0ELi8ELNS0_23SharedExpertScoringFuncE1EEEvPKT_PKbPfiPiS9_iiiiii.kd
    .uniform_work_group_size: 1
    .uses_dynamic_stack: false
    .vgpr_count:     61
    .vgpr_spill_count: 0
    .wavefront_size: 64
  - .agpr_count:     0
    .args:
      - .address_space:  global
        .offset:         0
        .size:           8
        .value_kind:     global_buffer
      - .address_space:  global
        .offset:         8
        .size:           8
        .value_kind:     global_buffer
      - .address_space:  global
        .offset:         16
        .size:           8
        .value_kind:     global_buffer
      - .offset:         24
        .size:           4
        .value_kind:     by_value
    .group_segment_fixed_size: 24
    .kernarg_segment_align: 8
    .kernarg_segment_size: 28
    .language:       OpenCL C
    .language_version:
      - 2
      - 0
    .max_flat_workgroup_size: 256
    .name:           _ZN4vllm3moe10moeSoftmaxIDF16_Li256EEEvPKT_PKbPfi
    .private_segment_fixed_size: 0
    .sgpr_count:     25
    .sgpr_spill_count: 0
    .symbol:         _ZN4vllm3moe10moeSoftmaxIDF16_Li256EEEvPKT_PKbPfi.kd
    .uniform_work_group_size: 1
    .uses_dynamic_stack: false
    .vgpr_count:     27
    .vgpr_spill_count: 0
    .wavefront_size: 64
  - .agpr_count:     0
    .args:
      - .address_space:  global
        .offset:         0
        .size:           8
        .value_kind:     global_buffer
      - .address_space:  global
        .offset:         8
        .size:           8
        .value_kind:     global_buffer
      - .offset:         16
        .size:           4
        .value_kind:     by_value
      - .offset:         20
        .size:           4
        .value_kind:     by_value
      - .offset:         24
        .size:           4
        .value_kind:     by_value
      - .offset:         28
        .size:           4
        .value_kind:     by_value
      - .offset:         32
        .size:           4
        .value_kind:     by_value
    .group_segment_fixed_size: 0
    .kernarg_segment_align: 8
    .kernarg_segment_size: 36
    .language:       OpenCL C
    .language_version:
      - 2
      - 0
    .max_flat_workgroup_size: 256
    .name:           _ZN4vllm3moe24applySharedExpertSigmoidIDF16_Li256EEEvPKT_Pfiiiii
    .private_segment_fixed_size: 0
    .sgpr_count:     27
    .sgpr_spill_count: 0
    .symbol:         _ZN4vllm3moe24applySharedExpertSigmoidIDF16_Li256EEEvPKT_Pfiiiii.kd
    .uniform_work_group_size: 1
    .uses_dynamic_stack: false
    .vgpr_count:     25
    .vgpr_spill_count: 0
    .wavefront_size: 64
  - .agpr_count:     0
    .args:
      - .address_space:  global
        .offset:         0
        .size:           8
        .value_kind:     global_buffer
      - .address_space:  global
        .offset:         8
        .size:           8
        .value_kind:     global_buffer
      - .address_space:  global
        .offset:         16
        .size:           8
        .value_kind:     global_buffer
      - .offset:         24
        .size:           4
        .value_kind:     by_value
      - .address_space:  global
        .offset:         32
        .size:           8
        .value_kind:     global_buffer
      - .address_space:  global
        .offset:         40
        .size:           8
        .value_kind:     global_buffer
      - .offset:         48
        .size:           4
        .value_kind:     by_value
      - .offset:         52
        .size:           4
        .value_kind:     by_value
      - .offset:         56
        .size:           4
        .value_kind:     by_value
      - .offset:         60
        .size:           4
        .value_kind:     by_value
      - .offset:         64
        .size:           4
        .value_kind:     by_value
      - .offset:         68
        .size:           4
        .value_kind:     by_value
    .group_segment_fixed_size: 0
    .kernarg_segment_align: 8
    .kernarg_segment_size: 72
    .language:       OpenCL C
    .language_version:
      - 2
      - 0
    .max_flat_workgroup_size: 512
    .name:           _ZN4vllm3moe17topkGatingSoftmaxItLi1ELi1ELi8ELi2ELb1ELi0ELNS0_23SharedExpertScoringFuncE0EEEvPKT_PKbPfiPiS9_iiiiii
    .private_segment_fixed_size: 0
    .sgpr_count:     30
    .sgpr_spill_count: 0
    .symbol:         _ZN4vllm3moe17topkGatingSoftmaxItLi1ELi1ELi8ELi2ELb1ELi0ELNS0_23SharedExpertScoringFuncE0EEEvPKT_PKbPfiPiS9_iiiiii.kd
    .uniform_work_group_size: 1
    .uses_dynamic_stack: false
    .vgpr_count:     20
    .vgpr_spill_count: 0
    .wavefront_size: 64
  - .agpr_count:     0
    .args:
      - .address_space:  global
        .offset:         0
        .size:           8
        .value_kind:     global_buffer
      - .address_space:  global
        .offset:         8
        .size:           8
        .value_kind:     global_buffer
      - .address_space:  global
        .offset:         16
        .size:           8
        .value_kind:     global_buffer
      - .offset:         24
        .size:           4
        .value_kind:     by_value
      - .address_space:  global
        .offset:         32
        .size:           8
        .value_kind:     global_buffer
      - .address_space:  global
        .offset:         40
        .size:           8
        .value_kind:     global_buffer
      - .offset:         48
        .size:           4
        .value_kind:     by_value
      - .offset:         52
        .size:           4
        .value_kind:     by_value
      - .offset:         56
        .size:           4
        .value_kind:     by_value
      - .offset:         60
        .size:           4
        .value_kind:     by_value
      - .offset:         64
        .size:           4
        .value_kind:     by_value
      - .offset:         68
        .size:           4
        .value_kind:     by_value
    .group_segment_fixed_size: 0
    .kernarg_segment_align: 8
    .kernarg_segment_size: 72
    .language:       OpenCL C
    .language_version:
      - 2
      - 0
    .max_flat_workgroup_size: 512
    .name:           _ZN4vllm3moe17topkGatingSoftmaxItLi1ELi1ELi8ELi2ELb0ELi0ELNS0_23SharedExpertScoringFuncE0EEEvPKT_PKbPfiPiS9_iiiiii
    .private_segment_fixed_size: 0
    .sgpr_count:     26
    .sgpr_spill_count: 0
    .symbol:         _ZN4vllm3moe17topkGatingSoftmaxItLi1ELi1ELi8ELi2ELb0ELi0ELNS0_23SharedExpertScoringFuncE0EEEvPKT_PKbPfiPiS9_iiiiii.kd
    .uniform_work_group_size: 1
    .uses_dynamic_stack: false
    .vgpr_count:     17
    .vgpr_spill_count: 0
    .wavefront_size: 64
  - .agpr_count:     0
    .args:
      - .address_space:  global
        .offset:         0
        .size:           8
        .value_kind:     global_buffer
      - .address_space:  global
        .offset:         8
        .size:           8
        .value_kind:     global_buffer
      - .address_space:  global
        .offset:         16
        .size:           8
        .value_kind:     global_buffer
      - .offset:         24
        .size:           4
        .value_kind:     by_value
      - .address_space:  global
        .offset:         32
        .size:           8
        .value_kind:     global_buffer
      - .address_space:  global
        .offset:         40
        .size:           8
        .value_kind:     global_buffer
      - .offset:         48
        .size:           4
        .value_kind:     by_value
      - .offset:         52
        .size:           4
        .value_kind:     by_value
      - .offset:         56
        .size:           4
        .value_kind:     by_value
      - .offset:         60
        .size:           4
        .value_kind:     by_value
      - .offset:         64
        .size:           4
        .value_kind:     by_value
      - .offset:         68
        .size:           4
        .value_kind:     by_value
    .group_segment_fixed_size: 0
    .kernarg_segment_align: 8
    .kernarg_segment_size: 72
    .language:       OpenCL C
    .language_version:
      - 2
      - 0
    .max_flat_workgroup_size: 512
    .name:           _ZN4vllm3moe17topkGatingSoftmaxItLi1ELi1ELi8ELi2ELb1ELi1ELNS0_23SharedExpertScoringFuncE1EEEvPKT_PKbPfiPiS9_iiiiii
    .private_segment_fixed_size: 0
    .sgpr_count:     26
    .sgpr_spill_count: 0
    .symbol:         _ZN4vllm3moe17topkGatingSoftmaxItLi1ELi1ELi8ELi2ELb1ELi1ELNS0_23SharedExpertScoringFuncE1EEEvPKT_PKbPfiPiS9_iiiiii.kd
    .uniform_work_group_size: 1
    .uses_dynamic_stack: false
    .vgpr_count:     18
    .vgpr_spill_count: 0
    .wavefront_size: 64
  - .agpr_count:     0
    .args:
      - .address_space:  global
        .offset:         0
        .size:           8
        .value_kind:     global_buffer
      - .address_space:  global
        .offset:         8
        .size:           8
        .value_kind:     global_buffer
      - .address_space:  global
        .offset:         16
        .size:           8
        .value_kind:     global_buffer
      - .offset:         24
        .size:           4
        .value_kind:     by_value
      - .address_space:  global
        .offset:         32
        .size:           8
        .value_kind:     global_buffer
      - .address_space:  global
        .offset:         40
        .size:           8
        .value_kind:     global_buffer
      - .offset:         48
        .size:           4
        .value_kind:     by_value
      - .offset:         52
        .size:           4
        .value_kind:     by_value
      - .offset:         56
        .size:           4
        .value_kind:     by_value
      - .offset:         60
        .size:           4
        .value_kind:     by_value
      - .offset:         64
        .size:           4
        .value_kind:     by_value
      - .offset:         68
        .size:           4
        .value_kind:     by_value
    .group_segment_fixed_size: 0
    .kernarg_segment_align: 8
    .kernarg_segment_size: 72
    .language:       OpenCL C
    .language_version:
      - 2
      - 0
    .max_flat_workgroup_size: 512
    .name:           _ZN4vllm3moe17topkGatingSoftmaxItLi1ELi1ELi8ELi2ELb0ELi1ELNS0_23SharedExpertScoringFuncE1EEEvPKT_PKbPfiPiS9_iiiiii
    .private_segment_fixed_size: 0
    .sgpr_count:     26
    .sgpr_spill_count: 0
    .symbol:         _ZN4vllm3moe17topkGatingSoftmaxItLi1ELi1ELi8ELi2ELb0ELi1ELNS0_23SharedExpertScoringFuncE1EEEvPKT_PKbPfiPiS9_iiiiii.kd
    .uniform_work_group_size: 1
    .uses_dynamic_stack: false
    .vgpr_count:     18
    .vgpr_spill_count: 0
    .wavefront_size: 64
  - .agpr_count:     0
    .args:
      - .address_space:  global
        .offset:         0
        .size:           8
        .value_kind:     global_buffer
      - .address_space:  global
        .offset:         8
        .size:           8
        .value_kind:     global_buffer
      - .address_space:  global
        .offset:         16
        .size:           8
        .value_kind:     global_buffer
      - .offset:         24
        .size:           4
        .value_kind:     by_value
      - .address_space:  global
        .offset:         32
        .size:           8
        .value_kind:     global_buffer
      - .address_space:  global
        .offset:         40
        .size:           8
        .value_kind:     global_buffer
      - .offset:         48
        .size:           4
        .value_kind:     by_value
      - .offset:         52
        .size:           4
        .value_kind:     by_value
      - .offset:         56
        .size:           4
        .value_kind:     by_value
      - .offset:         60
        .size:           4
        .value_kind:     by_value
      - .offset:         64
        .size:           4
        .value_kind:     by_value
      - .offset:         68
        .size:           4
        .value_kind:     by_value
    .group_segment_fixed_size: 0
    .kernarg_segment_align: 8
    .kernarg_segment_size: 72
    .language:       OpenCL C
    .language_version:
      - 2
      - 0
    .max_flat_workgroup_size: 512
    .name:           _ZN4vllm3moe17topkGatingSoftmaxItLi1ELi1ELi8ELi2ELb1ELi2ELNS0_23SharedExpertScoringFuncE1EEEvPKT_PKbPfiPiS9_iiiiii
    .private_segment_fixed_size: 0
    .sgpr_count:     26
    .sgpr_spill_count: 0
    .symbol:         _ZN4vllm3moe17topkGatingSoftmaxItLi1ELi1ELi8ELi2ELb1ELi2ELNS0_23SharedExpertScoringFuncE1EEEvPKT_PKbPfiPiS9_iiiiii.kd
    .uniform_work_group_size: 1
    .uses_dynamic_stack: false
    .vgpr_count:     21
    .vgpr_spill_count: 0
    .wavefront_size: 64
  - .agpr_count:     0
    .args:
      - .address_space:  global
        .offset:         0
        .size:           8
        .value_kind:     global_buffer
      - .address_space:  global
        .offset:         8
        .size:           8
        .value_kind:     global_buffer
      - .address_space:  global
        .offset:         16
        .size:           8
        .value_kind:     global_buffer
      - .offset:         24
        .size:           4
        .value_kind:     by_value
      - .address_space:  global
        .offset:         32
        .size:           8
        .value_kind:     global_buffer
      - .address_space:  global
        .offset:         40
        .size:           8
        .value_kind:     global_buffer
      - .offset:         48
        .size:           4
        .value_kind:     by_value
      - .offset:         52
        .size:           4
        .value_kind:     by_value
      - .offset:         56
        .size:           4
        .value_kind:     by_value
      - .offset:         60
        .size:           4
        .value_kind:     by_value
      - .offset:         64
        .size:           4
        .value_kind:     by_value
      - .offset:         68
        .size:           4
        .value_kind:     by_value
    .group_segment_fixed_size: 0
    .kernarg_segment_align: 8
    .kernarg_segment_size: 72
    .language:       OpenCL C
    .language_version:
      - 2
      - 0
    .max_flat_workgroup_size: 512
    .name:           _ZN4vllm3moe17topkGatingSoftmaxItLi1ELi1ELi8ELi2ELb0ELi2ELNS0_23SharedExpertScoringFuncE1EEEvPKT_PKbPfiPiS9_iiiiii
    .private_segment_fixed_size: 0
    .sgpr_count:     26
    .sgpr_spill_count: 0
    .symbol:         _ZN4vllm3moe17topkGatingSoftmaxItLi1ELi1ELi8ELi2ELb0ELi2ELNS0_23SharedExpertScoringFuncE1EEEvPKT_PKbPfiPiS9_iiiiii.kd
    .uniform_work_group_size: 1
    .uses_dynamic_stack: false
    .vgpr_count:     21
    .vgpr_spill_count: 0
    .wavefront_size: 64
  - .agpr_count:     0
    .args:
      - .address_space:  global
        .offset:         0
        .size:           8
        .value_kind:     global_buffer
      - .address_space:  global
        .offset:         8
        .size:           8
        .value_kind:     global_buffer
      - .address_space:  global
        .offset:         16
        .size:           8
        .value_kind:     global_buffer
      - .offset:         24
        .size:           4
        .value_kind:     by_value
      - .address_space:  global
        .offset:         32
        .size:           8
        .value_kind:     global_buffer
      - .address_space:  global
        .offset:         40
        .size:           8
        .value_kind:     global_buffer
      - .offset:         48
        .size:           4
        .value_kind:     by_value
      - .offset:         52
        .size:           4
        .value_kind:     by_value
      - .offset:         56
        .size:           4
        .value_kind:     by_value
      - .offset:         60
        .size:           4
        .value_kind:     by_value
      - .offset:         64
        .size:           4
        .value_kind:     by_value
      - .offset:         68
        .size:           4
        .value_kind:     by_value
    .group_segment_fixed_size: 0
    .kernarg_segment_align: 8
    .kernarg_segment_size: 72
    .language:       OpenCL C
    .language_version:
      - 2
      - 0
    .max_flat_workgroup_size: 512
    .name:           _ZN4vllm3moe17topkGatingSoftmaxItLi1ELi1ELi8ELi2ELb1ELi4ELNS0_23SharedExpertScoringFuncE1EEEvPKT_PKbPfiPiS9_iiiiii
    .private_segment_fixed_size: 0
    .sgpr_count:     26
    .sgpr_spill_count: 0
    .symbol:         _ZN4vllm3moe17topkGatingSoftmaxItLi1ELi1ELi8ELi2ELb1ELi4ELNS0_23SharedExpertScoringFuncE1EEEvPKT_PKbPfiPiS9_iiiiii.kd
    .uniform_work_group_size: 1
    .uses_dynamic_stack: false
    .vgpr_count:     25
    .vgpr_spill_count: 0
    .wavefront_size: 64
  - .agpr_count:     0
    .args:
      - .address_space:  global
        .offset:         0
        .size:           8
        .value_kind:     global_buffer
      - .address_space:  global
        .offset:         8
        .size:           8
        .value_kind:     global_buffer
      - .address_space:  global
        .offset:         16
        .size:           8
        .value_kind:     global_buffer
      - .offset:         24
        .size:           4
        .value_kind:     by_value
      - .address_space:  global
        .offset:         32
        .size:           8
        .value_kind:     global_buffer
      - .address_space:  global
        .offset:         40
        .size:           8
        .value_kind:     global_buffer
      - .offset:         48
        .size:           4
        .value_kind:     by_value
      - .offset:         52
        .size:           4
        .value_kind:     by_value
      - .offset:         56
        .size:           4
        .value_kind:     by_value
      - .offset:         60
        .size:           4
        .value_kind:     by_value
      - .offset:         64
        .size:           4
        .value_kind:     by_value
      - .offset:         68
        .size:           4
        .value_kind:     by_value
    .group_segment_fixed_size: 0
    .kernarg_segment_align: 8
    .kernarg_segment_size: 72
    .language:       OpenCL C
    .language_version:
      - 2
      - 0
    .max_flat_workgroup_size: 512
    .name:           _ZN4vllm3moe17topkGatingSoftmaxItLi1ELi1ELi8ELi2ELb0ELi4ELNS0_23SharedExpertScoringFuncE1EEEvPKT_PKbPfiPiS9_iiiiii
    .private_segment_fixed_size: 0
    .sgpr_count:     26
    .sgpr_spill_count: 0
    .symbol:         _ZN4vllm3moe17topkGatingSoftmaxItLi1ELi1ELi8ELi2ELb0ELi4ELNS0_23SharedExpertScoringFuncE1EEEvPKT_PKbPfiPiS9_iiiiii.kd
    .uniform_work_group_size: 1
    .uses_dynamic_stack: false
    .vgpr_count:     26
    .vgpr_spill_count: 0
    .wavefront_size: 64
  - .agpr_count:     0
    .args:
      - .address_space:  global
        .offset:         0
        .size:           8
        .value_kind:     global_buffer
      - .address_space:  global
        .offset:         8
        .size:           8
        .value_kind:     global_buffer
      - .address_space:  global
        .offset:         16
        .size:           8
        .value_kind:     global_buffer
      - .offset:         24
        .size:           4
        .value_kind:     by_value
      - .address_space:  global
        .offset:         32
        .size:           8
        .value_kind:     global_buffer
      - .address_space:  global
        .offset:         40
        .size:           8
        .value_kind:     global_buffer
      - .offset:         48
        .size:           4
        .value_kind:     by_value
      - .offset:         52
        .size:           4
        .value_kind:     by_value
      - .offset:         56
        .size:           4
        .value_kind:     by_value
      - .offset:         60
        .size:           4
        .value_kind:     by_value
      - .offset:         64
        .size:           4
        .value_kind:     by_value
      - .offset:         68
        .size:           4
        .value_kind:     by_value
    .group_segment_fixed_size: 0
    .kernarg_segment_align: 8
    .kernarg_segment_size: 72
    .language:       OpenCL C
    .language_version:
      - 2
      - 0
    .max_flat_workgroup_size: 512
    .name:           _ZN4vllm3moe17topkGatingSoftmaxItLi1ELi1ELi8ELi2ELb1ELi8ELNS0_23SharedExpertScoringFuncE1EEEvPKT_PKbPfiPiS9_iiiiii
    .private_segment_fixed_size: 0
    .sgpr_count:     26
    .sgpr_spill_count: 0
    .symbol:         _ZN4vllm3moe17topkGatingSoftmaxItLi1ELi1ELi8ELi2ELb1ELi8ELNS0_23SharedExpertScoringFuncE1EEEvPKT_PKbPfiPiS9_iiiiii.kd
    .uniform_work_group_size: 1
    .uses_dynamic_stack: false
    .vgpr_count:     28
    .vgpr_spill_count: 0
    .wavefront_size: 64
  - .agpr_count:     0
    .args:
      - .address_space:  global
        .offset:         0
        .size:           8
        .value_kind:     global_buffer
      - .address_space:  global
        .offset:         8
        .size:           8
        .value_kind:     global_buffer
      - .address_space:  global
        .offset:         16
        .size:           8
        .value_kind:     global_buffer
      - .offset:         24
        .size:           4
        .value_kind:     by_value
      - .address_space:  global
        .offset:         32
        .size:           8
        .value_kind:     global_buffer
      - .address_space:  global
        .offset:         40
        .size:           8
        .value_kind:     global_buffer
      - .offset:         48
        .size:           4
        .value_kind:     by_value
      - .offset:         52
        .size:           4
        .value_kind:     by_value
      - .offset:         56
        .size:           4
        .value_kind:     by_value
      - .offset:         60
        .size:           4
        .value_kind:     by_value
      - .offset:         64
        .size:           4
        .value_kind:     by_value
      - .offset:         68
        .size:           4
        .value_kind:     by_value
    .group_segment_fixed_size: 0
    .kernarg_segment_align: 8
    .kernarg_segment_size: 72
    .language:       OpenCL C
    .language_version:
      - 2
      - 0
    .max_flat_workgroup_size: 512
    .name:           _ZN4vllm3moe17topkGatingSoftmaxItLi1ELi1ELi8ELi2ELb0ELi8ELNS0_23SharedExpertScoringFuncE1EEEvPKT_PKbPfiPiS9_iiiiii
    .private_segment_fixed_size: 0
    .sgpr_count:     26
    .sgpr_spill_count: 0
    .symbol:         _ZN4vllm3moe17topkGatingSoftmaxItLi1ELi1ELi8ELi2ELb0ELi8ELNS0_23SharedExpertScoringFuncE1EEEvPKT_PKbPfiPiS9_iiiiii.kd
    .uniform_work_group_size: 1
    .uses_dynamic_stack: false
    .vgpr_count:     28
    .vgpr_spill_count: 0
    .wavefront_size: 64
  - .agpr_count:     0
    .args:
      - .address_space:  global
        .offset:         0
        .size:           8
        .value_kind:     global_buffer
      - .address_space:  global
        .offset:         8
        .size:           8
        .value_kind:     global_buffer
      - .address_space:  global
        .offset:         16
        .size:           8
        .value_kind:     global_buffer
      - .offset:         24
        .size:           4
        .value_kind:     by_value
      - .address_space:  global
        .offset:         32
        .size:           8
        .value_kind:     global_buffer
      - .address_space:  global
        .offset:         40
        .size:           8
        .value_kind:     global_buffer
      - .offset:         48
        .size:           4
        .value_kind:     by_value
      - .offset:         52
        .size:           4
        .value_kind:     by_value
      - .offset:         56
        .size:           4
        .value_kind:     by_value
      - .offset:         60
        .size:           4
        .value_kind:     by_value
      - .offset:         64
        .size:           4
        .value_kind:     by_value
      - .offset:         68
        .size:           4
        .value_kind:     by_value
    .group_segment_fixed_size: 0
    .kernarg_segment_align: 8
    .kernarg_segment_size: 72
    .language:       OpenCL C
    .language_version:
      - 2
      - 0
    .max_flat_workgroup_size: 512
    .name:           _ZN4vllm3moe17topkGatingSoftmaxItLi2ELi2ELi8ELi4ELb1ELi0ELNS0_23SharedExpertScoringFuncE0EEEvPKT_PKbPfiPiS9_iiiiii
    .private_segment_fixed_size: 0
    .sgpr_count:     29
    .sgpr_spill_count: 0
    .symbol:         _ZN4vllm3moe17topkGatingSoftmaxItLi2ELi2ELi8ELi4ELb1ELi0ELNS0_23SharedExpertScoringFuncE0EEEvPKT_PKbPfiPiS9_iiiiii.kd
    .uniform_work_group_size: 1
    .uses_dynamic_stack: false
    .vgpr_count:     24
    .vgpr_spill_count: 0
    .wavefront_size: 64
  - .agpr_count:     0
    .args:
      - .address_space:  global
        .offset:         0
        .size:           8
        .value_kind:     global_buffer
      - .address_space:  global
        .offset:         8
        .size:           8
        .value_kind:     global_buffer
      - .address_space:  global
        .offset:         16
        .size:           8
        .value_kind:     global_buffer
      - .offset:         24
        .size:           4
        .value_kind:     by_value
      - .address_space:  global
        .offset:         32
        .size:           8
        .value_kind:     global_buffer
      - .address_space:  global
        .offset:         40
        .size:           8
        .value_kind:     global_buffer
      - .offset:         48
        .size:           4
        .value_kind:     by_value
      - .offset:         52
        .size:           4
        .value_kind:     by_value
      - .offset:         56
        .size:           4
        .value_kind:     by_value
      - .offset:         60
        .size:           4
        .value_kind:     by_value
      - .offset:         64
        .size:           4
        .value_kind:     by_value
      - .offset:         68
        .size:           4
        .value_kind:     by_value
    .group_segment_fixed_size: 0
    .kernarg_segment_align: 8
    .kernarg_segment_size: 72
    .language:       OpenCL C
    .language_version:
      - 2
      - 0
    .max_flat_workgroup_size: 512
    .name:           _ZN4vllm3moe17topkGatingSoftmaxItLi2ELi2ELi8ELi4ELb0ELi0ELNS0_23SharedExpertScoringFuncE0EEEvPKT_PKbPfiPiS9_iiiiii
    .private_segment_fixed_size: 0
    .sgpr_count:     30
    .sgpr_spill_count: 0
    .symbol:         _ZN4vllm3moe17topkGatingSoftmaxItLi2ELi2ELi8ELi4ELb0ELi0ELNS0_23SharedExpertScoringFuncE0EEEvPKT_PKbPfiPiS9_iiiiii.kd
    .uniform_work_group_size: 1
    .uses_dynamic_stack: false
    .vgpr_count:     19
    .vgpr_spill_count: 0
    .wavefront_size: 64
  - .agpr_count:     0
    .args:
      - .address_space:  global
        .offset:         0
        .size:           8
        .value_kind:     global_buffer
      - .address_space:  global
        .offset:         8
        .size:           8
        .value_kind:     global_buffer
      - .address_space:  global
        .offset:         16
        .size:           8
        .value_kind:     global_buffer
      - .offset:         24
        .size:           4
        .value_kind:     by_value
      - .address_space:  global
        .offset:         32
        .size:           8
        .value_kind:     global_buffer
      - .address_space:  global
        .offset:         40
        .size:           8
        .value_kind:     global_buffer
      - .offset:         48
        .size:           4
        .value_kind:     by_value
      - .offset:         52
        .size:           4
        .value_kind:     by_value
      - .offset:         56
        .size:           4
        .value_kind:     by_value
      - .offset:         60
        .size:           4
        .value_kind:     by_value
      - .offset:         64
        .size:           4
        .value_kind:     by_value
      - .offset:         68
        .size:           4
        .value_kind:     by_value
    .group_segment_fixed_size: 0
    .kernarg_segment_align: 8
    .kernarg_segment_size: 72
    .language:       OpenCL C
    .language_version:
      - 2
      - 0
    .max_flat_workgroup_size: 512
    .name:           _ZN4vllm3moe17topkGatingSoftmaxItLi2ELi2ELi8ELi4ELb1ELi1ELNS0_23SharedExpertScoringFuncE1EEEvPKT_PKbPfiPiS9_iiiiii
    .private_segment_fixed_size: 0
    .sgpr_count:     28
    .sgpr_spill_count: 0
    .symbol:         _ZN4vllm3moe17topkGatingSoftmaxItLi2ELi2ELi8ELi4ELb1ELi1ELNS0_23SharedExpertScoringFuncE1EEEvPKT_PKbPfiPiS9_iiiiii.kd
    .uniform_work_group_size: 1
    .uses_dynamic_stack: false
    .vgpr_count:     20
    .vgpr_spill_count: 0
    .wavefront_size: 64
  - .agpr_count:     0
    .args:
      - .address_space:  global
        .offset:         0
        .size:           8
        .value_kind:     global_buffer
      - .address_space:  global
        .offset:         8
        .size:           8
        .value_kind:     global_buffer
      - .address_space:  global
        .offset:         16
        .size:           8
        .value_kind:     global_buffer
      - .offset:         24
        .size:           4
        .value_kind:     by_value
      - .address_space:  global
        .offset:         32
        .size:           8
        .value_kind:     global_buffer
      - .address_space:  global
        .offset:         40
        .size:           8
        .value_kind:     global_buffer
      - .offset:         48
        .size:           4
        .value_kind:     by_value
      - .offset:         52
        .size:           4
        .value_kind:     by_value
      - .offset:         56
        .size:           4
        .value_kind:     by_value
      - .offset:         60
        .size:           4
        .value_kind:     by_value
      - .offset:         64
        .size:           4
        .value_kind:     by_value
      - .offset:         68
        .size:           4
        .value_kind:     by_value
    .group_segment_fixed_size: 0
    .kernarg_segment_align: 8
    .kernarg_segment_size: 72
    .language:       OpenCL C
    .language_version:
      - 2
      - 0
    .max_flat_workgroup_size: 512
    .name:           _ZN4vllm3moe17topkGatingSoftmaxItLi2ELi2ELi8ELi4ELb0ELi1ELNS0_23SharedExpertScoringFuncE1EEEvPKT_PKbPfiPiS9_iiiiii
    .private_segment_fixed_size: 0
    .sgpr_count:     28
    .sgpr_spill_count: 0
    .symbol:         _ZN4vllm3moe17topkGatingSoftmaxItLi2ELi2ELi8ELi4ELb0ELi1ELNS0_23SharedExpertScoringFuncE1EEEvPKT_PKbPfiPiS9_iiiiii.kd
    .uniform_work_group_size: 1
    .uses_dynamic_stack: false
    .vgpr_count:     21
    .vgpr_spill_count: 0
    .wavefront_size: 64
  - .agpr_count:     0
    .args:
      - .address_space:  global
        .offset:         0
        .size:           8
        .value_kind:     global_buffer
      - .address_space:  global
        .offset:         8
        .size:           8
        .value_kind:     global_buffer
      - .address_space:  global
        .offset:         16
        .size:           8
        .value_kind:     global_buffer
      - .offset:         24
        .size:           4
        .value_kind:     by_value
      - .address_space:  global
        .offset:         32
        .size:           8
        .value_kind:     global_buffer
      - .address_space:  global
        .offset:         40
        .size:           8
        .value_kind:     global_buffer
      - .offset:         48
        .size:           4
        .value_kind:     by_value
      - .offset:         52
        .size:           4
        .value_kind:     by_value
      - .offset:         56
        .size:           4
        .value_kind:     by_value
      - .offset:         60
        .size:           4
        .value_kind:     by_value
      - .offset:         64
        .size:           4
        .value_kind:     by_value
      - .offset:         68
        .size:           4
        .value_kind:     by_value
    .group_segment_fixed_size: 0
    .kernarg_segment_align: 8
    .kernarg_segment_size: 72
    .language:       OpenCL C
    .language_version:
      - 2
      - 0
    .max_flat_workgroup_size: 512
    .name:           _ZN4vllm3moe17topkGatingSoftmaxItLi2ELi2ELi8ELi4ELb1ELi2ELNS0_23SharedExpertScoringFuncE1EEEvPKT_PKbPfiPiS9_iiiiii
    .private_segment_fixed_size: 0
    .sgpr_count:     28
    .sgpr_spill_count: 0
    .symbol:         _ZN4vllm3moe17topkGatingSoftmaxItLi2ELi2ELi8ELi4ELb1ELi2ELNS0_23SharedExpertScoringFuncE1EEEvPKT_PKbPfiPiS9_iiiiii.kd
    .uniform_work_group_size: 1
    .uses_dynamic_stack: false
    .vgpr_count:     21
    .vgpr_spill_count: 0
    .wavefront_size: 64
  - .agpr_count:     0
    .args:
      - .address_space:  global
        .offset:         0
        .size:           8
        .value_kind:     global_buffer
      - .address_space:  global
        .offset:         8
        .size:           8
        .value_kind:     global_buffer
      - .address_space:  global
        .offset:         16
        .size:           8
        .value_kind:     global_buffer
      - .offset:         24
        .size:           4
        .value_kind:     by_value
      - .address_space:  global
        .offset:         32
        .size:           8
        .value_kind:     global_buffer
      - .address_space:  global
        .offset:         40
        .size:           8
        .value_kind:     global_buffer
      - .offset:         48
        .size:           4
        .value_kind:     by_value
      - .offset:         52
        .size:           4
        .value_kind:     by_value
      - .offset:         56
        .size:           4
        .value_kind:     by_value
      - .offset:         60
        .size:           4
        .value_kind:     by_value
      - .offset:         64
        .size:           4
        .value_kind:     by_value
      - .offset:         68
        .size:           4
        .value_kind:     by_value
    .group_segment_fixed_size: 0
    .kernarg_segment_align: 8
    .kernarg_segment_size: 72
    .language:       OpenCL C
    .language_version:
      - 2
      - 0
    .max_flat_workgroup_size: 512
    .name:           _ZN4vllm3moe17topkGatingSoftmaxItLi2ELi2ELi8ELi4ELb0ELi2ELNS0_23SharedExpertScoringFuncE1EEEvPKT_PKbPfiPiS9_iiiiii
    .private_segment_fixed_size: 0
    .sgpr_count:     28
    .sgpr_spill_count: 0
    .symbol:         _ZN4vllm3moe17topkGatingSoftmaxItLi2ELi2ELi8ELi4ELb0ELi2ELNS0_23SharedExpertScoringFuncE1EEEvPKT_PKbPfiPiS9_iiiiii.kd
    .uniform_work_group_size: 1
    .uses_dynamic_stack: false
    .vgpr_count:     22
    .vgpr_spill_count: 0
    .wavefront_size: 64
  - .agpr_count:     0
    .args:
      - .address_space:  global
        .offset:         0
        .size:           8
        .value_kind:     global_buffer
      - .address_space:  global
        .offset:         8
        .size:           8
        .value_kind:     global_buffer
      - .address_space:  global
        .offset:         16
        .size:           8
        .value_kind:     global_buffer
      - .offset:         24
        .size:           4
        .value_kind:     by_value
      - .address_space:  global
        .offset:         32
        .size:           8
        .value_kind:     global_buffer
      - .address_space:  global
        .offset:         40
        .size:           8
        .value_kind:     global_buffer
      - .offset:         48
        .size:           4
        .value_kind:     by_value
      - .offset:         52
        .size:           4
        .value_kind:     by_value
      - .offset:         56
        .size:           4
        .value_kind:     by_value
      - .offset:         60
        .size:           4
        .value_kind:     by_value
      - .offset:         64
        .size:           4
        .value_kind:     by_value
      - .offset:         68
        .size:           4
        .value_kind:     by_value
    .group_segment_fixed_size: 0
    .kernarg_segment_align: 8
    .kernarg_segment_size: 72
    .language:       OpenCL C
    .language_version:
      - 2
      - 0
    .max_flat_workgroup_size: 512
    .name:           _ZN4vllm3moe17topkGatingSoftmaxItLi2ELi2ELi8ELi4ELb1ELi4ELNS0_23SharedExpertScoringFuncE1EEEvPKT_PKbPfiPiS9_iiiiii
    .private_segment_fixed_size: 0
    .sgpr_count:     28
    .sgpr_spill_count: 0
    .symbol:         _ZN4vllm3moe17topkGatingSoftmaxItLi2ELi2ELi8ELi4ELb1ELi4ELNS0_23SharedExpertScoringFuncE1EEEvPKT_PKbPfiPiS9_iiiiii.kd
    .uniform_work_group_size: 1
    .uses_dynamic_stack: false
    .vgpr_count:     27
    .vgpr_spill_count: 0
    .wavefront_size: 64
  - .agpr_count:     0
    .args:
      - .address_space:  global
        .offset:         0
        .size:           8
        .value_kind:     global_buffer
      - .address_space:  global
        .offset:         8
        .size:           8
        .value_kind:     global_buffer
      - .address_space:  global
        .offset:         16
        .size:           8
        .value_kind:     global_buffer
      - .offset:         24
        .size:           4
        .value_kind:     by_value
      - .address_space:  global
        .offset:         32
        .size:           8
        .value_kind:     global_buffer
      - .address_space:  global
        .offset:         40
        .size:           8
        .value_kind:     global_buffer
      - .offset:         48
        .size:           4
        .value_kind:     by_value
      - .offset:         52
        .size:           4
        .value_kind:     by_value
      - .offset:         56
        .size:           4
        .value_kind:     by_value
      - .offset:         60
        .size:           4
        .value_kind:     by_value
      - .offset:         64
        .size:           4
        .value_kind:     by_value
      - .offset:         68
        .size:           4
        .value_kind:     by_value
    .group_segment_fixed_size: 0
    .kernarg_segment_align: 8
    .kernarg_segment_size: 72
    .language:       OpenCL C
    .language_version:
      - 2
      - 0
    .max_flat_workgroup_size: 512
    .name:           _ZN4vllm3moe17topkGatingSoftmaxItLi2ELi2ELi8ELi4ELb0ELi4ELNS0_23SharedExpertScoringFuncE1EEEvPKT_PKbPfiPiS9_iiiiii
    .private_segment_fixed_size: 0
    .sgpr_count:     28
    .sgpr_spill_count: 0
    .symbol:         _ZN4vllm3moe17topkGatingSoftmaxItLi2ELi2ELi8ELi4ELb0ELi4ELNS0_23SharedExpertScoringFuncE1EEEvPKT_PKbPfiPiS9_iiiiii.kd
    .uniform_work_group_size: 1
    .uses_dynamic_stack: false
    .vgpr_count:     26
    .vgpr_spill_count: 0
    .wavefront_size: 64
  - .agpr_count:     0
    .args:
      - .address_space:  global
        .offset:         0
        .size:           8
        .value_kind:     global_buffer
      - .address_space:  global
        .offset:         8
        .size:           8
        .value_kind:     global_buffer
      - .address_space:  global
        .offset:         16
        .size:           8
        .value_kind:     global_buffer
      - .offset:         24
        .size:           4
        .value_kind:     by_value
      - .address_space:  global
        .offset:         32
        .size:           8
        .value_kind:     global_buffer
      - .address_space:  global
        .offset:         40
        .size:           8
        .value_kind:     global_buffer
      - .offset:         48
        .size:           4
        .value_kind:     by_value
      - .offset:         52
        .size:           4
        .value_kind:     by_value
      - .offset:         56
        .size:           4
        .value_kind:     by_value
      - .offset:         60
        .size:           4
        .value_kind:     by_value
      - .offset:         64
        .size:           4
        .value_kind:     by_value
      - .offset:         68
        .size:           4
        .value_kind:     by_value
    .group_segment_fixed_size: 0
    .kernarg_segment_align: 8
    .kernarg_segment_size: 72
    .language:       OpenCL C
    .language_version:
      - 2
      - 0
    .max_flat_workgroup_size: 512
    .name:           _ZN4vllm3moe17topkGatingSoftmaxItLi2ELi2ELi8ELi4ELb1ELi8ELNS0_23SharedExpertScoringFuncE1EEEvPKT_PKbPfiPiS9_iiiiii
    .private_segment_fixed_size: 0
    .sgpr_count:     28
    .sgpr_spill_count: 0
    .symbol:         _ZN4vllm3moe17topkGatingSoftmaxItLi2ELi2ELi8ELi4ELb1ELi8ELNS0_23SharedExpertScoringFuncE1EEEvPKT_PKbPfiPiS9_iiiiii.kd
    .uniform_work_group_size: 1
    .uses_dynamic_stack: false
    .vgpr_count:     28
    .vgpr_spill_count: 0
    .wavefront_size: 64
  - .agpr_count:     0
    .args:
      - .address_space:  global
        .offset:         0
        .size:           8
        .value_kind:     global_buffer
      - .address_space:  global
        .offset:         8
        .size:           8
        .value_kind:     global_buffer
      - .address_space:  global
        .offset:         16
        .size:           8
        .value_kind:     global_buffer
      - .offset:         24
        .size:           4
        .value_kind:     by_value
      - .address_space:  global
        .offset:         32
        .size:           8
        .value_kind:     global_buffer
      - .address_space:  global
        .offset:         40
        .size:           8
        .value_kind:     global_buffer
      - .offset:         48
        .size:           4
        .value_kind:     by_value
      - .offset:         52
        .size:           4
        .value_kind:     by_value
      - .offset:         56
        .size:           4
        .value_kind:     by_value
      - .offset:         60
        .size:           4
        .value_kind:     by_value
      - .offset:         64
        .size:           4
        .value_kind:     by_value
      - .offset:         68
        .size:           4
        .value_kind:     by_value
    .group_segment_fixed_size: 0
    .kernarg_segment_align: 8
    .kernarg_segment_size: 72
    .language:       OpenCL C
    .language_version:
      - 2
      - 0
    .max_flat_workgroup_size: 512
    .name:           _ZN4vllm3moe17topkGatingSoftmaxItLi2ELi2ELi8ELi4ELb0ELi8ELNS0_23SharedExpertScoringFuncE1EEEvPKT_PKbPfiPiS9_iiiiii
    .private_segment_fixed_size: 0
    .sgpr_count:     28
    .sgpr_spill_count: 0
    .symbol:         _ZN4vllm3moe17topkGatingSoftmaxItLi2ELi2ELi8ELi4ELb0ELi8ELNS0_23SharedExpertScoringFuncE1EEEvPKT_PKbPfiPiS9_iiiiii.kd
    .uniform_work_group_size: 1
    .uses_dynamic_stack: false
    .vgpr_count:     28
    .vgpr_spill_count: 0
    .wavefront_size: 64
  - .agpr_count:     0
    .args:
      - .address_space:  global
        .offset:         0
        .size:           8
        .value_kind:     global_buffer
      - .address_space:  global
        .offset:         8
        .size:           8
        .value_kind:     global_buffer
      - .address_space:  global
        .offset:         16
        .size:           8
        .value_kind:     global_buffer
      - .offset:         24
        .size:           4
        .value_kind:     by_value
      - .address_space:  global
        .offset:         32
        .size:           8
        .value_kind:     global_buffer
      - .address_space:  global
        .offset:         40
        .size:           8
        .value_kind:     global_buffer
      - .offset:         48
        .size:           4
        .value_kind:     by_value
      - .offset:         52
        .size:           4
        .value_kind:     by_value
      - .offset:         56
        .size:           4
        .value_kind:     by_value
      - .offset:         60
        .size:           4
        .value_kind:     by_value
      - .offset:         64
        .size:           4
        .value_kind:     by_value
      - .offset:         68
        .size:           4
        .value_kind:     by_value
    .group_segment_fixed_size: 0
    .kernarg_segment_align: 8
    .kernarg_segment_size: 72
    .language:       OpenCL C
    .language_version:
      - 2
      - 0
    .max_flat_workgroup_size: 512
    .name:           _ZN4vllm3moe17topkGatingSoftmaxItLi4ELi4ELi8ELi8ELb1ELi0ELNS0_23SharedExpertScoringFuncE0EEEvPKT_PKbPfiPiS9_iiiiii
    .private_segment_fixed_size: 0
    .sgpr_count:     27
    .sgpr_spill_count: 0
    .symbol:         _ZN4vllm3moe17topkGatingSoftmaxItLi4ELi4ELi8ELi8ELb1ELi0ELNS0_23SharedExpertScoringFuncE0EEEvPKT_PKbPfiPiS9_iiiiii.kd
    .uniform_work_group_size: 1
    .uses_dynamic_stack: false
    .vgpr_count:     26
    .vgpr_spill_count: 0
    .wavefront_size: 64
  - .agpr_count:     0
    .args:
      - .address_space:  global
        .offset:         0
        .size:           8
        .value_kind:     global_buffer
      - .address_space:  global
        .offset:         8
        .size:           8
        .value_kind:     global_buffer
      - .address_space:  global
        .offset:         16
        .size:           8
        .value_kind:     global_buffer
      - .offset:         24
        .size:           4
        .value_kind:     by_value
      - .address_space:  global
        .offset:         32
        .size:           8
        .value_kind:     global_buffer
      - .address_space:  global
        .offset:         40
        .size:           8
        .value_kind:     global_buffer
      - .offset:         48
        .size:           4
        .value_kind:     by_value
      - .offset:         52
        .size:           4
        .value_kind:     by_value
      - .offset:         56
        .size:           4
        .value_kind:     by_value
      - .offset:         60
        .size:           4
        .value_kind:     by_value
      - .offset:         64
        .size:           4
        .value_kind:     by_value
      - .offset:         68
        .size:           4
        .value_kind:     by_value
    .group_segment_fixed_size: 0
    .kernarg_segment_align: 8
    .kernarg_segment_size: 72
    .language:       OpenCL C
    .language_version:
      - 2
      - 0
    .max_flat_workgroup_size: 512
    .name:           _ZN4vllm3moe17topkGatingSoftmaxItLi4ELi4ELi8ELi8ELb0ELi0ELNS0_23SharedExpertScoringFuncE0EEEvPKT_PKbPfiPiS9_iiiiii
    .private_segment_fixed_size: 0
    .sgpr_count:     27
    .sgpr_spill_count: 0
    .symbol:         _ZN4vllm3moe17topkGatingSoftmaxItLi4ELi4ELi8ELi8ELb0ELi0ELNS0_23SharedExpertScoringFuncE0EEEvPKT_PKbPfiPiS9_iiiiii.kd
    .uniform_work_group_size: 1
    .uses_dynamic_stack: false
    .vgpr_count:     21
    .vgpr_spill_count: 0
    .wavefront_size: 64
  - .agpr_count:     0
    .args:
      - .address_space:  global
        .offset:         0
        .size:           8
        .value_kind:     global_buffer
      - .address_space:  global
        .offset:         8
        .size:           8
        .value_kind:     global_buffer
      - .address_space:  global
        .offset:         16
        .size:           8
        .value_kind:     global_buffer
      - .offset:         24
        .size:           4
        .value_kind:     by_value
      - .address_space:  global
        .offset:         32
        .size:           8
        .value_kind:     global_buffer
      - .address_space:  global
        .offset:         40
        .size:           8
        .value_kind:     global_buffer
      - .offset:         48
        .size:           4
        .value_kind:     by_value
      - .offset:         52
        .size:           4
        .value_kind:     by_value
      - .offset:         56
        .size:           4
        .value_kind:     by_value
      - .offset:         60
        .size:           4
        .value_kind:     by_value
      - .offset:         64
        .size:           4
        .value_kind:     by_value
      - .offset:         68
        .size:           4
        .value_kind:     by_value
    .group_segment_fixed_size: 0
    .kernarg_segment_align: 8
    .kernarg_segment_size: 72
    .language:       OpenCL C
    .language_version:
      - 2
      - 0
    .max_flat_workgroup_size: 512
    .name:           _ZN4vllm3moe17topkGatingSoftmaxItLi4ELi4ELi8ELi8ELb1ELi1ELNS0_23SharedExpertScoringFuncE1EEEvPKT_PKbPfiPiS9_iiiiii
    .private_segment_fixed_size: 0
    .sgpr_count:     26
    .sgpr_spill_count: 0
    .symbol:         _ZN4vllm3moe17topkGatingSoftmaxItLi4ELi4ELi8ELi8ELb1ELi1ELNS0_23SharedExpertScoringFuncE1EEEvPKT_PKbPfiPiS9_iiiiii.kd
    .uniform_work_group_size: 1
    .uses_dynamic_stack: false
    .vgpr_count:     24
    .vgpr_spill_count: 0
    .wavefront_size: 64
  - .agpr_count:     0
    .args:
      - .address_space:  global
        .offset:         0
        .size:           8
        .value_kind:     global_buffer
      - .address_space:  global
        .offset:         8
        .size:           8
        .value_kind:     global_buffer
      - .address_space:  global
        .offset:         16
        .size:           8
        .value_kind:     global_buffer
      - .offset:         24
        .size:           4
        .value_kind:     by_value
      - .address_space:  global
        .offset:         32
        .size:           8
        .value_kind:     global_buffer
      - .address_space:  global
        .offset:         40
        .size:           8
        .value_kind:     global_buffer
      - .offset:         48
        .size:           4
        .value_kind:     by_value
      - .offset:         52
        .size:           4
        .value_kind:     by_value
      - .offset:         56
        .size:           4
        .value_kind:     by_value
      - .offset:         60
        .size:           4
        .value_kind:     by_value
      - .offset:         64
        .size:           4
        .value_kind:     by_value
      - .offset:         68
        .size:           4
        .value_kind:     by_value
    .group_segment_fixed_size: 0
    .kernarg_segment_align: 8
    .kernarg_segment_size: 72
    .language:       OpenCL C
    .language_version:
      - 2
      - 0
    .max_flat_workgroup_size: 512
    .name:           _ZN4vllm3moe17topkGatingSoftmaxItLi4ELi4ELi8ELi8ELb0ELi1ELNS0_23SharedExpertScoringFuncE1EEEvPKT_PKbPfiPiS9_iiiiii
    .private_segment_fixed_size: 0
    .sgpr_count:     26
    .sgpr_spill_count: 0
    .symbol:         _ZN4vllm3moe17topkGatingSoftmaxItLi4ELi4ELi8ELi8ELb0ELi1ELNS0_23SharedExpertScoringFuncE1EEEvPKT_PKbPfiPiS9_iiiiii.kd
    .uniform_work_group_size: 1
    .uses_dynamic_stack: false
    .vgpr_count:     23
    .vgpr_spill_count: 0
    .wavefront_size: 64
  - .agpr_count:     0
    .args:
      - .address_space:  global
        .offset:         0
        .size:           8
        .value_kind:     global_buffer
      - .address_space:  global
        .offset:         8
        .size:           8
        .value_kind:     global_buffer
      - .address_space:  global
        .offset:         16
        .size:           8
        .value_kind:     global_buffer
      - .offset:         24
        .size:           4
        .value_kind:     by_value
      - .address_space:  global
        .offset:         32
        .size:           8
        .value_kind:     global_buffer
      - .address_space:  global
        .offset:         40
        .size:           8
        .value_kind:     global_buffer
      - .offset:         48
        .size:           4
        .value_kind:     by_value
      - .offset:         52
        .size:           4
        .value_kind:     by_value
      - .offset:         56
        .size:           4
        .value_kind:     by_value
      - .offset:         60
        .size:           4
        .value_kind:     by_value
      - .offset:         64
        .size:           4
        .value_kind:     by_value
      - .offset:         68
        .size:           4
        .value_kind:     by_value
    .group_segment_fixed_size: 0
    .kernarg_segment_align: 8
    .kernarg_segment_size: 72
    .language:       OpenCL C
    .language_version:
      - 2
      - 0
    .max_flat_workgroup_size: 512
    .name:           _ZN4vllm3moe17topkGatingSoftmaxItLi4ELi4ELi8ELi8ELb1ELi2ELNS0_23SharedExpertScoringFuncE1EEEvPKT_PKbPfiPiS9_iiiiii
    .private_segment_fixed_size: 0
    .sgpr_count:     26
    .sgpr_spill_count: 0
    .symbol:         _ZN4vllm3moe17topkGatingSoftmaxItLi4ELi4ELi8ELi8ELb1ELi2ELNS0_23SharedExpertScoringFuncE1EEEvPKT_PKbPfiPiS9_iiiiii.kd
    .uniform_work_group_size: 1
    .uses_dynamic_stack: false
    .vgpr_count:     22
    .vgpr_spill_count: 0
    .wavefront_size: 64
  - .agpr_count:     0
    .args:
      - .address_space:  global
        .offset:         0
        .size:           8
        .value_kind:     global_buffer
      - .address_space:  global
        .offset:         8
        .size:           8
        .value_kind:     global_buffer
      - .address_space:  global
        .offset:         16
        .size:           8
        .value_kind:     global_buffer
      - .offset:         24
        .size:           4
        .value_kind:     by_value
      - .address_space:  global
        .offset:         32
        .size:           8
        .value_kind:     global_buffer
      - .address_space:  global
        .offset:         40
        .size:           8
        .value_kind:     global_buffer
      - .offset:         48
        .size:           4
        .value_kind:     by_value
      - .offset:         52
        .size:           4
        .value_kind:     by_value
      - .offset:         56
        .size:           4
        .value_kind:     by_value
      - .offset:         60
        .size:           4
        .value_kind:     by_value
      - .offset:         64
        .size:           4
        .value_kind:     by_value
      - .offset:         68
        .size:           4
        .value_kind:     by_value
    .group_segment_fixed_size: 0
    .kernarg_segment_align: 8
    .kernarg_segment_size: 72
    .language:       OpenCL C
    .language_version:
      - 2
      - 0
    .max_flat_workgroup_size: 512
    .name:           _ZN4vllm3moe17topkGatingSoftmaxItLi4ELi4ELi8ELi8ELb0ELi2ELNS0_23SharedExpertScoringFuncE1EEEvPKT_PKbPfiPiS9_iiiiii
    .private_segment_fixed_size: 0
    .sgpr_count:     26
    .sgpr_spill_count: 0
    .symbol:         _ZN4vllm3moe17topkGatingSoftmaxItLi4ELi4ELi8ELi8ELb0ELi2ELNS0_23SharedExpertScoringFuncE1EEEvPKT_PKbPfiPiS9_iiiiii.kd
    .uniform_work_group_size: 1
    .uses_dynamic_stack: false
    .vgpr_count:     25
    .vgpr_spill_count: 0
    .wavefront_size: 64
  - .agpr_count:     0
    .args:
      - .address_space:  global
        .offset:         0
        .size:           8
        .value_kind:     global_buffer
      - .address_space:  global
        .offset:         8
        .size:           8
        .value_kind:     global_buffer
      - .address_space:  global
        .offset:         16
        .size:           8
        .value_kind:     global_buffer
      - .offset:         24
        .size:           4
        .value_kind:     by_value
      - .address_space:  global
        .offset:         32
        .size:           8
        .value_kind:     global_buffer
      - .address_space:  global
        .offset:         40
        .size:           8
        .value_kind:     global_buffer
      - .offset:         48
        .size:           4
        .value_kind:     by_value
      - .offset:         52
        .size:           4
        .value_kind:     by_value
      - .offset:         56
        .size:           4
        .value_kind:     by_value
      - .offset:         60
        .size:           4
        .value_kind:     by_value
      - .offset:         64
        .size:           4
        .value_kind:     by_value
      - .offset:         68
        .size:           4
        .value_kind:     by_value
    .group_segment_fixed_size: 0
    .kernarg_segment_align: 8
    .kernarg_segment_size: 72
    .language:       OpenCL C
    .language_version:
      - 2
      - 0
    .max_flat_workgroup_size: 512
    .name:           _ZN4vllm3moe17topkGatingSoftmaxItLi4ELi4ELi8ELi8ELb1ELi4ELNS0_23SharedExpertScoringFuncE1EEEvPKT_PKbPfiPiS9_iiiiii
    .private_segment_fixed_size: 0
    .sgpr_count:     26
    .sgpr_spill_count: 0
    .symbol:         _ZN4vllm3moe17topkGatingSoftmaxItLi4ELi4ELi8ELi8ELb1ELi4ELNS0_23SharedExpertScoringFuncE1EEEvPKT_PKbPfiPiS9_iiiiii.kd
    .uniform_work_group_size: 1
    .uses_dynamic_stack: false
    .vgpr_count:     28
    .vgpr_spill_count: 0
    .wavefront_size: 64
  - .agpr_count:     0
    .args:
      - .address_space:  global
        .offset:         0
        .size:           8
        .value_kind:     global_buffer
      - .address_space:  global
        .offset:         8
        .size:           8
        .value_kind:     global_buffer
      - .address_space:  global
        .offset:         16
        .size:           8
        .value_kind:     global_buffer
      - .offset:         24
        .size:           4
        .value_kind:     by_value
      - .address_space:  global
        .offset:         32
        .size:           8
        .value_kind:     global_buffer
      - .address_space:  global
        .offset:         40
        .size:           8
        .value_kind:     global_buffer
      - .offset:         48
        .size:           4
        .value_kind:     by_value
      - .offset:         52
        .size:           4
        .value_kind:     by_value
      - .offset:         56
        .size:           4
        .value_kind:     by_value
      - .offset:         60
        .size:           4
        .value_kind:     by_value
      - .offset:         64
        .size:           4
        .value_kind:     by_value
      - .offset:         68
        .size:           4
        .value_kind:     by_value
    .group_segment_fixed_size: 0
    .kernarg_segment_align: 8
    .kernarg_segment_size: 72
    .language:       OpenCL C
    .language_version:
      - 2
      - 0
    .max_flat_workgroup_size: 512
    .name:           _ZN4vllm3moe17topkGatingSoftmaxItLi4ELi4ELi8ELi8ELb0ELi4ELNS0_23SharedExpertScoringFuncE1EEEvPKT_PKbPfiPiS9_iiiiii
    .private_segment_fixed_size: 0
    .sgpr_count:     26
    .sgpr_spill_count: 0
    .symbol:         _ZN4vllm3moe17topkGatingSoftmaxItLi4ELi4ELi8ELi8ELb0ELi4ELNS0_23SharedExpertScoringFuncE1EEEvPKT_PKbPfiPiS9_iiiiii.kd
    .uniform_work_group_size: 1
    .uses_dynamic_stack: false
    .vgpr_count:     29
    .vgpr_spill_count: 0
    .wavefront_size: 64
  - .agpr_count:     0
    .args:
      - .address_space:  global
        .offset:         0
        .size:           8
        .value_kind:     global_buffer
      - .address_space:  global
        .offset:         8
        .size:           8
        .value_kind:     global_buffer
      - .address_space:  global
        .offset:         16
        .size:           8
        .value_kind:     global_buffer
      - .offset:         24
        .size:           4
        .value_kind:     by_value
      - .address_space:  global
        .offset:         32
        .size:           8
        .value_kind:     global_buffer
      - .address_space:  global
        .offset:         40
        .size:           8
        .value_kind:     global_buffer
      - .offset:         48
        .size:           4
        .value_kind:     by_value
      - .offset:         52
        .size:           4
        .value_kind:     by_value
      - .offset:         56
        .size:           4
        .value_kind:     by_value
      - .offset:         60
        .size:           4
        .value_kind:     by_value
      - .offset:         64
        .size:           4
        .value_kind:     by_value
      - .offset:         68
        .size:           4
        .value_kind:     by_value
    .group_segment_fixed_size: 0
    .kernarg_segment_align: 8
    .kernarg_segment_size: 72
    .language:       OpenCL C
    .language_version:
      - 2
      - 0
    .max_flat_workgroup_size: 512
    .name:           _ZN4vllm3moe17topkGatingSoftmaxItLi4ELi4ELi8ELi8ELb1ELi8ELNS0_23SharedExpertScoringFuncE1EEEvPKT_PKbPfiPiS9_iiiiii
    .private_segment_fixed_size: 0
    .sgpr_count:     26
    .sgpr_spill_count: 0
    .symbol:         _ZN4vllm3moe17topkGatingSoftmaxItLi4ELi4ELi8ELi8ELb1ELi8ELNS0_23SharedExpertScoringFuncE1EEEvPKT_PKbPfiPiS9_iiiiii.kd
    .uniform_work_group_size: 1
    .uses_dynamic_stack: false
    .vgpr_count:     29
    .vgpr_spill_count: 0
    .wavefront_size: 64
  - .agpr_count:     0
    .args:
      - .address_space:  global
        .offset:         0
        .size:           8
        .value_kind:     global_buffer
      - .address_space:  global
        .offset:         8
        .size:           8
        .value_kind:     global_buffer
      - .address_space:  global
        .offset:         16
        .size:           8
        .value_kind:     global_buffer
      - .offset:         24
        .size:           4
        .value_kind:     by_value
      - .address_space:  global
        .offset:         32
        .size:           8
        .value_kind:     global_buffer
      - .address_space:  global
        .offset:         40
        .size:           8
        .value_kind:     global_buffer
      - .offset:         48
        .size:           4
        .value_kind:     by_value
      - .offset:         52
        .size:           4
        .value_kind:     by_value
      - .offset:         56
        .size:           4
        .value_kind:     by_value
      - .offset:         60
        .size:           4
        .value_kind:     by_value
      - .offset:         64
        .size:           4
        .value_kind:     by_value
      - .offset:         68
        .size:           4
        .value_kind:     by_value
    .group_segment_fixed_size: 0
    .kernarg_segment_align: 8
    .kernarg_segment_size: 72
    .language:       OpenCL C
    .language_version:
      - 2
      - 0
    .max_flat_workgroup_size: 512
    .name:           _ZN4vllm3moe17topkGatingSoftmaxItLi4ELi4ELi8ELi8ELb0ELi8ELNS0_23SharedExpertScoringFuncE1EEEvPKT_PKbPfiPiS9_iiiiii
    .private_segment_fixed_size: 0
    .sgpr_count:     26
    .sgpr_spill_count: 0
    .symbol:         _ZN4vllm3moe17topkGatingSoftmaxItLi4ELi4ELi8ELi8ELb0ELi8ELNS0_23SharedExpertScoringFuncE1EEEvPKT_PKbPfiPiS9_iiiiii.kd
    .uniform_work_group_size: 1
    .uses_dynamic_stack: false
    .vgpr_count:     30
    .vgpr_spill_count: 0
    .wavefront_size: 64
  - .agpr_count:     0
    .args:
      - .address_space:  global
        .offset:         0
        .size:           8
        .value_kind:     global_buffer
      - .address_space:  global
        .offset:         8
        .size:           8
        .value_kind:     global_buffer
      - .address_space:  global
        .offset:         16
        .size:           8
        .value_kind:     global_buffer
      - .offset:         24
        .size:           4
        .value_kind:     by_value
      - .address_space:  global
        .offset:         32
        .size:           8
        .value_kind:     global_buffer
      - .address_space:  global
        .offset:         40
        .size:           8
        .value_kind:     global_buffer
      - .offset:         48
        .size:           4
        .value_kind:     by_value
      - .offset:         52
        .size:           4
        .value_kind:     by_value
      - .offset:         56
        .size:           4
        .value_kind:     by_value
      - .offset:         60
        .size:           4
        .value_kind:     by_value
      - .offset:         64
        .size:           4
        .value_kind:     by_value
      - .offset:         68
        .size:           4
        .value_kind:     by_value
    .group_segment_fixed_size: 0
    .kernarg_segment_align: 8
    .kernarg_segment_size: 72
    .language:       OpenCL C
    .language_version:
      - 2
      - 0
    .max_flat_workgroup_size: 512
    .name:           _ZN4vllm3moe17topkGatingSoftmaxItLi8ELi8ELi8ELi16ELb1ELi0ELNS0_23SharedExpertScoringFuncE0EEEvPKT_PKbPfiPiS9_iiiiii
    .private_segment_fixed_size: 0
    .sgpr_count:     38
    .sgpr_spill_count: 0
    .symbol:         _ZN4vllm3moe17topkGatingSoftmaxItLi8ELi8ELi8ELi16ELb1ELi0ELNS0_23SharedExpertScoringFuncE0EEEvPKT_PKbPfiPiS9_iiiiii.kd
    .uniform_work_group_size: 1
    .uses_dynamic_stack: false
    .vgpr_count:     30
    .vgpr_spill_count: 0
    .wavefront_size: 64
  - .agpr_count:     0
    .args:
      - .address_space:  global
        .offset:         0
        .size:           8
        .value_kind:     global_buffer
      - .address_space:  global
        .offset:         8
        .size:           8
        .value_kind:     global_buffer
      - .address_space:  global
        .offset:         16
        .size:           8
        .value_kind:     global_buffer
      - .offset:         24
        .size:           4
        .value_kind:     by_value
      - .address_space:  global
        .offset:         32
        .size:           8
        .value_kind:     global_buffer
      - .address_space:  global
        .offset:         40
        .size:           8
        .value_kind:     global_buffer
      - .offset:         48
        .size:           4
        .value_kind:     by_value
      - .offset:         52
        .size:           4
        .value_kind:     by_value
      - .offset:         56
        .size:           4
        .value_kind:     by_value
      - .offset:         60
        .size:           4
        .value_kind:     by_value
      - .offset:         64
        .size:           4
        .value_kind:     by_value
      - .offset:         68
        .size:           4
        .value_kind:     by_value
    .group_segment_fixed_size: 0
    .kernarg_segment_align: 8
    .kernarg_segment_size: 72
    .language:       OpenCL C
    .language_version:
      - 2
      - 0
    .max_flat_workgroup_size: 512
    .name:           _ZN4vllm3moe17topkGatingSoftmaxItLi8ELi8ELi8ELi16ELb0ELi0ELNS0_23SharedExpertScoringFuncE0EEEvPKT_PKbPfiPiS9_iiiiii
    .private_segment_fixed_size: 0
    .sgpr_count:     42
    .sgpr_spill_count: 0
    .symbol:         _ZN4vllm3moe17topkGatingSoftmaxItLi8ELi8ELi8ELi16ELb0ELi0ELNS0_23SharedExpertScoringFuncE0EEEvPKT_PKbPfiPiS9_iiiiii.kd
    .uniform_work_group_size: 1
    .uses_dynamic_stack: false
    .vgpr_count:     24
    .vgpr_spill_count: 0
    .wavefront_size: 64
  - .agpr_count:     0
    .args:
      - .address_space:  global
        .offset:         0
        .size:           8
        .value_kind:     global_buffer
      - .address_space:  global
        .offset:         8
        .size:           8
        .value_kind:     global_buffer
      - .address_space:  global
        .offset:         16
        .size:           8
        .value_kind:     global_buffer
      - .offset:         24
        .size:           4
        .value_kind:     by_value
      - .address_space:  global
        .offset:         32
        .size:           8
        .value_kind:     global_buffer
      - .address_space:  global
        .offset:         40
        .size:           8
        .value_kind:     global_buffer
      - .offset:         48
        .size:           4
        .value_kind:     by_value
      - .offset:         52
        .size:           4
        .value_kind:     by_value
      - .offset:         56
        .size:           4
        .value_kind:     by_value
      - .offset:         60
        .size:           4
        .value_kind:     by_value
      - .offset:         64
        .size:           4
        .value_kind:     by_value
      - .offset:         68
        .size:           4
        .value_kind:     by_value
    .group_segment_fixed_size: 0
    .kernarg_segment_align: 8
    .kernarg_segment_size: 72
    .language:       OpenCL C
    .language_version:
      - 2
      - 0
    .max_flat_workgroup_size: 512
    .name:           _ZN4vllm3moe17topkGatingSoftmaxItLi8ELi8ELi8ELi16ELb1ELi1ELNS0_23SharedExpertScoringFuncE1EEEvPKT_PKbPfiPiS9_iiiiii
    .private_segment_fixed_size: 0
    .sgpr_count:     36
    .sgpr_spill_count: 0
    .symbol:         _ZN4vllm3moe17topkGatingSoftmaxItLi8ELi8ELi8ELi16ELb1ELi1ELNS0_23SharedExpertScoringFuncE1EEEvPKT_PKbPfiPiS9_iiiiii.kd
    .uniform_work_group_size: 1
    .uses_dynamic_stack: false
    .vgpr_count:     28
    .vgpr_spill_count: 0
    .wavefront_size: 64
  - .agpr_count:     0
    .args:
      - .address_space:  global
        .offset:         0
        .size:           8
        .value_kind:     global_buffer
      - .address_space:  global
        .offset:         8
        .size:           8
        .value_kind:     global_buffer
      - .address_space:  global
        .offset:         16
        .size:           8
        .value_kind:     global_buffer
      - .offset:         24
        .size:           4
        .value_kind:     by_value
      - .address_space:  global
        .offset:         32
        .size:           8
        .value_kind:     global_buffer
      - .address_space:  global
        .offset:         40
        .size:           8
        .value_kind:     global_buffer
      - .offset:         48
        .size:           4
        .value_kind:     by_value
      - .offset:         52
        .size:           4
        .value_kind:     by_value
      - .offset:         56
        .size:           4
        .value_kind:     by_value
      - .offset:         60
        .size:           4
        .value_kind:     by_value
      - .offset:         64
        .size:           4
        .value_kind:     by_value
      - .offset:         68
        .size:           4
        .value_kind:     by_value
    .group_segment_fixed_size: 0
    .kernarg_segment_align: 8
    .kernarg_segment_size: 72
    .language:       OpenCL C
    .language_version:
      - 2
      - 0
    .max_flat_workgroup_size: 512
    .name:           _ZN4vllm3moe17topkGatingSoftmaxItLi8ELi8ELi8ELi16ELb0ELi1ELNS0_23SharedExpertScoringFuncE1EEEvPKT_PKbPfiPiS9_iiiiii
    .private_segment_fixed_size: 0
    .sgpr_count:     41
    .sgpr_spill_count: 0
    .symbol:         _ZN4vllm3moe17topkGatingSoftmaxItLi8ELi8ELi8ELi16ELb0ELi1ELNS0_23SharedExpertScoringFuncE1EEEvPKT_PKbPfiPiS9_iiiiii.kd
    .uniform_work_group_size: 1
    .uses_dynamic_stack: false
    .vgpr_count:     26
    .vgpr_spill_count: 0
    .wavefront_size: 64
  - .agpr_count:     0
    .args:
      - .address_space:  global
        .offset:         0
        .size:           8
        .value_kind:     global_buffer
      - .address_space:  global
        .offset:         8
        .size:           8
        .value_kind:     global_buffer
      - .address_space:  global
        .offset:         16
        .size:           8
        .value_kind:     global_buffer
      - .offset:         24
        .size:           4
        .value_kind:     by_value
      - .address_space:  global
        .offset:         32
        .size:           8
        .value_kind:     global_buffer
      - .address_space:  global
        .offset:         40
        .size:           8
        .value_kind:     global_buffer
      - .offset:         48
        .size:           4
        .value_kind:     by_value
      - .offset:         52
        .size:           4
        .value_kind:     by_value
      - .offset:         56
        .size:           4
        .value_kind:     by_value
      - .offset:         60
        .size:           4
        .value_kind:     by_value
      - .offset:         64
        .size:           4
        .value_kind:     by_value
      - .offset:         68
        .size:           4
        .value_kind:     by_value
    .group_segment_fixed_size: 0
    .kernarg_segment_align: 8
    .kernarg_segment_size: 72
    .language:       OpenCL C
    .language_version:
      - 2
      - 0
    .max_flat_workgroup_size: 512
    .name:           _ZN4vllm3moe17topkGatingSoftmaxItLi8ELi8ELi8ELi16ELb1ELi2ELNS0_23SharedExpertScoringFuncE1EEEvPKT_PKbPfiPiS9_iiiiii
    .private_segment_fixed_size: 0
    .sgpr_count:     36
    .sgpr_spill_count: 0
    .symbol:         _ZN4vllm3moe17topkGatingSoftmaxItLi8ELi8ELi8ELi16ELb1ELi2ELNS0_23SharedExpertScoringFuncE1EEEvPKT_PKbPfiPiS9_iiiiii.kd
    .uniform_work_group_size: 1
    .uses_dynamic_stack: false
    .vgpr_count:     28
    .vgpr_spill_count: 0
    .wavefront_size: 64
  - .agpr_count:     0
    .args:
      - .address_space:  global
        .offset:         0
        .size:           8
        .value_kind:     global_buffer
      - .address_space:  global
        .offset:         8
        .size:           8
        .value_kind:     global_buffer
      - .address_space:  global
        .offset:         16
        .size:           8
        .value_kind:     global_buffer
      - .offset:         24
        .size:           4
        .value_kind:     by_value
      - .address_space:  global
        .offset:         32
        .size:           8
        .value_kind:     global_buffer
      - .address_space:  global
        .offset:         40
        .size:           8
        .value_kind:     global_buffer
      - .offset:         48
        .size:           4
        .value_kind:     by_value
      - .offset:         52
        .size:           4
        .value_kind:     by_value
      - .offset:         56
        .size:           4
        .value_kind:     by_value
      - .offset:         60
        .size:           4
        .value_kind:     by_value
      - .offset:         64
        .size:           4
        .value_kind:     by_value
      - .offset:         68
        .size:           4
        .value_kind:     by_value
    .group_segment_fixed_size: 0
    .kernarg_segment_align: 8
    .kernarg_segment_size: 72
    .language:       OpenCL C
    .language_version:
      - 2
      - 0
    .max_flat_workgroup_size: 512
    .name:           _ZN4vllm3moe17topkGatingSoftmaxItLi8ELi8ELi8ELi16ELb0ELi2ELNS0_23SharedExpertScoringFuncE1EEEvPKT_PKbPfiPiS9_iiiiii
    .private_segment_fixed_size: 0
    .sgpr_count:     41
    .sgpr_spill_count: 0
    .symbol:         _ZN4vllm3moe17topkGatingSoftmaxItLi8ELi8ELi8ELi16ELb0ELi2ELNS0_23SharedExpertScoringFuncE1EEEvPKT_PKbPfiPiS9_iiiiii.kd
    .uniform_work_group_size: 1
    .uses_dynamic_stack: false
    .vgpr_count:     27
    .vgpr_spill_count: 0
    .wavefront_size: 64
  - .agpr_count:     0
    .args:
      - .address_space:  global
        .offset:         0
        .size:           8
        .value_kind:     global_buffer
      - .address_space:  global
        .offset:         8
        .size:           8
        .value_kind:     global_buffer
      - .address_space:  global
        .offset:         16
        .size:           8
        .value_kind:     global_buffer
      - .offset:         24
        .size:           4
        .value_kind:     by_value
      - .address_space:  global
        .offset:         32
        .size:           8
        .value_kind:     global_buffer
      - .address_space:  global
        .offset:         40
        .size:           8
        .value_kind:     global_buffer
      - .offset:         48
        .size:           4
        .value_kind:     by_value
      - .offset:         52
        .size:           4
        .value_kind:     by_value
      - .offset:         56
        .size:           4
        .value_kind:     by_value
      - .offset:         60
        .size:           4
        .value_kind:     by_value
      - .offset:         64
        .size:           4
        .value_kind:     by_value
      - .offset:         68
        .size:           4
        .value_kind:     by_value
    .group_segment_fixed_size: 0
    .kernarg_segment_align: 8
    .kernarg_segment_size: 72
    .language:       OpenCL C
    .language_version:
      - 2
      - 0
    .max_flat_workgroup_size: 512
    .name:           _ZN4vllm3moe17topkGatingSoftmaxItLi8ELi8ELi8ELi16ELb1ELi4ELNS0_23SharedExpertScoringFuncE1EEEvPKT_PKbPfiPiS9_iiiiii
    .private_segment_fixed_size: 0
    .sgpr_count:     36
    .sgpr_spill_count: 0
    .symbol:         _ZN4vllm3moe17topkGatingSoftmaxItLi8ELi8ELi8ELi16ELb1ELi4ELNS0_23SharedExpertScoringFuncE1EEEvPKT_PKbPfiPiS9_iiiiii.kd
    .uniform_work_group_size: 1
    .uses_dynamic_stack: false
    .vgpr_count:     29
    .vgpr_spill_count: 0
    .wavefront_size: 64
  - .agpr_count:     0
    .args:
      - .address_space:  global
        .offset:         0
        .size:           8
        .value_kind:     global_buffer
      - .address_space:  global
        .offset:         8
        .size:           8
        .value_kind:     global_buffer
      - .address_space:  global
        .offset:         16
        .size:           8
        .value_kind:     global_buffer
      - .offset:         24
        .size:           4
        .value_kind:     by_value
      - .address_space:  global
        .offset:         32
        .size:           8
        .value_kind:     global_buffer
      - .address_space:  global
        .offset:         40
        .size:           8
        .value_kind:     global_buffer
      - .offset:         48
        .size:           4
        .value_kind:     by_value
      - .offset:         52
        .size:           4
        .value_kind:     by_value
      - .offset:         56
        .size:           4
        .value_kind:     by_value
      - .offset:         60
        .size:           4
        .value_kind:     by_value
      - .offset:         64
        .size:           4
        .value_kind:     by_value
      - .offset:         68
        .size:           4
        .value_kind:     by_value
    .group_segment_fixed_size: 0
    .kernarg_segment_align: 8
    .kernarg_segment_size: 72
    .language:       OpenCL C
    .language_version:
      - 2
      - 0
    .max_flat_workgroup_size: 512
    .name:           _ZN4vllm3moe17topkGatingSoftmaxItLi8ELi8ELi8ELi16ELb0ELi4ELNS0_23SharedExpertScoringFuncE1EEEvPKT_PKbPfiPiS9_iiiiii
    .private_segment_fixed_size: 0
    .sgpr_count:     41
    .sgpr_spill_count: 0
    .symbol:         _ZN4vllm3moe17topkGatingSoftmaxItLi8ELi8ELi8ELi16ELb0ELi4ELNS0_23SharedExpertScoringFuncE1EEEvPKT_PKbPfiPiS9_iiiiii.kd
    .uniform_work_group_size: 1
    .uses_dynamic_stack: false
    .vgpr_count:     30
    .vgpr_spill_count: 0
    .wavefront_size: 64
  - .agpr_count:     0
    .args:
      - .address_space:  global
        .offset:         0
        .size:           8
        .value_kind:     global_buffer
      - .address_space:  global
        .offset:         8
        .size:           8
        .value_kind:     global_buffer
      - .address_space:  global
        .offset:         16
        .size:           8
        .value_kind:     global_buffer
      - .offset:         24
        .size:           4
        .value_kind:     by_value
      - .address_space:  global
        .offset:         32
        .size:           8
        .value_kind:     global_buffer
      - .address_space:  global
        .offset:         40
        .size:           8
        .value_kind:     global_buffer
      - .offset:         48
        .size:           4
        .value_kind:     by_value
      - .offset:         52
        .size:           4
        .value_kind:     by_value
      - .offset:         56
        .size:           4
        .value_kind:     by_value
      - .offset:         60
        .size:           4
        .value_kind:     by_value
      - .offset:         64
        .size:           4
        .value_kind:     by_value
      - .offset:         68
        .size:           4
        .value_kind:     by_value
    .group_segment_fixed_size: 0
    .kernarg_segment_align: 8
    .kernarg_segment_size: 72
    .language:       OpenCL C
    .language_version:
      - 2
      - 0
    .max_flat_workgroup_size: 512
    .name:           _ZN4vllm3moe17topkGatingSoftmaxItLi8ELi8ELi8ELi16ELb1ELi8ELNS0_23SharedExpertScoringFuncE1EEEvPKT_PKbPfiPiS9_iiiiii
    .private_segment_fixed_size: 0
    .sgpr_count:     36
    .sgpr_spill_count: 0
    .symbol:         _ZN4vllm3moe17topkGatingSoftmaxItLi8ELi8ELi8ELi16ELb1ELi8ELNS0_23SharedExpertScoringFuncE1EEEvPKT_PKbPfiPiS9_iiiiii.kd
    .uniform_work_group_size: 1
    .uses_dynamic_stack: false
    .vgpr_count:     31
    .vgpr_spill_count: 0
    .wavefront_size: 64
  - .agpr_count:     0
    .args:
      - .address_space:  global
        .offset:         0
        .size:           8
        .value_kind:     global_buffer
      - .address_space:  global
        .offset:         8
        .size:           8
        .value_kind:     global_buffer
      - .address_space:  global
        .offset:         16
        .size:           8
        .value_kind:     global_buffer
      - .offset:         24
        .size:           4
        .value_kind:     by_value
      - .address_space:  global
        .offset:         32
        .size:           8
        .value_kind:     global_buffer
      - .address_space:  global
        .offset:         40
        .size:           8
        .value_kind:     global_buffer
      - .offset:         48
        .size:           4
        .value_kind:     by_value
      - .offset:         52
        .size:           4
        .value_kind:     by_value
      - .offset:         56
        .size:           4
        .value_kind:     by_value
      - .offset:         60
        .size:           4
        .value_kind:     by_value
      - .offset:         64
        .size:           4
        .value_kind:     by_value
      - .offset:         68
        .size:           4
        .value_kind:     by_value
    .group_segment_fixed_size: 0
    .kernarg_segment_align: 8
    .kernarg_segment_size: 72
    .language:       OpenCL C
    .language_version:
      - 2
      - 0
    .max_flat_workgroup_size: 512
    .name:           _ZN4vllm3moe17topkGatingSoftmaxItLi8ELi8ELi8ELi16ELb0ELi8ELNS0_23SharedExpertScoringFuncE1EEEvPKT_PKbPfiPiS9_iiiiii
    .private_segment_fixed_size: 0
    .sgpr_count:     41
    .sgpr_spill_count: 0
    .symbol:         _ZN4vllm3moe17topkGatingSoftmaxItLi8ELi8ELi8ELi16ELb0ELi8ELNS0_23SharedExpertScoringFuncE1EEEvPKT_PKbPfiPiS9_iiiiii.kd
    .uniform_work_group_size: 1
    .uses_dynamic_stack: false
    .vgpr_count:     32
    .vgpr_spill_count: 0
    .wavefront_size: 64
  - .agpr_count:     0
    .args:
      - .address_space:  global
        .offset:         0
        .size:           8
        .value_kind:     global_buffer
      - .address_space:  global
        .offset:         8
        .size:           8
        .value_kind:     global_buffer
      - .address_space:  global
        .offset:         16
        .size:           8
        .value_kind:     global_buffer
      - .offset:         24
        .size:           4
        .value_kind:     by_value
      - .address_space:  global
        .offset:         32
        .size:           8
        .value_kind:     global_buffer
      - .address_space:  global
        .offset:         40
        .size:           8
        .value_kind:     global_buffer
      - .offset:         48
        .size:           4
        .value_kind:     by_value
      - .offset:         52
        .size:           4
        .value_kind:     by_value
      - .offset:         56
        .size:           4
        .value_kind:     by_value
      - .offset:         60
        .size:           4
        .value_kind:     by_value
      - .offset:         64
        .size:           4
        .value_kind:     by_value
      - .offset:         68
        .size:           4
        .value_kind:     by_value
    .group_segment_fixed_size: 0
    .kernarg_segment_align: 8
    .kernarg_segment_size: 72
    .language:       OpenCL C
    .language_version:
      - 2
      - 0
    .max_flat_workgroup_size: 512
    .name:           _ZN4vllm3moe17topkGatingSoftmaxItLi16ELi16ELi8ELi32ELb1ELi0ELNS0_23SharedExpertScoringFuncE0EEEvPKT_PKbPfiPiS9_iiiiii
    .private_segment_fixed_size: 0
    .sgpr_count:     54
    .sgpr_spill_count: 0
    .symbol:         _ZN4vllm3moe17topkGatingSoftmaxItLi16ELi16ELi8ELi32ELb1ELi0ELNS0_23SharedExpertScoringFuncE0EEEvPKT_PKbPfiPiS9_iiiiii.kd
    .uniform_work_group_size: 1
    .uses_dynamic_stack: false
    .vgpr_count:     38
    .vgpr_spill_count: 0
    .wavefront_size: 64
  - .agpr_count:     0
    .args:
      - .address_space:  global
        .offset:         0
        .size:           8
        .value_kind:     global_buffer
      - .address_space:  global
        .offset:         8
        .size:           8
        .value_kind:     global_buffer
      - .address_space:  global
        .offset:         16
        .size:           8
        .value_kind:     global_buffer
      - .offset:         24
        .size:           4
        .value_kind:     by_value
      - .address_space:  global
        .offset:         32
        .size:           8
        .value_kind:     global_buffer
      - .address_space:  global
        .offset:         40
        .size:           8
        .value_kind:     global_buffer
      - .offset:         48
        .size:           4
        .value_kind:     by_value
      - .offset:         52
        .size:           4
        .value_kind:     by_value
      - .offset:         56
        .size:           4
        .value_kind:     by_value
      - .offset:         60
        .size:           4
        .value_kind:     by_value
      - .offset:         64
        .size:           4
        .value_kind:     by_value
      - .offset:         68
        .size:           4
        .value_kind:     by_value
    .group_segment_fixed_size: 0
    .kernarg_segment_align: 8
    .kernarg_segment_size: 72
    .language:       OpenCL C
    .language_version:
      - 2
      - 0
    .max_flat_workgroup_size: 512
    .name:           _ZN4vllm3moe17topkGatingSoftmaxItLi16ELi16ELi8ELi32ELb0ELi0ELNS0_23SharedExpertScoringFuncE0EEEvPKT_PKbPfiPiS9_iiiiii
    .private_segment_fixed_size: 0
    .sgpr_count:     58
    .sgpr_spill_count: 0
    .symbol:         _ZN4vllm3moe17topkGatingSoftmaxItLi16ELi16ELi8ELi32ELb0ELi0ELNS0_23SharedExpertScoringFuncE0EEEvPKT_PKbPfiPiS9_iiiiii.kd
    .uniform_work_group_size: 1
    .uses_dynamic_stack: false
    .vgpr_count:     32
    .vgpr_spill_count: 0
    .wavefront_size: 64
  - .agpr_count:     0
    .args:
      - .address_space:  global
        .offset:         0
        .size:           8
        .value_kind:     global_buffer
      - .address_space:  global
        .offset:         8
        .size:           8
        .value_kind:     global_buffer
      - .address_space:  global
        .offset:         16
        .size:           8
        .value_kind:     global_buffer
      - .offset:         24
        .size:           4
        .value_kind:     by_value
      - .address_space:  global
        .offset:         32
        .size:           8
        .value_kind:     global_buffer
      - .address_space:  global
        .offset:         40
        .size:           8
        .value_kind:     global_buffer
      - .offset:         48
        .size:           4
        .value_kind:     by_value
      - .offset:         52
        .size:           4
        .value_kind:     by_value
      - .offset:         56
        .size:           4
        .value_kind:     by_value
      - .offset:         60
        .size:           4
        .value_kind:     by_value
      - .offset:         64
        .size:           4
        .value_kind:     by_value
      - .offset:         68
        .size:           4
        .value_kind:     by_value
    .group_segment_fixed_size: 0
    .kernarg_segment_align: 8
    .kernarg_segment_size: 72
    .language:       OpenCL C
    .language_version:
      - 2
      - 0
    .max_flat_workgroup_size: 512
    .name:           _ZN4vllm3moe17topkGatingSoftmaxItLi16ELi16ELi8ELi32ELb1ELi1ELNS0_23SharedExpertScoringFuncE1EEEvPKT_PKbPfiPiS9_iiiiii
    .private_segment_fixed_size: 0
    .sgpr_count:     53
    .sgpr_spill_count: 0
    .symbol:         _ZN4vllm3moe17topkGatingSoftmaxItLi16ELi16ELi8ELi32ELb1ELi1ELNS0_23SharedExpertScoringFuncE1EEEvPKT_PKbPfiPiS9_iiiiii.kd
    .uniform_work_group_size: 1
    .uses_dynamic_stack: false
    .vgpr_count:     41
    .vgpr_spill_count: 0
    .wavefront_size: 64
  - .agpr_count:     0
    .args:
      - .address_space:  global
        .offset:         0
        .size:           8
        .value_kind:     global_buffer
      - .address_space:  global
        .offset:         8
        .size:           8
        .value_kind:     global_buffer
      - .address_space:  global
        .offset:         16
        .size:           8
        .value_kind:     global_buffer
      - .offset:         24
        .size:           4
        .value_kind:     by_value
      - .address_space:  global
        .offset:         32
        .size:           8
        .value_kind:     global_buffer
      - .address_space:  global
        .offset:         40
        .size:           8
        .value_kind:     global_buffer
      - .offset:         48
        .size:           4
        .value_kind:     by_value
      - .offset:         52
        .size:           4
        .value_kind:     by_value
      - .offset:         56
        .size:           4
        .value_kind:     by_value
      - .offset:         60
        .size:           4
        .value_kind:     by_value
      - .offset:         64
        .size:           4
        .value_kind:     by_value
      - .offset:         68
        .size:           4
        .value_kind:     by_value
    .group_segment_fixed_size: 0
    .kernarg_segment_align: 8
    .kernarg_segment_size: 72
    .language:       OpenCL C
    .language_version:
      - 2
      - 0
    .max_flat_workgroup_size: 512
    .name:           _ZN4vllm3moe17topkGatingSoftmaxItLi16ELi16ELi8ELi32ELb0ELi1ELNS0_23SharedExpertScoringFuncE1EEEvPKT_PKbPfiPiS9_iiiiii
    .private_segment_fixed_size: 0
    .sgpr_count:     57
    .sgpr_spill_count: 0
    .symbol:         _ZN4vllm3moe17topkGatingSoftmaxItLi16ELi16ELi8ELi32ELb0ELi1ELNS0_23SharedExpertScoringFuncE1EEEvPKT_PKbPfiPiS9_iiiiii.kd
    .uniform_work_group_size: 1
    .uses_dynamic_stack: false
    .vgpr_count:     34
    .vgpr_spill_count: 0
    .wavefront_size: 64
  - .agpr_count:     0
    .args:
      - .address_space:  global
        .offset:         0
        .size:           8
        .value_kind:     global_buffer
      - .address_space:  global
        .offset:         8
        .size:           8
        .value_kind:     global_buffer
      - .address_space:  global
        .offset:         16
        .size:           8
        .value_kind:     global_buffer
      - .offset:         24
        .size:           4
        .value_kind:     by_value
      - .address_space:  global
        .offset:         32
        .size:           8
        .value_kind:     global_buffer
      - .address_space:  global
        .offset:         40
        .size:           8
        .value_kind:     global_buffer
      - .offset:         48
        .size:           4
        .value_kind:     by_value
      - .offset:         52
        .size:           4
        .value_kind:     by_value
      - .offset:         56
        .size:           4
        .value_kind:     by_value
      - .offset:         60
        .size:           4
        .value_kind:     by_value
      - .offset:         64
        .size:           4
        .value_kind:     by_value
      - .offset:         68
        .size:           4
        .value_kind:     by_value
    .group_segment_fixed_size: 0
    .kernarg_segment_align: 8
    .kernarg_segment_size: 72
    .language:       OpenCL C
    .language_version:
      - 2
      - 0
    .max_flat_workgroup_size: 512
    .name:           _ZN4vllm3moe17topkGatingSoftmaxItLi16ELi16ELi8ELi32ELb1ELi2ELNS0_23SharedExpertScoringFuncE1EEEvPKT_PKbPfiPiS9_iiiiii
    .private_segment_fixed_size: 0
    .sgpr_count:     53
    .sgpr_spill_count: 0
    .symbol:         _ZN4vllm3moe17topkGatingSoftmaxItLi16ELi16ELi8ELi32ELb1ELi2ELNS0_23SharedExpertScoringFuncE1EEEvPKT_PKbPfiPiS9_iiiiii.kd
    .uniform_work_group_size: 1
    .uses_dynamic_stack: false
    .vgpr_count:     41
    .vgpr_spill_count: 0
    .wavefront_size: 64
  - .agpr_count:     0
    .args:
      - .address_space:  global
        .offset:         0
        .size:           8
        .value_kind:     global_buffer
      - .address_space:  global
        .offset:         8
        .size:           8
        .value_kind:     global_buffer
      - .address_space:  global
        .offset:         16
        .size:           8
        .value_kind:     global_buffer
      - .offset:         24
        .size:           4
        .value_kind:     by_value
      - .address_space:  global
        .offset:         32
        .size:           8
        .value_kind:     global_buffer
      - .address_space:  global
        .offset:         40
        .size:           8
        .value_kind:     global_buffer
      - .offset:         48
        .size:           4
        .value_kind:     by_value
      - .offset:         52
        .size:           4
        .value_kind:     by_value
      - .offset:         56
        .size:           4
        .value_kind:     by_value
      - .offset:         60
        .size:           4
        .value_kind:     by_value
      - .offset:         64
        .size:           4
        .value_kind:     by_value
      - .offset:         68
        .size:           4
        .value_kind:     by_value
    .group_segment_fixed_size: 0
    .kernarg_segment_align: 8
    .kernarg_segment_size: 72
    .language:       OpenCL C
    .language_version:
      - 2
      - 0
    .max_flat_workgroup_size: 512
    .name:           _ZN4vllm3moe17topkGatingSoftmaxItLi16ELi16ELi8ELi32ELb0ELi2ELNS0_23SharedExpertScoringFuncE1EEEvPKT_PKbPfiPiS9_iiiiii
    .private_segment_fixed_size: 0
    .sgpr_count:     57
    .sgpr_spill_count: 0
    .symbol:         _ZN4vllm3moe17topkGatingSoftmaxItLi16ELi16ELi8ELi32ELb0ELi2ELNS0_23SharedExpertScoringFuncE1EEEvPKT_PKbPfiPiS9_iiiiii.kd
    .uniform_work_group_size: 1
    .uses_dynamic_stack: false
    .vgpr_count:     34
    .vgpr_spill_count: 0
    .wavefront_size: 64
  - .agpr_count:     0
    .args:
      - .address_space:  global
        .offset:         0
        .size:           8
        .value_kind:     global_buffer
      - .address_space:  global
        .offset:         8
        .size:           8
        .value_kind:     global_buffer
      - .address_space:  global
        .offset:         16
        .size:           8
        .value_kind:     global_buffer
      - .offset:         24
        .size:           4
        .value_kind:     by_value
      - .address_space:  global
        .offset:         32
        .size:           8
        .value_kind:     global_buffer
      - .address_space:  global
        .offset:         40
        .size:           8
        .value_kind:     global_buffer
      - .offset:         48
        .size:           4
        .value_kind:     by_value
      - .offset:         52
        .size:           4
        .value_kind:     by_value
      - .offset:         56
        .size:           4
        .value_kind:     by_value
      - .offset:         60
        .size:           4
        .value_kind:     by_value
      - .offset:         64
        .size:           4
        .value_kind:     by_value
      - .offset:         68
        .size:           4
        .value_kind:     by_value
    .group_segment_fixed_size: 0
    .kernarg_segment_align: 8
    .kernarg_segment_size: 72
    .language:       OpenCL C
    .language_version:
      - 2
      - 0
    .max_flat_workgroup_size: 512
    .name:           _ZN4vllm3moe17topkGatingSoftmaxItLi16ELi16ELi8ELi32ELb1ELi4ELNS0_23SharedExpertScoringFuncE1EEEvPKT_PKbPfiPiS9_iiiiii
    .private_segment_fixed_size: 0
    .sgpr_count:     53
    .sgpr_spill_count: 0
    .symbol:         _ZN4vllm3moe17topkGatingSoftmaxItLi16ELi16ELi8ELi32ELb1ELi4ELNS0_23SharedExpertScoringFuncE1EEEvPKT_PKbPfiPiS9_iiiiii.kd
    .uniform_work_group_size: 1
    .uses_dynamic_stack: false
    .vgpr_count:     41
    .vgpr_spill_count: 0
    .wavefront_size: 64
  - .agpr_count:     0
    .args:
      - .address_space:  global
        .offset:         0
        .size:           8
        .value_kind:     global_buffer
      - .address_space:  global
        .offset:         8
        .size:           8
        .value_kind:     global_buffer
      - .address_space:  global
        .offset:         16
        .size:           8
        .value_kind:     global_buffer
      - .offset:         24
        .size:           4
        .value_kind:     by_value
      - .address_space:  global
        .offset:         32
        .size:           8
        .value_kind:     global_buffer
      - .address_space:  global
        .offset:         40
        .size:           8
        .value_kind:     global_buffer
      - .offset:         48
        .size:           4
        .value_kind:     by_value
      - .offset:         52
        .size:           4
        .value_kind:     by_value
      - .offset:         56
        .size:           4
        .value_kind:     by_value
      - .offset:         60
        .size:           4
        .value_kind:     by_value
      - .offset:         64
        .size:           4
        .value_kind:     by_value
      - .offset:         68
        .size:           4
        .value_kind:     by_value
    .group_segment_fixed_size: 0
    .kernarg_segment_align: 8
    .kernarg_segment_size: 72
    .language:       OpenCL C
    .language_version:
      - 2
      - 0
    .max_flat_workgroup_size: 512
    .name:           _ZN4vllm3moe17topkGatingSoftmaxItLi16ELi16ELi8ELi32ELb0ELi4ELNS0_23SharedExpertScoringFuncE1EEEvPKT_PKbPfiPiS9_iiiiii
    .private_segment_fixed_size: 0
    .sgpr_count:     57
    .sgpr_spill_count: 0
    .symbol:         _ZN4vllm3moe17topkGatingSoftmaxItLi16ELi16ELi8ELi32ELb0ELi4ELNS0_23SharedExpertScoringFuncE1EEEvPKT_PKbPfiPiS9_iiiiii.kd
    .uniform_work_group_size: 1
    .uses_dynamic_stack: false
    .vgpr_count:     34
    .vgpr_spill_count: 0
    .wavefront_size: 64
  - .agpr_count:     0
    .args:
      - .address_space:  global
        .offset:         0
        .size:           8
        .value_kind:     global_buffer
      - .address_space:  global
        .offset:         8
        .size:           8
        .value_kind:     global_buffer
      - .address_space:  global
        .offset:         16
        .size:           8
        .value_kind:     global_buffer
      - .offset:         24
        .size:           4
        .value_kind:     by_value
      - .address_space:  global
        .offset:         32
        .size:           8
        .value_kind:     global_buffer
      - .address_space:  global
        .offset:         40
        .size:           8
        .value_kind:     global_buffer
      - .offset:         48
        .size:           4
        .value_kind:     by_value
      - .offset:         52
        .size:           4
        .value_kind:     by_value
      - .offset:         56
        .size:           4
        .value_kind:     by_value
      - .offset:         60
        .size:           4
        .value_kind:     by_value
      - .offset:         64
        .size:           4
        .value_kind:     by_value
      - .offset:         68
        .size:           4
        .value_kind:     by_value
    .group_segment_fixed_size: 0
    .kernarg_segment_align: 8
    .kernarg_segment_size: 72
    .language:       OpenCL C
    .language_version:
      - 2
      - 0
    .max_flat_workgroup_size: 512
    .name:           _ZN4vllm3moe17topkGatingSoftmaxItLi16ELi16ELi8ELi32ELb1ELi8ELNS0_23SharedExpertScoringFuncE1EEEvPKT_PKbPfiPiS9_iiiiii
    .private_segment_fixed_size: 0
    .sgpr_count:     53
    .sgpr_spill_count: 0
    .symbol:         _ZN4vllm3moe17topkGatingSoftmaxItLi16ELi16ELi8ELi32ELb1ELi8ELNS0_23SharedExpertScoringFuncE1EEEvPKT_PKbPfiPiS9_iiiiii.kd
    .uniform_work_group_size: 1
    .uses_dynamic_stack: false
    .vgpr_count:     37
    .vgpr_spill_count: 0
    .wavefront_size: 64
  - .agpr_count:     0
    .args:
      - .address_space:  global
        .offset:         0
        .size:           8
        .value_kind:     global_buffer
      - .address_space:  global
        .offset:         8
        .size:           8
        .value_kind:     global_buffer
      - .address_space:  global
        .offset:         16
        .size:           8
        .value_kind:     global_buffer
      - .offset:         24
        .size:           4
        .value_kind:     by_value
      - .address_space:  global
        .offset:         32
        .size:           8
        .value_kind:     global_buffer
      - .address_space:  global
        .offset:         40
        .size:           8
        .value_kind:     global_buffer
      - .offset:         48
        .size:           4
        .value_kind:     by_value
      - .offset:         52
        .size:           4
        .value_kind:     by_value
      - .offset:         56
        .size:           4
        .value_kind:     by_value
      - .offset:         60
        .size:           4
        .value_kind:     by_value
      - .offset:         64
        .size:           4
        .value_kind:     by_value
      - .offset:         68
        .size:           4
        .value_kind:     by_value
    .group_segment_fixed_size: 0
    .kernarg_segment_align: 8
    .kernarg_segment_size: 72
    .language:       OpenCL C
    .language_version:
      - 2
      - 0
    .max_flat_workgroup_size: 512
    .name:           _ZN4vllm3moe17topkGatingSoftmaxItLi16ELi16ELi8ELi32ELb0ELi8ELNS0_23SharedExpertScoringFuncE1EEEvPKT_PKbPfiPiS9_iiiiii
    .private_segment_fixed_size: 0
    .sgpr_count:     57
    .sgpr_spill_count: 0
    .symbol:         _ZN4vllm3moe17topkGatingSoftmaxItLi16ELi16ELi8ELi32ELb0ELi8ELNS0_23SharedExpertScoringFuncE1EEEvPKT_PKbPfiPiS9_iiiiii.kd
    .uniform_work_group_size: 1
    .uses_dynamic_stack: false
    .vgpr_count:     34
    .vgpr_spill_count: 0
    .wavefront_size: 64
  - .agpr_count:     0
    .args:
      - .address_space:  global
        .offset:         0
        .size:           8
        .value_kind:     global_buffer
      - .address_space:  global
        .offset:         8
        .size:           8
        .value_kind:     global_buffer
      - .address_space:  global
        .offset:         16
        .size:           8
        .value_kind:     global_buffer
      - .offset:         24
        .size:           4
        .value_kind:     by_value
      - .address_space:  global
        .offset:         32
        .size:           8
        .value_kind:     global_buffer
      - .address_space:  global
        .offset:         40
        .size:           8
        .value_kind:     global_buffer
      - .offset:         48
        .size:           4
        .value_kind:     by_value
      - .offset:         52
        .size:           4
        .value_kind:     by_value
      - .offset:         56
        .size:           4
        .value_kind:     by_value
      - .offset:         60
        .size:           4
        .value_kind:     by_value
      - .offset:         64
        .size:           4
        .value_kind:     by_value
      - .offset:         68
        .size:           4
        .value_kind:     by_value
    .group_segment_fixed_size: 0
    .kernarg_segment_align: 8
    .kernarg_segment_size: 72
    .language:       OpenCL C
    .language_version:
      - 2
      - 0
    .max_flat_workgroup_size: 512
    .name:           _ZN4vllm3moe17topkGatingSoftmaxItLi16ELi32ELi8ELi32ELb1ELi0ELNS0_23SharedExpertScoringFuncE0EEEvPKT_PKbPfiPiS9_iiiiii
    .private_segment_fixed_size: 0
    .sgpr_count:     58
    .sgpr_spill_count: 0
    .symbol:         _ZN4vllm3moe17topkGatingSoftmaxItLi16ELi32ELi8ELi32ELb1ELi0ELNS0_23SharedExpertScoringFuncE0EEEvPKT_PKbPfiPiS9_iiiiii.kd
    .uniform_work_group_size: 1
    .uses_dynamic_stack: false
    .vgpr_count:     49
    .vgpr_spill_count: 0
    .wavefront_size: 64
  - .agpr_count:     0
    .args:
      - .address_space:  global
        .offset:         0
        .size:           8
        .value_kind:     global_buffer
      - .address_space:  global
        .offset:         8
        .size:           8
        .value_kind:     global_buffer
      - .address_space:  global
        .offset:         16
        .size:           8
        .value_kind:     global_buffer
      - .offset:         24
        .size:           4
        .value_kind:     by_value
      - .address_space:  global
        .offset:         32
        .size:           8
        .value_kind:     global_buffer
      - .address_space:  global
        .offset:         40
        .size:           8
        .value_kind:     global_buffer
      - .offset:         48
        .size:           4
        .value_kind:     by_value
      - .offset:         52
        .size:           4
        .value_kind:     by_value
      - .offset:         56
        .size:           4
        .value_kind:     by_value
      - .offset:         60
        .size:           4
        .value_kind:     by_value
      - .offset:         64
        .size:           4
        .value_kind:     by_value
      - .offset:         68
        .size:           4
        .value_kind:     by_value
    .group_segment_fixed_size: 0
    .kernarg_segment_align: 8
    .kernarg_segment_size: 72
    .language:       OpenCL C
    .language_version:
      - 2
      - 0
    .max_flat_workgroup_size: 512
    .name:           _ZN4vllm3moe17topkGatingSoftmaxItLi16ELi32ELi8ELi32ELb0ELi0ELNS0_23SharedExpertScoringFuncE0EEEvPKT_PKbPfiPiS9_iiiiii
    .private_segment_fixed_size: 0
    .sgpr_count:     58
    .sgpr_spill_count: 0
    .symbol:         _ZN4vllm3moe17topkGatingSoftmaxItLi16ELi32ELi8ELi32ELb0ELi0ELNS0_23SharedExpertScoringFuncE0EEEvPKT_PKbPfiPiS9_iiiiii.kd
    .uniform_work_group_size: 1
    .uses_dynamic_stack: false
    .vgpr_count:     49
    .vgpr_spill_count: 0
    .wavefront_size: 64
  - .agpr_count:     0
    .args:
      - .address_space:  global
        .offset:         0
        .size:           8
        .value_kind:     global_buffer
      - .address_space:  global
        .offset:         8
        .size:           8
        .value_kind:     global_buffer
      - .address_space:  global
        .offset:         16
        .size:           8
        .value_kind:     global_buffer
      - .offset:         24
        .size:           4
        .value_kind:     by_value
      - .address_space:  global
        .offset:         32
        .size:           8
        .value_kind:     global_buffer
      - .address_space:  global
        .offset:         40
        .size:           8
        .value_kind:     global_buffer
      - .offset:         48
        .size:           4
        .value_kind:     by_value
      - .offset:         52
        .size:           4
        .value_kind:     by_value
      - .offset:         56
        .size:           4
        .value_kind:     by_value
      - .offset:         60
        .size:           4
        .value_kind:     by_value
      - .offset:         64
        .size:           4
        .value_kind:     by_value
      - .offset:         68
        .size:           4
        .value_kind:     by_value
    .group_segment_fixed_size: 0
    .kernarg_segment_align: 8
    .kernarg_segment_size: 72
    .language:       OpenCL C
    .language_version:
      - 2
      - 0
    .max_flat_workgroup_size: 512
    .name:           _ZN4vllm3moe17topkGatingSoftmaxItLi16ELi32ELi8ELi32ELb1ELi1ELNS0_23SharedExpertScoringFuncE1EEEvPKT_PKbPfiPiS9_iiiiii
    .private_segment_fixed_size: 0
    .sgpr_count:     58
    .sgpr_spill_count: 0
    .symbol:         _ZN4vllm3moe17topkGatingSoftmaxItLi16ELi32ELi8ELi32ELb1ELi1ELNS0_23SharedExpertScoringFuncE1EEEvPKT_PKbPfiPiS9_iiiiii.kd
    .uniform_work_group_size: 1
    .uses_dynamic_stack: false
    .vgpr_count:     49
    .vgpr_spill_count: 0
    .wavefront_size: 64
  - .agpr_count:     0
    .args:
      - .address_space:  global
        .offset:         0
        .size:           8
        .value_kind:     global_buffer
      - .address_space:  global
        .offset:         8
        .size:           8
        .value_kind:     global_buffer
      - .address_space:  global
        .offset:         16
        .size:           8
        .value_kind:     global_buffer
      - .offset:         24
        .size:           4
        .value_kind:     by_value
      - .address_space:  global
        .offset:         32
        .size:           8
        .value_kind:     global_buffer
      - .address_space:  global
        .offset:         40
        .size:           8
        .value_kind:     global_buffer
      - .offset:         48
        .size:           4
        .value_kind:     by_value
      - .offset:         52
        .size:           4
        .value_kind:     by_value
      - .offset:         56
        .size:           4
        .value_kind:     by_value
      - .offset:         60
        .size:           4
        .value_kind:     by_value
      - .offset:         64
        .size:           4
        .value_kind:     by_value
      - .offset:         68
        .size:           4
        .value_kind:     by_value
    .group_segment_fixed_size: 0
    .kernarg_segment_align: 8
    .kernarg_segment_size: 72
    .language:       OpenCL C
    .language_version:
      - 2
      - 0
    .max_flat_workgroup_size: 512
    .name:           _ZN4vllm3moe17topkGatingSoftmaxItLi16ELi32ELi8ELi32ELb0ELi1ELNS0_23SharedExpertScoringFuncE1EEEvPKT_PKbPfiPiS9_iiiiii
    .private_segment_fixed_size: 0
    .sgpr_count:     58
    .sgpr_spill_count: 0
    .symbol:         _ZN4vllm3moe17topkGatingSoftmaxItLi16ELi32ELi8ELi32ELb0ELi1ELNS0_23SharedExpertScoringFuncE1EEEvPKT_PKbPfiPiS9_iiiiii.kd
    .uniform_work_group_size: 1
    .uses_dynamic_stack: false
    .vgpr_count:     49
    .vgpr_spill_count: 0
    .wavefront_size: 64
  - .agpr_count:     0
    .args:
      - .address_space:  global
        .offset:         0
        .size:           8
        .value_kind:     global_buffer
      - .address_space:  global
        .offset:         8
        .size:           8
        .value_kind:     global_buffer
      - .address_space:  global
        .offset:         16
        .size:           8
        .value_kind:     global_buffer
      - .offset:         24
        .size:           4
        .value_kind:     by_value
      - .address_space:  global
        .offset:         32
        .size:           8
        .value_kind:     global_buffer
      - .address_space:  global
        .offset:         40
        .size:           8
        .value_kind:     global_buffer
      - .offset:         48
        .size:           4
        .value_kind:     by_value
      - .offset:         52
        .size:           4
        .value_kind:     by_value
      - .offset:         56
        .size:           4
        .value_kind:     by_value
      - .offset:         60
        .size:           4
        .value_kind:     by_value
      - .offset:         64
        .size:           4
        .value_kind:     by_value
      - .offset:         68
        .size:           4
        .value_kind:     by_value
    .group_segment_fixed_size: 0
    .kernarg_segment_align: 8
    .kernarg_segment_size: 72
    .language:       OpenCL C
    .language_version:
      - 2
      - 0
    .max_flat_workgroup_size: 512
    .name:           _ZN4vllm3moe17topkGatingSoftmaxItLi16ELi32ELi8ELi32ELb1ELi2ELNS0_23SharedExpertScoringFuncE1EEEvPKT_PKbPfiPiS9_iiiiii
    .private_segment_fixed_size: 0
    .sgpr_count:     57
    .sgpr_spill_count: 0
    .symbol:         _ZN4vllm3moe17topkGatingSoftmaxItLi16ELi32ELi8ELi32ELb1ELi2ELNS0_23SharedExpertScoringFuncE1EEEvPKT_PKbPfiPiS9_iiiiii.kd
    .uniform_work_group_size: 1
    .uses_dynamic_stack: false
    .vgpr_count:     49
    .vgpr_spill_count: 0
    .wavefront_size: 64
  - .agpr_count:     0
    .args:
      - .address_space:  global
        .offset:         0
        .size:           8
        .value_kind:     global_buffer
      - .address_space:  global
        .offset:         8
        .size:           8
        .value_kind:     global_buffer
      - .address_space:  global
        .offset:         16
        .size:           8
        .value_kind:     global_buffer
      - .offset:         24
        .size:           4
        .value_kind:     by_value
      - .address_space:  global
        .offset:         32
        .size:           8
        .value_kind:     global_buffer
      - .address_space:  global
        .offset:         40
        .size:           8
        .value_kind:     global_buffer
      - .offset:         48
        .size:           4
        .value_kind:     by_value
      - .offset:         52
        .size:           4
        .value_kind:     by_value
      - .offset:         56
        .size:           4
        .value_kind:     by_value
      - .offset:         60
        .size:           4
        .value_kind:     by_value
      - .offset:         64
        .size:           4
        .value_kind:     by_value
      - .offset:         68
        .size:           4
        .value_kind:     by_value
    .group_segment_fixed_size: 0
    .kernarg_segment_align: 8
    .kernarg_segment_size: 72
    .language:       OpenCL C
    .language_version:
      - 2
      - 0
    .max_flat_workgroup_size: 512
    .name:           _ZN4vllm3moe17topkGatingSoftmaxItLi16ELi32ELi8ELi32ELb0ELi2ELNS0_23SharedExpertScoringFuncE1EEEvPKT_PKbPfiPiS9_iiiiii
    .private_segment_fixed_size: 0
    .sgpr_count:     57
    .sgpr_spill_count: 0
    .symbol:         _ZN4vllm3moe17topkGatingSoftmaxItLi16ELi32ELi8ELi32ELb0ELi2ELNS0_23SharedExpertScoringFuncE1EEEvPKT_PKbPfiPiS9_iiiiii.kd
    .uniform_work_group_size: 1
    .uses_dynamic_stack: false
    .vgpr_count:     49
    .vgpr_spill_count: 0
    .wavefront_size: 64
  - .agpr_count:     0
    .args:
      - .address_space:  global
        .offset:         0
        .size:           8
        .value_kind:     global_buffer
      - .address_space:  global
        .offset:         8
        .size:           8
        .value_kind:     global_buffer
      - .address_space:  global
        .offset:         16
        .size:           8
        .value_kind:     global_buffer
      - .offset:         24
        .size:           4
        .value_kind:     by_value
      - .address_space:  global
        .offset:         32
        .size:           8
        .value_kind:     global_buffer
      - .address_space:  global
        .offset:         40
        .size:           8
        .value_kind:     global_buffer
      - .offset:         48
        .size:           4
        .value_kind:     by_value
      - .offset:         52
        .size:           4
        .value_kind:     by_value
      - .offset:         56
        .size:           4
        .value_kind:     by_value
      - .offset:         60
        .size:           4
        .value_kind:     by_value
      - .offset:         64
        .size:           4
        .value_kind:     by_value
      - .offset:         68
        .size:           4
        .value_kind:     by_value
    .group_segment_fixed_size: 0
    .kernarg_segment_align: 8
    .kernarg_segment_size: 72
    .language:       OpenCL C
    .language_version:
      - 2
      - 0
    .max_flat_workgroup_size: 512
    .name:           _ZN4vllm3moe17topkGatingSoftmaxItLi16ELi32ELi8ELi32ELb1ELi4ELNS0_23SharedExpertScoringFuncE1EEEvPKT_PKbPfiPiS9_iiiiii
    .private_segment_fixed_size: 0
    .sgpr_count:     57
    .sgpr_spill_count: 0
    .symbol:         _ZN4vllm3moe17topkGatingSoftmaxItLi16ELi32ELi8ELi32ELb1ELi4ELNS0_23SharedExpertScoringFuncE1EEEvPKT_PKbPfiPiS9_iiiiii.kd
    .uniform_work_group_size: 1
    .uses_dynamic_stack: false
    .vgpr_count:     49
    .vgpr_spill_count: 0
    .wavefront_size: 64
  - .agpr_count:     0
    .args:
      - .address_space:  global
        .offset:         0
        .size:           8
        .value_kind:     global_buffer
      - .address_space:  global
        .offset:         8
        .size:           8
        .value_kind:     global_buffer
      - .address_space:  global
        .offset:         16
        .size:           8
        .value_kind:     global_buffer
      - .offset:         24
        .size:           4
        .value_kind:     by_value
      - .address_space:  global
        .offset:         32
        .size:           8
        .value_kind:     global_buffer
      - .address_space:  global
        .offset:         40
        .size:           8
        .value_kind:     global_buffer
      - .offset:         48
        .size:           4
        .value_kind:     by_value
      - .offset:         52
        .size:           4
        .value_kind:     by_value
      - .offset:         56
        .size:           4
        .value_kind:     by_value
      - .offset:         60
        .size:           4
        .value_kind:     by_value
      - .offset:         64
        .size:           4
        .value_kind:     by_value
      - .offset:         68
        .size:           4
        .value_kind:     by_value
    .group_segment_fixed_size: 0
    .kernarg_segment_align: 8
    .kernarg_segment_size: 72
    .language:       OpenCL C
    .language_version:
      - 2
      - 0
    .max_flat_workgroup_size: 512
    .name:           _ZN4vllm3moe17topkGatingSoftmaxItLi16ELi32ELi8ELi32ELb0ELi4ELNS0_23SharedExpertScoringFuncE1EEEvPKT_PKbPfiPiS9_iiiiii
    .private_segment_fixed_size: 0
    .sgpr_count:     57
    .sgpr_spill_count: 0
    .symbol:         _ZN4vllm3moe17topkGatingSoftmaxItLi16ELi32ELi8ELi32ELb0ELi4ELNS0_23SharedExpertScoringFuncE1EEEvPKT_PKbPfiPiS9_iiiiii.kd
    .uniform_work_group_size: 1
    .uses_dynamic_stack: false
    .vgpr_count:     49
    .vgpr_spill_count: 0
    .wavefront_size: 64
  - .agpr_count:     0
    .args:
      - .address_space:  global
        .offset:         0
        .size:           8
        .value_kind:     global_buffer
      - .address_space:  global
        .offset:         8
        .size:           8
        .value_kind:     global_buffer
      - .address_space:  global
        .offset:         16
        .size:           8
        .value_kind:     global_buffer
      - .offset:         24
        .size:           4
        .value_kind:     by_value
      - .address_space:  global
        .offset:         32
        .size:           8
        .value_kind:     global_buffer
      - .address_space:  global
        .offset:         40
        .size:           8
        .value_kind:     global_buffer
      - .offset:         48
        .size:           4
        .value_kind:     by_value
      - .offset:         52
        .size:           4
        .value_kind:     by_value
      - .offset:         56
        .size:           4
        .value_kind:     by_value
      - .offset:         60
        .size:           4
        .value_kind:     by_value
      - .offset:         64
        .size:           4
        .value_kind:     by_value
      - .offset:         68
        .size:           4
        .value_kind:     by_value
    .group_segment_fixed_size: 0
    .kernarg_segment_align: 8
    .kernarg_segment_size: 72
    .language:       OpenCL C
    .language_version:
      - 2
      - 0
    .max_flat_workgroup_size: 512
    .name:           _ZN4vllm3moe17topkGatingSoftmaxItLi16ELi32ELi8ELi32ELb1ELi8ELNS0_23SharedExpertScoringFuncE1EEEvPKT_PKbPfiPiS9_iiiiii
    .private_segment_fixed_size: 0
    .sgpr_count:     57
    .sgpr_spill_count: 0
    .symbol:         _ZN4vllm3moe17topkGatingSoftmaxItLi16ELi32ELi8ELi32ELb1ELi8ELNS0_23SharedExpertScoringFuncE1EEEvPKT_PKbPfiPiS9_iiiiii.kd
    .uniform_work_group_size: 1
    .uses_dynamic_stack: false
    .vgpr_count:     49
    .vgpr_spill_count: 0
    .wavefront_size: 64
  - .agpr_count:     0
    .args:
      - .address_space:  global
        .offset:         0
        .size:           8
        .value_kind:     global_buffer
      - .address_space:  global
        .offset:         8
        .size:           8
        .value_kind:     global_buffer
      - .address_space:  global
        .offset:         16
        .size:           8
        .value_kind:     global_buffer
      - .offset:         24
        .size:           4
        .value_kind:     by_value
      - .address_space:  global
        .offset:         32
        .size:           8
        .value_kind:     global_buffer
      - .address_space:  global
        .offset:         40
        .size:           8
        .value_kind:     global_buffer
      - .offset:         48
        .size:           4
        .value_kind:     by_value
      - .offset:         52
        .size:           4
        .value_kind:     by_value
      - .offset:         56
        .size:           4
        .value_kind:     by_value
      - .offset:         60
        .size:           4
        .value_kind:     by_value
      - .offset:         64
        .size:           4
        .value_kind:     by_value
      - .offset:         68
        .size:           4
        .value_kind:     by_value
    .group_segment_fixed_size: 0
    .kernarg_segment_align: 8
    .kernarg_segment_size: 72
    .language:       OpenCL C
    .language_version:
      - 2
      - 0
    .max_flat_workgroup_size: 512
    .name:           _ZN4vllm3moe17topkGatingSoftmaxItLi16ELi32ELi8ELi32ELb0ELi8ELNS0_23SharedExpertScoringFuncE1EEEvPKT_PKbPfiPiS9_iiiiii
    .private_segment_fixed_size: 0
    .sgpr_count:     57
    .sgpr_spill_count: 0
    .symbol:         _ZN4vllm3moe17topkGatingSoftmaxItLi16ELi32ELi8ELi32ELb0ELi8ELNS0_23SharedExpertScoringFuncE1EEEvPKT_PKbPfiPiS9_iiiiii.kd
    .uniform_work_group_size: 1
    .uses_dynamic_stack: false
    .vgpr_count:     49
    .vgpr_spill_count: 0
    .wavefront_size: 64
  - .agpr_count:     0
    .args:
      - .address_space:  global
        .offset:         0
        .size:           8
        .value_kind:     global_buffer
      - .address_space:  global
        .offset:         8
        .size:           8
        .value_kind:     global_buffer
      - .address_space:  global
        .offset:         16
        .size:           8
        .value_kind:     global_buffer
      - .offset:         24
        .size:           4
        .value_kind:     by_value
      - .address_space:  global
        .offset:         32
        .size:           8
        .value_kind:     global_buffer
      - .address_space:  global
        .offset:         40
        .size:           8
        .value_kind:     global_buffer
      - .offset:         48
        .size:           4
        .value_kind:     by_value
      - .offset:         52
        .size:           4
        .value_kind:     by_value
      - .offset:         56
        .size:           4
        .value_kind:     by_value
      - .offset:         60
        .size:           4
        .value_kind:     by_value
      - .offset:         64
        .size:           4
        .value_kind:     by_value
      - .offset:         68
        .size:           4
        .value_kind:     by_value
    .group_segment_fixed_size: 0
    .kernarg_segment_align: 8
    .kernarg_segment_size: 72
    .language:       OpenCL C
    .language_version:
      - 2
      - 0
    .max_flat_workgroup_size: 512
    .name:           _ZN4vllm3moe17topkGatingSoftmaxItLi16ELi64ELi8ELi32ELb1ELi0ELNS0_23SharedExpertScoringFuncE0EEEvPKT_PKbPfiPiS9_iiiiii
    .private_segment_fixed_size: 0
    .sgpr_count:     58
    .sgpr_spill_count: 0
    .symbol:         _ZN4vllm3moe17topkGatingSoftmaxItLi16ELi64ELi8ELi32ELb1ELi0ELNS0_23SharedExpertScoringFuncE0EEEvPKT_PKbPfiPiS9_iiiiii.kd
    .uniform_work_group_size: 1
    .uses_dynamic_stack: false
    .vgpr_count:     49
    .vgpr_spill_count: 0
    .wavefront_size: 64
  - .agpr_count:     0
    .args:
      - .address_space:  global
        .offset:         0
        .size:           8
        .value_kind:     global_buffer
      - .address_space:  global
        .offset:         8
        .size:           8
        .value_kind:     global_buffer
      - .address_space:  global
        .offset:         16
        .size:           8
        .value_kind:     global_buffer
      - .offset:         24
        .size:           4
        .value_kind:     by_value
      - .address_space:  global
        .offset:         32
        .size:           8
        .value_kind:     global_buffer
      - .address_space:  global
        .offset:         40
        .size:           8
        .value_kind:     global_buffer
      - .offset:         48
        .size:           4
        .value_kind:     by_value
      - .offset:         52
        .size:           4
        .value_kind:     by_value
      - .offset:         56
        .size:           4
        .value_kind:     by_value
      - .offset:         60
        .size:           4
        .value_kind:     by_value
      - .offset:         64
        .size:           4
        .value_kind:     by_value
      - .offset:         68
        .size:           4
        .value_kind:     by_value
    .group_segment_fixed_size: 0
    .kernarg_segment_align: 8
    .kernarg_segment_size: 72
    .language:       OpenCL C
    .language_version:
      - 2
      - 0
    .max_flat_workgroup_size: 512
    .name:           _ZN4vllm3moe17topkGatingSoftmaxItLi16ELi64ELi8ELi32ELb0ELi0ELNS0_23SharedExpertScoringFuncE0EEEvPKT_PKbPfiPiS9_iiiiii
    .private_segment_fixed_size: 0
    .sgpr_count:     58
    .sgpr_spill_count: 0
    .symbol:         _ZN4vllm3moe17topkGatingSoftmaxItLi16ELi64ELi8ELi32ELb0ELi0ELNS0_23SharedExpertScoringFuncE0EEEvPKT_PKbPfiPiS9_iiiiii.kd
    .uniform_work_group_size: 1
    .uses_dynamic_stack: false
    .vgpr_count:     49
    .vgpr_spill_count: 0
    .wavefront_size: 64
  - .agpr_count:     0
    .args:
      - .address_space:  global
        .offset:         0
        .size:           8
        .value_kind:     global_buffer
      - .address_space:  global
        .offset:         8
        .size:           8
        .value_kind:     global_buffer
      - .address_space:  global
        .offset:         16
        .size:           8
        .value_kind:     global_buffer
      - .offset:         24
        .size:           4
        .value_kind:     by_value
      - .address_space:  global
        .offset:         32
        .size:           8
        .value_kind:     global_buffer
      - .address_space:  global
        .offset:         40
        .size:           8
        .value_kind:     global_buffer
      - .offset:         48
        .size:           4
        .value_kind:     by_value
      - .offset:         52
        .size:           4
        .value_kind:     by_value
      - .offset:         56
        .size:           4
        .value_kind:     by_value
      - .offset:         60
        .size:           4
        .value_kind:     by_value
      - .offset:         64
        .size:           4
        .value_kind:     by_value
      - .offset:         68
        .size:           4
        .value_kind:     by_value
    .group_segment_fixed_size: 0
    .kernarg_segment_align: 8
    .kernarg_segment_size: 72
    .language:       OpenCL C
    .language_version:
      - 2
      - 0
    .max_flat_workgroup_size: 512
    .name:           _ZN4vllm3moe17topkGatingSoftmaxItLi16ELi64ELi8ELi32ELb1ELi1ELNS0_23SharedExpertScoringFuncE1EEEvPKT_PKbPfiPiS9_iiiiii
    .private_segment_fixed_size: 0
    .sgpr_count:     58
    .sgpr_spill_count: 0
    .symbol:         _ZN4vllm3moe17topkGatingSoftmaxItLi16ELi64ELi8ELi32ELb1ELi1ELNS0_23SharedExpertScoringFuncE1EEEvPKT_PKbPfiPiS9_iiiiii.kd
    .uniform_work_group_size: 1
    .uses_dynamic_stack: false
    .vgpr_count:     49
    .vgpr_spill_count: 0
    .wavefront_size: 64
  - .agpr_count:     0
    .args:
      - .address_space:  global
        .offset:         0
        .size:           8
        .value_kind:     global_buffer
      - .address_space:  global
        .offset:         8
        .size:           8
        .value_kind:     global_buffer
      - .address_space:  global
        .offset:         16
        .size:           8
        .value_kind:     global_buffer
      - .offset:         24
        .size:           4
        .value_kind:     by_value
      - .address_space:  global
        .offset:         32
        .size:           8
        .value_kind:     global_buffer
      - .address_space:  global
        .offset:         40
        .size:           8
        .value_kind:     global_buffer
      - .offset:         48
        .size:           4
        .value_kind:     by_value
      - .offset:         52
        .size:           4
        .value_kind:     by_value
      - .offset:         56
        .size:           4
        .value_kind:     by_value
      - .offset:         60
        .size:           4
        .value_kind:     by_value
      - .offset:         64
        .size:           4
        .value_kind:     by_value
      - .offset:         68
        .size:           4
        .value_kind:     by_value
    .group_segment_fixed_size: 0
    .kernarg_segment_align: 8
    .kernarg_segment_size: 72
    .language:       OpenCL C
    .language_version:
      - 2
      - 0
    .max_flat_workgroup_size: 512
    .name:           _ZN4vllm3moe17topkGatingSoftmaxItLi16ELi64ELi8ELi32ELb0ELi1ELNS0_23SharedExpertScoringFuncE1EEEvPKT_PKbPfiPiS9_iiiiii
    .private_segment_fixed_size: 0
    .sgpr_count:     58
    .sgpr_spill_count: 0
    .symbol:         _ZN4vllm3moe17topkGatingSoftmaxItLi16ELi64ELi8ELi32ELb0ELi1ELNS0_23SharedExpertScoringFuncE1EEEvPKT_PKbPfiPiS9_iiiiii.kd
    .uniform_work_group_size: 1
    .uses_dynamic_stack: false
    .vgpr_count:     49
    .vgpr_spill_count: 0
    .wavefront_size: 64
  - .agpr_count:     0
    .args:
      - .address_space:  global
        .offset:         0
        .size:           8
        .value_kind:     global_buffer
      - .address_space:  global
        .offset:         8
        .size:           8
        .value_kind:     global_buffer
      - .address_space:  global
        .offset:         16
        .size:           8
        .value_kind:     global_buffer
      - .offset:         24
        .size:           4
        .value_kind:     by_value
      - .address_space:  global
        .offset:         32
        .size:           8
        .value_kind:     global_buffer
      - .address_space:  global
        .offset:         40
        .size:           8
        .value_kind:     global_buffer
      - .offset:         48
        .size:           4
        .value_kind:     by_value
      - .offset:         52
        .size:           4
        .value_kind:     by_value
      - .offset:         56
        .size:           4
        .value_kind:     by_value
      - .offset:         60
        .size:           4
        .value_kind:     by_value
      - .offset:         64
        .size:           4
        .value_kind:     by_value
      - .offset:         68
        .size:           4
        .value_kind:     by_value
    .group_segment_fixed_size: 0
    .kernarg_segment_align: 8
    .kernarg_segment_size: 72
    .language:       OpenCL C
    .language_version:
      - 2
      - 0
    .max_flat_workgroup_size: 512
    .name:           _ZN4vllm3moe17topkGatingSoftmaxItLi16ELi64ELi8ELi32ELb1ELi2ELNS0_23SharedExpertScoringFuncE1EEEvPKT_PKbPfiPiS9_iiiiii
    .private_segment_fixed_size: 0
    .sgpr_count:     58
    .sgpr_spill_count: 0
    .symbol:         _ZN4vllm3moe17topkGatingSoftmaxItLi16ELi64ELi8ELi32ELb1ELi2ELNS0_23SharedExpertScoringFuncE1EEEvPKT_PKbPfiPiS9_iiiiii.kd
    .uniform_work_group_size: 1
    .uses_dynamic_stack: false
    .vgpr_count:     49
    .vgpr_spill_count: 0
    .wavefront_size: 64
  - .agpr_count:     0
    .args:
      - .address_space:  global
        .offset:         0
        .size:           8
        .value_kind:     global_buffer
      - .address_space:  global
        .offset:         8
        .size:           8
        .value_kind:     global_buffer
      - .address_space:  global
        .offset:         16
        .size:           8
        .value_kind:     global_buffer
      - .offset:         24
        .size:           4
        .value_kind:     by_value
      - .address_space:  global
        .offset:         32
        .size:           8
        .value_kind:     global_buffer
      - .address_space:  global
        .offset:         40
        .size:           8
        .value_kind:     global_buffer
      - .offset:         48
        .size:           4
        .value_kind:     by_value
      - .offset:         52
        .size:           4
        .value_kind:     by_value
      - .offset:         56
        .size:           4
        .value_kind:     by_value
      - .offset:         60
        .size:           4
        .value_kind:     by_value
      - .offset:         64
        .size:           4
        .value_kind:     by_value
      - .offset:         68
        .size:           4
        .value_kind:     by_value
    .group_segment_fixed_size: 0
    .kernarg_segment_align: 8
    .kernarg_segment_size: 72
    .language:       OpenCL C
    .language_version:
      - 2
      - 0
    .max_flat_workgroup_size: 512
    .name:           _ZN4vllm3moe17topkGatingSoftmaxItLi16ELi64ELi8ELi32ELb0ELi2ELNS0_23SharedExpertScoringFuncE1EEEvPKT_PKbPfiPiS9_iiiiii
    .private_segment_fixed_size: 0
    .sgpr_count:     58
    .sgpr_spill_count: 0
    .symbol:         _ZN4vllm3moe17topkGatingSoftmaxItLi16ELi64ELi8ELi32ELb0ELi2ELNS0_23SharedExpertScoringFuncE1EEEvPKT_PKbPfiPiS9_iiiiii.kd
    .uniform_work_group_size: 1
    .uses_dynamic_stack: false
    .vgpr_count:     49
    .vgpr_spill_count: 0
    .wavefront_size: 64
  - .agpr_count:     0
    .args:
      - .address_space:  global
        .offset:         0
        .size:           8
        .value_kind:     global_buffer
      - .address_space:  global
        .offset:         8
        .size:           8
        .value_kind:     global_buffer
      - .address_space:  global
        .offset:         16
        .size:           8
        .value_kind:     global_buffer
      - .offset:         24
        .size:           4
        .value_kind:     by_value
      - .address_space:  global
        .offset:         32
        .size:           8
        .value_kind:     global_buffer
      - .address_space:  global
        .offset:         40
        .size:           8
        .value_kind:     global_buffer
      - .offset:         48
        .size:           4
        .value_kind:     by_value
      - .offset:         52
        .size:           4
        .value_kind:     by_value
      - .offset:         56
        .size:           4
        .value_kind:     by_value
      - .offset:         60
        .size:           4
        .value_kind:     by_value
      - .offset:         64
        .size:           4
        .value_kind:     by_value
      - .offset:         68
        .size:           4
        .value_kind:     by_value
    .group_segment_fixed_size: 0
    .kernarg_segment_align: 8
    .kernarg_segment_size: 72
    .language:       OpenCL C
    .language_version:
      - 2
      - 0
    .max_flat_workgroup_size: 512
    .name:           _ZN4vllm3moe17topkGatingSoftmaxItLi16ELi64ELi8ELi32ELb1ELi4ELNS0_23SharedExpertScoringFuncE1EEEvPKT_PKbPfiPiS9_iiiiii
    .private_segment_fixed_size: 0
    .sgpr_count:     57
    .sgpr_spill_count: 0
    .symbol:         _ZN4vllm3moe17topkGatingSoftmaxItLi16ELi64ELi8ELi32ELb1ELi4ELNS0_23SharedExpertScoringFuncE1EEEvPKT_PKbPfiPiS9_iiiiii.kd
    .uniform_work_group_size: 1
    .uses_dynamic_stack: false
    .vgpr_count:     49
    .vgpr_spill_count: 0
    .wavefront_size: 64
  - .agpr_count:     0
    .args:
      - .address_space:  global
        .offset:         0
        .size:           8
        .value_kind:     global_buffer
      - .address_space:  global
        .offset:         8
        .size:           8
        .value_kind:     global_buffer
      - .address_space:  global
        .offset:         16
        .size:           8
        .value_kind:     global_buffer
      - .offset:         24
        .size:           4
        .value_kind:     by_value
      - .address_space:  global
        .offset:         32
        .size:           8
        .value_kind:     global_buffer
      - .address_space:  global
        .offset:         40
        .size:           8
        .value_kind:     global_buffer
      - .offset:         48
        .size:           4
        .value_kind:     by_value
      - .offset:         52
        .size:           4
        .value_kind:     by_value
      - .offset:         56
        .size:           4
        .value_kind:     by_value
      - .offset:         60
        .size:           4
        .value_kind:     by_value
      - .offset:         64
        .size:           4
        .value_kind:     by_value
      - .offset:         68
        .size:           4
        .value_kind:     by_value
    .group_segment_fixed_size: 0
    .kernarg_segment_align: 8
    .kernarg_segment_size: 72
    .language:       OpenCL C
    .language_version:
      - 2
      - 0
    .max_flat_workgroup_size: 512
    .name:           _ZN4vllm3moe17topkGatingSoftmaxItLi16ELi64ELi8ELi32ELb0ELi4ELNS0_23SharedExpertScoringFuncE1EEEvPKT_PKbPfiPiS9_iiiiii
    .private_segment_fixed_size: 0
    .sgpr_count:     57
    .sgpr_spill_count: 0
    .symbol:         _ZN4vllm3moe17topkGatingSoftmaxItLi16ELi64ELi8ELi32ELb0ELi4ELNS0_23SharedExpertScoringFuncE1EEEvPKT_PKbPfiPiS9_iiiiii.kd
    .uniform_work_group_size: 1
    .uses_dynamic_stack: false
    .vgpr_count:     49
    .vgpr_spill_count: 0
    .wavefront_size: 64
  - .agpr_count:     0
    .args:
      - .address_space:  global
        .offset:         0
        .size:           8
        .value_kind:     global_buffer
      - .address_space:  global
        .offset:         8
        .size:           8
        .value_kind:     global_buffer
      - .address_space:  global
        .offset:         16
        .size:           8
        .value_kind:     global_buffer
      - .offset:         24
        .size:           4
        .value_kind:     by_value
      - .address_space:  global
        .offset:         32
        .size:           8
        .value_kind:     global_buffer
      - .address_space:  global
        .offset:         40
        .size:           8
        .value_kind:     global_buffer
      - .offset:         48
        .size:           4
        .value_kind:     by_value
      - .offset:         52
        .size:           4
        .value_kind:     by_value
      - .offset:         56
        .size:           4
        .value_kind:     by_value
      - .offset:         60
        .size:           4
        .value_kind:     by_value
      - .offset:         64
        .size:           4
        .value_kind:     by_value
      - .offset:         68
        .size:           4
        .value_kind:     by_value
    .group_segment_fixed_size: 0
    .kernarg_segment_align: 8
    .kernarg_segment_size: 72
    .language:       OpenCL C
    .language_version:
      - 2
      - 0
    .max_flat_workgroup_size: 512
    .name:           _ZN4vllm3moe17topkGatingSoftmaxItLi16ELi64ELi8ELi32ELb1ELi8ELNS0_23SharedExpertScoringFuncE1EEEvPKT_PKbPfiPiS9_iiiiii
    .private_segment_fixed_size: 0
    .sgpr_count:     57
    .sgpr_spill_count: 0
    .symbol:         _ZN4vllm3moe17topkGatingSoftmaxItLi16ELi64ELi8ELi32ELb1ELi8ELNS0_23SharedExpertScoringFuncE1EEEvPKT_PKbPfiPiS9_iiiiii.kd
    .uniform_work_group_size: 1
    .uses_dynamic_stack: false
    .vgpr_count:     49
    .vgpr_spill_count: 0
    .wavefront_size: 64
  - .agpr_count:     0
    .args:
      - .address_space:  global
        .offset:         0
        .size:           8
        .value_kind:     global_buffer
      - .address_space:  global
        .offset:         8
        .size:           8
        .value_kind:     global_buffer
      - .address_space:  global
        .offset:         16
        .size:           8
        .value_kind:     global_buffer
      - .offset:         24
        .size:           4
        .value_kind:     by_value
      - .address_space:  global
        .offset:         32
        .size:           8
        .value_kind:     global_buffer
      - .address_space:  global
        .offset:         40
        .size:           8
        .value_kind:     global_buffer
      - .offset:         48
        .size:           4
        .value_kind:     by_value
      - .offset:         52
        .size:           4
        .value_kind:     by_value
      - .offset:         56
        .size:           4
        .value_kind:     by_value
      - .offset:         60
        .size:           4
        .value_kind:     by_value
      - .offset:         64
        .size:           4
        .value_kind:     by_value
      - .offset:         68
        .size:           4
        .value_kind:     by_value
    .group_segment_fixed_size: 0
    .kernarg_segment_align: 8
    .kernarg_segment_size: 72
    .language:       OpenCL C
    .language_version:
      - 2
      - 0
    .max_flat_workgroup_size: 512
    .name:           _ZN4vllm3moe17topkGatingSoftmaxItLi16ELi64ELi8ELi32ELb0ELi8ELNS0_23SharedExpertScoringFuncE1EEEvPKT_PKbPfiPiS9_iiiiii
    .private_segment_fixed_size: 0
    .sgpr_count:     57
    .sgpr_spill_count: 0
    .symbol:         _ZN4vllm3moe17topkGatingSoftmaxItLi16ELi64ELi8ELi32ELb0ELi8ELNS0_23SharedExpertScoringFuncE1EEEvPKT_PKbPfiPiS9_iiiiii.kd
    .uniform_work_group_size: 1
    .uses_dynamic_stack: false
    .vgpr_count:     49
    .vgpr_spill_count: 0
    .wavefront_size: 64
  - .agpr_count:     0
    .args:
      - .address_space:  global
        .offset:         0
        .size:           8
        .value_kind:     global_buffer
      - .address_space:  global
        .offset:         8
        .size:           8
        .value_kind:     global_buffer
      - .address_space:  global
        .offset:         16
        .size:           8
        .value_kind:     global_buffer
      - .offset:         24
        .size:           4
        .value_kind:     by_value
      - .address_space:  global
        .offset:         32
        .size:           8
        .value_kind:     global_buffer
      - .address_space:  global
        .offset:         40
        .size:           8
        .value_kind:     global_buffer
      - .offset:         48
        .size:           4
        .value_kind:     by_value
      - .offset:         52
        .size:           4
        .value_kind:     by_value
      - .offset:         56
        .size:           4
        .value_kind:     by_value
      - .offset:         60
        .size:           4
        .value_kind:     by_value
      - .offset:         64
        .size:           4
        .value_kind:     by_value
      - .offset:         68
        .size:           4
        .value_kind:     by_value
    .group_segment_fixed_size: 0
    .kernarg_segment_align: 8
    .kernarg_segment_size: 72
    .language:       OpenCL C
    .language_version:
      - 2
      - 0
    .max_flat_workgroup_size: 512
    .name:           _ZN4vllm3moe17topkGatingSoftmaxItLi16ELi128ELi8ELi32ELb1ELi0ELNS0_23SharedExpertScoringFuncE0EEEvPKT_PKbPfiPiS9_iiiiii
    .private_segment_fixed_size: 0
    .sgpr_count:     58
    .sgpr_spill_count: 0
    .symbol:         _ZN4vllm3moe17topkGatingSoftmaxItLi16ELi128ELi8ELi32ELb1ELi0ELNS0_23SharedExpertScoringFuncE0EEEvPKT_PKbPfiPiS9_iiiiii.kd
    .uniform_work_group_size: 1
    .uses_dynamic_stack: false
    .vgpr_count:     50
    .vgpr_spill_count: 0
    .wavefront_size: 64
  - .agpr_count:     0
    .args:
      - .address_space:  global
        .offset:         0
        .size:           8
        .value_kind:     global_buffer
      - .address_space:  global
        .offset:         8
        .size:           8
        .value_kind:     global_buffer
      - .address_space:  global
        .offset:         16
        .size:           8
        .value_kind:     global_buffer
      - .offset:         24
        .size:           4
        .value_kind:     by_value
      - .address_space:  global
        .offset:         32
        .size:           8
        .value_kind:     global_buffer
      - .address_space:  global
        .offset:         40
        .size:           8
        .value_kind:     global_buffer
      - .offset:         48
        .size:           4
        .value_kind:     by_value
      - .offset:         52
        .size:           4
        .value_kind:     by_value
      - .offset:         56
        .size:           4
        .value_kind:     by_value
      - .offset:         60
        .size:           4
        .value_kind:     by_value
      - .offset:         64
        .size:           4
        .value_kind:     by_value
      - .offset:         68
        .size:           4
        .value_kind:     by_value
    .group_segment_fixed_size: 0
    .kernarg_segment_align: 8
    .kernarg_segment_size: 72
    .language:       OpenCL C
    .language_version:
      - 2
      - 0
    .max_flat_workgroup_size: 512
    .name:           _ZN4vllm3moe17topkGatingSoftmaxItLi16ELi128ELi8ELi32ELb0ELi0ELNS0_23SharedExpertScoringFuncE0EEEvPKT_PKbPfiPiS9_iiiiii
    .private_segment_fixed_size: 0
    .sgpr_count:     58
    .sgpr_spill_count: 0
    .symbol:         _ZN4vllm3moe17topkGatingSoftmaxItLi16ELi128ELi8ELi32ELb0ELi0ELNS0_23SharedExpertScoringFuncE0EEEvPKT_PKbPfiPiS9_iiiiii.kd
    .uniform_work_group_size: 1
    .uses_dynamic_stack: false
    .vgpr_count:     50
    .vgpr_spill_count: 0
    .wavefront_size: 64
  - .agpr_count:     0
    .args:
      - .address_space:  global
        .offset:         0
        .size:           8
        .value_kind:     global_buffer
      - .address_space:  global
        .offset:         8
        .size:           8
        .value_kind:     global_buffer
      - .address_space:  global
        .offset:         16
        .size:           8
        .value_kind:     global_buffer
      - .offset:         24
        .size:           4
        .value_kind:     by_value
      - .address_space:  global
        .offset:         32
        .size:           8
        .value_kind:     global_buffer
      - .address_space:  global
        .offset:         40
        .size:           8
        .value_kind:     global_buffer
      - .offset:         48
        .size:           4
        .value_kind:     by_value
      - .offset:         52
        .size:           4
        .value_kind:     by_value
      - .offset:         56
        .size:           4
        .value_kind:     by_value
      - .offset:         60
        .size:           4
        .value_kind:     by_value
      - .offset:         64
        .size:           4
        .value_kind:     by_value
      - .offset:         68
        .size:           4
        .value_kind:     by_value
    .group_segment_fixed_size: 0
    .kernarg_segment_align: 8
    .kernarg_segment_size: 72
    .language:       OpenCL C
    .language_version:
      - 2
      - 0
    .max_flat_workgroup_size: 512
    .name:           _ZN4vllm3moe17topkGatingSoftmaxItLi16ELi128ELi8ELi32ELb1ELi1ELNS0_23SharedExpertScoringFuncE1EEEvPKT_PKbPfiPiS9_iiiiii
    .private_segment_fixed_size: 0
    .sgpr_count:     58
    .sgpr_spill_count: 0
    .symbol:         _ZN4vllm3moe17topkGatingSoftmaxItLi16ELi128ELi8ELi32ELb1ELi1ELNS0_23SharedExpertScoringFuncE1EEEvPKT_PKbPfiPiS9_iiiiii.kd
    .uniform_work_group_size: 1
    .uses_dynamic_stack: false
    .vgpr_count:     50
    .vgpr_spill_count: 0
    .wavefront_size: 64
  - .agpr_count:     0
    .args:
      - .address_space:  global
        .offset:         0
        .size:           8
        .value_kind:     global_buffer
      - .address_space:  global
        .offset:         8
        .size:           8
        .value_kind:     global_buffer
      - .address_space:  global
        .offset:         16
        .size:           8
        .value_kind:     global_buffer
      - .offset:         24
        .size:           4
        .value_kind:     by_value
      - .address_space:  global
        .offset:         32
        .size:           8
        .value_kind:     global_buffer
      - .address_space:  global
        .offset:         40
        .size:           8
        .value_kind:     global_buffer
      - .offset:         48
        .size:           4
        .value_kind:     by_value
      - .offset:         52
        .size:           4
        .value_kind:     by_value
      - .offset:         56
        .size:           4
        .value_kind:     by_value
      - .offset:         60
        .size:           4
        .value_kind:     by_value
      - .offset:         64
        .size:           4
        .value_kind:     by_value
      - .offset:         68
        .size:           4
        .value_kind:     by_value
    .group_segment_fixed_size: 0
    .kernarg_segment_align: 8
    .kernarg_segment_size: 72
    .language:       OpenCL C
    .language_version:
      - 2
      - 0
    .max_flat_workgroup_size: 512
    .name:           _ZN4vllm3moe17topkGatingSoftmaxItLi16ELi128ELi8ELi32ELb0ELi1ELNS0_23SharedExpertScoringFuncE1EEEvPKT_PKbPfiPiS9_iiiiii
    .private_segment_fixed_size: 0
    .sgpr_count:     58
    .sgpr_spill_count: 0
    .symbol:         _ZN4vllm3moe17topkGatingSoftmaxItLi16ELi128ELi8ELi32ELb0ELi1ELNS0_23SharedExpertScoringFuncE1EEEvPKT_PKbPfiPiS9_iiiiii.kd
    .uniform_work_group_size: 1
    .uses_dynamic_stack: false
    .vgpr_count:     50
    .vgpr_spill_count: 0
    .wavefront_size: 64
  - .agpr_count:     0
    .args:
      - .address_space:  global
        .offset:         0
        .size:           8
        .value_kind:     global_buffer
      - .address_space:  global
        .offset:         8
        .size:           8
        .value_kind:     global_buffer
      - .address_space:  global
        .offset:         16
        .size:           8
        .value_kind:     global_buffer
      - .offset:         24
        .size:           4
        .value_kind:     by_value
      - .address_space:  global
        .offset:         32
        .size:           8
        .value_kind:     global_buffer
      - .address_space:  global
        .offset:         40
        .size:           8
        .value_kind:     global_buffer
      - .offset:         48
        .size:           4
        .value_kind:     by_value
      - .offset:         52
        .size:           4
        .value_kind:     by_value
      - .offset:         56
        .size:           4
        .value_kind:     by_value
      - .offset:         60
        .size:           4
        .value_kind:     by_value
      - .offset:         64
        .size:           4
        .value_kind:     by_value
      - .offset:         68
        .size:           4
        .value_kind:     by_value
    .group_segment_fixed_size: 0
    .kernarg_segment_align: 8
    .kernarg_segment_size: 72
    .language:       OpenCL C
    .language_version:
      - 2
      - 0
    .max_flat_workgroup_size: 512
    .name:           _ZN4vllm3moe17topkGatingSoftmaxItLi16ELi128ELi8ELi32ELb1ELi2ELNS0_23SharedExpertScoringFuncE1EEEvPKT_PKbPfiPiS9_iiiiii
    .private_segment_fixed_size: 0
    .sgpr_count:     58
    .sgpr_spill_count: 0
    .symbol:         _ZN4vllm3moe17topkGatingSoftmaxItLi16ELi128ELi8ELi32ELb1ELi2ELNS0_23SharedExpertScoringFuncE1EEEvPKT_PKbPfiPiS9_iiiiii.kd
    .uniform_work_group_size: 1
    .uses_dynamic_stack: false
    .vgpr_count:     50
    .vgpr_spill_count: 0
    .wavefront_size: 64
  - .agpr_count:     0
    .args:
      - .address_space:  global
        .offset:         0
        .size:           8
        .value_kind:     global_buffer
      - .address_space:  global
        .offset:         8
        .size:           8
        .value_kind:     global_buffer
      - .address_space:  global
        .offset:         16
        .size:           8
        .value_kind:     global_buffer
      - .offset:         24
        .size:           4
        .value_kind:     by_value
      - .address_space:  global
        .offset:         32
        .size:           8
        .value_kind:     global_buffer
      - .address_space:  global
        .offset:         40
        .size:           8
        .value_kind:     global_buffer
      - .offset:         48
        .size:           4
        .value_kind:     by_value
      - .offset:         52
        .size:           4
        .value_kind:     by_value
      - .offset:         56
        .size:           4
        .value_kind:     by_value
      - .offset:         60
        .size:           4
        .value_kind:     by_value
      - .offset:         64
        .size:           4
        .value_kind:     by_value
      - .offset:         68
        .size:           4
        .value_kind:     by_value
    .group_segment_fixed_size: 0
    .kernarg_segment_align: 8
    .kernarg_segment_size: 72
    .language:       OpenCL C
    .language_version:
      - 2
      - 0
    .max_flat_workgroup_size: 512
    .name:           _ZN4vllm3moe17topkGatingSoftmaxItLi16ELi128ELi8ELi32ELb0ELi2ELNS0_23SharedExpertScoringFuncE1EEEvPKT_PKbPfiPiS9_iiiiii
    .private_segment_fixed_size: 0
    .sgpr_count:     58
    .sgpr_spill_count: 0
    .symbol:         _ZN4vllm3moe17topkGatingSoftmaxItLi16ELi128ELi8ELi32ELb0ELi2ELNS0_23SharedExpertScoringFuncE1EEEvPKT_PKbPfiPiS9_iiiiii.kd
    .uniform_work_group_size: 1
    .uses_dynamic_stack: false
    .vgpr_count:     50
    .vgpr_spill_count: 0
    .wavefront_size: 64
  - .agpr_count:     0
    .args:
      - .address_space:  global
        .offset:         0
        .size:           8
        .value_kind:     global_buffer
      - .address_space:  global
        .offset:         8
        .size:           8
        .value_kind:     global_buffer
      - .address_space:  global
        .offset:         16
        .size:           8
        .value_kind:     global_buffer
      - .offset:         24
        .size:           4
        .value_kind:     by_value
      - .address_space:  global
        .offset:         32
        .size:           8
        .value_kind:     global_buffer
      - .address_space:  global
        .offset:         40
        .size:           8
        .value_kind:     global_buffer
      - .offset:         48
        .size:           4
        .value_kind:     by_value
      - .offset:         52
        .size:           4
        .value_kind:     by_value
      - .offset:         56
        .size:           4
        .value_kind:     by_value
      - .offset:         60
        .size:           4
        .value_kind:     by_value
      - .offset:         64
        .size:           4
        .value_kind:     by_value
      - .offset:         68
        .size:           4
        .value_kind:     by_value
    .group_segment_fixed_size: 0
    .kernarg_segment_align: 8
    .kernarg_segment_size: 72
    .language:       OpenCL C
    .language_version:
      - 2
      - 0
    .max_flat_workgroup_size: 512
    .name:           _ZN4vllm3moe17topkGatingSoftmaxItLi16ELi128ELi8ELi32ELb1ELi4ELNS0_23SharedExpertScoringFuncE1EEEvPKT_PKbPfiPiS9_iiiiii
    .private_segment_fixed_size: 0
    .sgpr_count:     58
    .sgpr_spill_count: 0
    .symbol:         _ZN4vllm3moe17topkGatingSoftmaxItLi16ELi128ELi8ELi32ELb1ELi4ELNS0_23SharedExpertScoringFuncE1EEEvPKT_PKbPfiPiS9_iiiiii.kd
    .uniform_work_group_size: 1
    .uses_dynamic_stack: false
    .vgpr_count:     50
    .vgpr_spill_count: 0
    .wavefront_size: 64
  - .agpr_count:     0
    .args:
      - .address_space:  global
        .offset:         0
        .size:           8
        .value_kind:     global_buffer
      - .address_space:  global
        .offset:         8
        .size:           8
        .value_kind:     global_buffer
      - .address_space:  global
        .offset:         16
        .size:           8
        .value_kind:     global_buffer
      - .offset:         24
        .size:           4
        .value_kind:     by_value
      - .address_space:  global
        .offset:         32
        .size:           8
        .value_kind:     global_buffer
      - .address_space:  global
        .offset:         40
        .size:           8
        .value_kind:     global_buffer
      - .offset:         48
        .size:           4
        .value_kind:     by_value
      - .offset:         52
        .size:           4
        .value_kind:     by_value
      - .offset:         56
        .size:           4
        .value_kind:     by_value
      - .offset:         60
        .size:           4
        .value_kind:     by_value
      - .offset:         64
        .size:           4
        .value_kind:     by_value
      - .offset:         68
        .size:           4
        .value_kind:     by_value
    .group_segment_fixed_size: 0
    .kernarg_segment_align: 8
    .kernarg_segment_size: 72
    .language:       OpenCL C
    .language_version:
      - 2
      - 0
    .max_flat_workgroup_size: 512
    .name:           _ZN4vllm3moe17topkGatingSoftmaxItLi16ELi128ELi8ELi32ELb0ELi4ELNS0_23SharedExpertScoringFuncE1EEEvPKT_PKbPfiPiS9_iiiiii
    .private_segment_fixed_size: 0
    .sgpr_count:     58
    .sgpr_spill_count: 0
    .symbol:         _ZN4vllm3moe17topkGatingSoftmaxItLi16ELi128ELi8ELi32ELb0ELi4ELNS0_23SharedExpertScoringFuncE1EEEvPKT_PKbPfiPiS9_iiiiii.kd
    .uniform_work_group_size: 1
    .uses_dynamic_stack: false
    .vgpr_count:     50
    .vgpr_spill_count: 0
    .wavefront_size: 64
  - .agpr_count:     0
    .args:
      - .address_space:  global
        .offset:         0
        .size:           8
        .value_kind:     global_buffer
      - .address_space:  global
        .offset:         8
        .size:           8
        .value_kind:     global_buffer
      - .address_space:  global
        .offset:         16
        .size:           8
        .value_kind:     global_buffer
      - .offset:         24
        .size:           4
        .value_kind:     by_value
      - .address_space:  global
        .offset:         32
        .size:           8
        .value_kind:     global_buffer
      - .address_space:  global
        .offset:         40
        .size:           8
        .value_kind:     global_buffer
      - .offset:         48
        .size:           4
        .value_kind:     by_value
      - .offset:         52
        .size:           4
        .value_kind:     by_value
      - .offset:         56
        .size:           4
        .value_kind:     by_value
      - .offset:         60
        .size:           4
        .value_kind:     by_value
      - .offset:         64
        .size:           4
        .value_kind:     by_value
      - .offset:         68
        .size:           4
        .value_kind:     by_value
    .group_segment_fixed_size: 0
    .kernarg_segment_align: 8
    .kernarg_segment_size: 72
    .language:       OpenCL C
    .language_version:
      - 2
      - 0
    .max_flat_workgroup_size: 512
    .name:           _ZN4vllm3moe17topkGatingSoftmaxItLi16ELi128ELi8ELi32ELb1ELi8ELNS0_23SharedExpertScoringFuncE1EEEvPKT_PKbPfiPiS9_iiiiii
    .private_segment_fixed_size: 0
    .sgpr_count:     57
    .sgpr_spill_count: 0
    .symbol:         _ZN4vllm3moe17topkGatingSoftmaxItLi16ELi128ELi8ELi32ELb1ELi8ELNS0_23SharedExpertScoringFuncE1EEEvPKT_PKbPfiPiS9_iiiiii.kd
    .uniform_work_group_size: 1
    .uses_dynamic_stack: false
    .vgpr_count:     50
    .vgpr_spill_count: 0
    .wavefront_size: 64
  - .agpr_count:     0
    .args:
      - .address_space:  global
        .offset:         0
        .size:           8
        .value_kind:     global_buffer
      - .address_space:  global
        .offset:         8
        .size:           8
        .value_kind:     global_buffer
      - .address_space:  global
        .offset:         16
        .size:           8
        .value_kind:     global_buffer
      - .offset:         24
        .size:           4
        .value_kind:     by_value
      - .address_space:  global
        .offset:         32
        .size:           8
        .value_kind:     global_buffer
      - .address_space:  global
        .offset:         40
        .size:           8
        .value_kind:     global_buffer
      - .offset:         48
        .size:           4
        .value_kind:     by_value
      - .offset:         52
        .size:           4
        .value_kind:     by_value
      - .offset:         56
        .size:           4
        .value_kind:     by_value
      - .offset:         60
        .size:           4
        .value_kind:     by_value
      - .offset:         64
        .size:           4
        .value_kind:     by_value
      - .offset:         68
        .size:           4
        .value_kind:     by_value
    .group_segment_fixed_size: 0
    .kernarg_segment_align: 8
    .kernarg_segment_size: 72
    .language:       OpenCL C
    .language_version:
      - 2
      - 0
    .max_flat_workgroup_size: 512
    .name:           _ZN4vllm3moe17topkGatingSoftmaxItLi16ELi128ELi8ELi32ELb0ELi8ELNS0_23SharedExpertScoringFuncE1EEEvPKT_PKbPfiPiS9_iiiiii
    .private_segment_fixed_size: 0
    .sgpr_count:     57
    .sgpr_spill_count: 0
    .symbol:         _ZN4vllm3moe17topkGatingSoftmaxItLi16ELi128ELi8ELi32ELb0ELi8ELNS0_23SharedExpertScoringFuncE1EEEvPKT_PKbPfiPiS9_iiiiii.kd
    .uniform_work_group_size: 1
    .uses_dynamic_stack: false
    .vgpr_count:     50
    .vgpr_spill_count: 0
    .wavefront_size: 64
  - .agpr_count:     0
    .args:
      - .address_space:  global
        .offset:         0
        .size:           8
        .value_kind:     global_buffer
      - .address_space:  global
        .offset:         8
        .size:           8
        .value_kind:     global_buffer
      - .address_space:  global
        .offset:         16
        .size:           8
        .value_kind:     global_buffer
      - .offset:         24
        .size:           4
        .value_kind:     by_value
      - .address_space:  global
        .offset:         32
        .size:           8
        .value_kind:     global_buffer
      - .address_space:  global
        .offset:         40
        .size:           8
        .value_kind:     global_buffer
      - .offset:         48
        .size:           4
        .value_kind:     by_value
      - .offset:         52
        .size:           4
        .value_kind:     by_value
      - .offset:         56
        .size:           4
        .value_kind:     by_value
      - .offset:         60
        .size:           4
        .value_kind:     by_value
      - .offset:         64
        .size:           4
        .value_kind:     by_value
      - .offset:         68
        .size:           4
        .value_kind:     by_value
    .group_segment_fixed_size: 0
    .kernarg_segment_align: 8
    .kernarg_segment_size: 72
    .language:       OpenCL C
    .language_version:
      - 2
      - 0
    .max_flat_workgroup_size: 512
    .name:           _ZN4vllm3moe17topkGatingSoftmaxItLi16ELi256ELi8ELi32ELb1ELi0ELNS0_23SharedExpertScoringFuncE0EEEvPKT_PKbPfiPiS9_iiiiii
    .private_segment_fixed_size: 0
    .sgpr_count:     58
    .sgpr_spill_count: 0
    .symbol:         _ZN4vllm3moe17topkGatingSoftmaxItLi16ELi256ELi8ELi32ELb1ELi0ELNS0_23SharedExpertScoringFuncE0EEEvPKT_PKbPfiPiS9_iiiiii.kd
    .uniform_work_group_size: 1
    .uses_dynamic_stack: false
    .vgpr_count:     50
    .vgpr_spill_count: 0
    .wavefront_size: 64
  - .agpr_count:     0
    .args:
      - .address_space:  global
        .offset:         0
        .size:           8
        .value_kind:     global_buffer
      - .address_space:  global
        .offset:         8
        .size:           8
        .value_kind:     global_buffer
      - .address_space:  global
        .offset:         16
        .size:           8
        .value_kind:     global_buffer
      - .offset:         24
        .size:           4
        .value_kind:     by_value
      - .address_space:  global
        .offset:         32
        .size:           8
        .value_kind:     global_buffer
      - .address_space:  global
        .offset:         40
        .size:           8
        .value_kind:     global_buffer
      - .offset:         48
        .size:           4
        .value_kind:     by_value
      - .offset:         52
        .size:           4
        .value_kind:     by_value
      - .offset:         56
        .size:           4
        .value_kind:     by_value
      - .offset:         60
        .size:           4
        .value_kind:     by_value
      - .offset:         64
        .size:           4
        .value_kind:     by_value
      - .offset:         68
        .size:           4
        .value_kind:     by_value
    .group_segment_fixed_size: 0
    .kernarg_segment_align: 8
    .kernarg_segment_size: 72
    .language:       OpenCL C
    .language_version:
      - 2
      - 0
    .max_flat_workgroup_size: 512
    .name:           _ZN4vllm3moe17topkGatingSoftmaxItLi16ELi256ELi8ELi32ELb0ELi0ELNS0_23SharedExpertScoringFuncE0EEEvPKT_PKbPfiPiS9_iiiiii
    .private_segment_fixed_size: 0
    .sgpr_count:     58
    .sgpr_spill_count: 0
    .symbol:         _ZN4vllm3moe17topkGatingSoftmaxItLi16ELi256ELi8ELi32ELb0ELi0ELNS0_23SharedExpertScoringFuncE0EEEvPKT_PKbPfiPiS9_iiiiii.kd
    .uniform_work_group_size: 1
    .uses_dynamic_stack: false
    .vgpr_count:     50
    .vgpr_spill_count: 0
    .wavefront_size: 64
  - .agpr_count:     0
    .args:
      - .address_space:  global
        .offset:         0
        .size:           8
        .value_kind:     global_buffer
      - .address_space:  global
        .offset:         8
        .size:           8
        .value_kind:     global_buffer
      - .address_space:  global
        .offset:         16
        .size:           8
        .value_kind:     global_buffer
      - .offset:         24
        .size:           4
        .value_kind:     by_value
      - .address_space:  global
        .offset:         32
        .size:           8
        .value_kind:     global_buffer
      - .address_space:  global
        .offset:         40
        .size:           8
        .value_kind:     global_buffer
      - .offset:         48
        .size:           4
        .value_kind:     by_value
      - .offset:         52
        .size:           4
        .value_kind:     by_value
      - .offset:         56
        .size:           4
        .value_kind:     by_value
      - .offset:         60
        .size:           4
        .value_kind:     by_value
      - .offset:         64
        .size:           4
        .value_kind:     by_value
      - .offset:         68
        .size:           4
        .value_kind:     by_value
    .group_segment_fixed_size: 0
    .kernarg_segment_align: 8
    .kernarg_segment_size: 72
    .language:       OpenCL C
    .language_version:
      - 2
      - 0
    .max_flat_workgroup_size: 512
    .name:           _ZN4vllm3moe17topkGatingSoftmaxItLi16ELi256ELi8ELi32ELb1ELi1ELNS0_23SharedExpertScoringFuncE1EEEvPKT_PKbPfiPiS9_iiiiii
    .private_segment_fixed_size: 0
    .sgpr_count:     58
    .sgpr_spill_count: 0
    .symbol:         _ZN4vllm3moe17topkGatingSoftmaxItLi16ELi256ELi8ELi32ELb1ELi1ELNS0_23SharedExpertScoringFuncE1EEEvPKT_PKbPfiPiS9_iiiiii.kd
    .uniform_work_group_size: 1
    .uses_dynamic_stack: false
    .vgpr_count:     50
    .vgpr_spill_count: 0
    .wavefront_size: 64
  - .agpr_count:     0
    .args:
      - .address_space:  global
        .offset:         0
        .size:           8
        .value_kind:     global_buffer
      - .address_space:  global
        .offset:         8
        .size:           8
        .value_kind:     global_buffer
      - .address_space:  global
        .offset:         16
        .size:           8
        .value_kind:     global_buffer
      - .offset:         24
        .size:           4
        .value_kind:     by_value
      - .address_space:  global
        .offset:         32
        .size:           8
        .value_kind:     global_buffer
      - .address_space:  global
        .offset:         40
        .size:           8
        .value_kind:     global_buffer
      - .offset:         48
        .size:           4
        .value_kind:     by_value
      - .offset:         52
        .size:           4
        .value_kind:     by_value
      - .offset:         56
        .size:           4
        .value_kind:     by_value
      - .offset:         60
        .size:           4
        .value_kind:     by_value
      - .offset:         64
        .size:           4
        .value_kind:     by_value
      - .offset:         68
        .size:           4
        .value_kind:     by_value
    .group_segment_fixed_size: 0
    .kernarg_segment_align: 8
    .kernarg_segment_size: 72
    .language:       OpenCL C
    .language_version:
      - 2
      - 0
    .max_flat_workgroup_size: 512
    .name:           _ZN4vllm3moe17topkGatingSoftmaxItLi16ELi256ELi8ELi32ELb0ELi1ELNS0_23SharedExpertScoringFuncE1EEEvPKT_PKbPfiPiS9_iiiiii
    .private_segment_fixed_size: 0
    .sgpr_count:     58
    .sgpr_spill_count: 0
    .symbol:         _ZN4vllm3moe17topkGatingSoftmaxItLi16ELi256ELi8ELi32ELb0ELi1ELNS0_23SharedExpertScoringFuncE1EEEvPKT_PKbPfiPiS9_iiiiii.kd
    .uniform_work_group_size: 1
    .uses_dynamic_stack: false
    .vgpr_count:     50
    .vgpr_spill_count: 0
    .wavefront_size: 64
  - .agpr_count:     0
    .args:
      - .address_space:  global
        .offset:         0
        .size:           8
        .value_kind:     global_buffer
      - .address_space:  global
        .offset:         8
        .size:           8
        .value_kind:     global_buffer
      - .address_space:  global
        .offset:         16
        .size:           8
        .value_kind:     global_buffer
      - .offset:         24
        .size:           4
        .value_kind:     by_value
      - .address_space:  global
        .offset:         32
        .size:           8
        .value_kind:     global_buffer
      - .address_space:  global
        .offset:         40
        .size:           8
        .value_kind:     global_buffer
      - .offset:         48
        .size:           4
        .value_kind:     by_value
      - .offset:         52
        .size:           4
        .value_kind:     by_value
      - .offset:         56
        .size:           4
        .value_kind:     by_value
      - .offset:         60
        .size:           4
        .value_kind:     by_value
      - .offset:         64
        .size:           4
        .value_kind:     by_value
      - .offset:         68
        .size:           4
        .value_kind:     by_value
    .group_segment_fixed_size: 0
    .kernarg_segment_align: 8
    .kernarg_segment_size: 72
    .language:       OpenCL C
    .language_version:
      - 2
      - 0
    .max_flat_workgroup_size: 512
    .name:           _ZN4vllm3moe17topkGatingSoftmaxItLi16ELi256ELi8ELi32ELb1ELi2ELNS0_23SharedExpertScoringFuncE1EEEvPKT_PKbPfiPiS9_iiiiii
    .private_segment_fixed_size: 0
    .sgpr_count:     58
    .sgpr_spill_count: 0
    .symbol:         _ZN4vllm3moe17topkGatingSoftmaxItLi16ELi256ELi8ELi32ELb1ELi2ELNS0_23SharedExpertScoringFuncE1EEEvPKT_PKbPfiPiS9_iiiiii.kd
    .uniform_work_group_size: 1
    .uses_dynamic_stack: false
    .vgpr_count:     50
    .vgpr_spill_count: 0
    .wavefront_size: 64
  - .agpr_count:     0
    .args:
      - .address_space:  global
        .offset:         0
        .size:           8
        .value_kind:     global_buffer
      - .address_space:  global
        .offset:         8
        .size:           8
        .value_kind:     global_buffer
      - .address_space:  global
        .offset:         16
        .size:           8
        .value_kind:     global_buffer
      - .offset:         24
        .size:           4
        .value_kind:     by_value
      - .address_space:  global
        .offset:         32
        .size:           8
        .value_kind:     global_buffer
      - .address_space:  global
        .offset:         40
        .size:           8
        .value_kind:     global_buffer
      - .offset:         48
        .size:           4
        .value_kind:     by_value
      - .offset:         52
        .size:           4
        .value_kind:     by_value
      - .offset:         56
        .size:           4
        .value_kind:     by_value
      - .offset:         60
        .size:           4
        .value_kind:     by_value
      - .offset:         64
        .size:           4
        .value_kind:     by_value
      - .offset:         68
        .size:           4
        .value_kind:     by_value
    .group_segment_fixed_size: 0
    .kernarg_segment_align: 8
    .kernarg_segment_size: 72
    .language:       OpenCL C
    .language_version:
      - 2
      - 0
    .max_flat_workgroup_size: 512
    .name:           _ZN4vllm3moe17topkGatingSoftmaxItLi16ELi256ELi8ELi32ELb0ELi2ELNS0_23SharedExpertScoringFuncE1EEEvPKT_PKbPfiPiS9_iiiiii
    .private_segment_fixed_size: 0
    .sgpr_count:     58
    .sgpr_spill_count: 0
    .symbol:         _ZN4vllm3moe17topkGatingSoftmaxItLi16ELi256ELi8ELi32ELb0ELi2ELNS0_23SharedExpertScoringFuncE1EEEvPKT_PKbPfiPiS9_iiiiii.kd
    .uniform_work_group_size: 1
    .uses_dynamic_stack: false
    .vgpr_count:     50
    .vgpr_spill_count: 0
    .wavefront_size: 64
  - .agpr_count:     0
    .args:
      - .address_space:  global
        .offset:         0
        .size:           8
        .value_kind:     global_buffer
      - .address_space:  global
        .offset:         8
        .size:           8
        .value_kind:     global_buffer
      - .address_space:  global
        .offset:         16
        .size:           8
        .value_kind:     global_buffer
      - .offset:         24
        .size:           4
        .value_kind:     by_value
      - .address_space:  global
        .offset:         32
        .size:           8
        .value_kind:     global_buffer
      - .address_space:  global
        .offset:         40
        .size:           8
        .value_kind:     global_buffer
      - .offset:         48
        .size:           4
        .value_kind:     by_value
      - .offset:         52
        .size:           4
        .value_kind:     by_value
      - .offset:         56
        .size:           4
        .value_kind:     by_value
      - .offset:         60
        .size:           4
        .value_kind:     by_value
      - .offset:         64
        .size:           4
        .value_kind:     by_value
      - .offset:         68
        .size:           4
        .value_kind:     by_value
    .group_segment_fixed_size: 0
    .kernarg_segment_align: 8
    .kernarg_segment_size: 72
    .language:       OpenCL C
    .language_version:
      - 2
      - 0
    .max_flat_workgroup_size: 512
    .name:           _ZN4vllm3moe17topkGatingSoftmaxItLi16ELi256ELi8ELi32ELb1ELi4ELNS0_23SharedExpertScoringFuncE1EEEvPKT_PKbPfiPiS9_iiiiii
    .private_segment_fixed_size: 0
    .sgpr_count:     58
    .sgpr_spill_count: 0
    .symbol:         _ZN4vllm3moe17topkGatingSoftmaxItLi16ELi256ELi8ELi32ELb1ELi4ELNS0_23SharedExpertScoringFuncE1EEEvPKT_PKbPfiPiS9_iiiiii.kd
    .uniform_work_group_size: 1
    .uses_dynamic_stack: false
    .vgpr_count:     50
    .vgpr_spill_count: 0
    .wavefront_size: 64
  - .agpr_count:     0
    .args:
      - .address_space:  global
        .offset:         0
        .size:           8
        .value_kind:     global_buffer
      - .address_space:  global
        .offset:         8
        .size:           8
        .value_kind:     global_buffer
      - .address_space:  global
        .offset:         16
        .size:           8
        .value_kind:     global_buffer
      - .offset:         24
        .size:           4
        .value_kind:     by_value
      - .address_space:  global
        .offset:         32
        .size:           8
        .value_kind:     global_buffer
      - .address_space:  global
        .offset:         40
        .size:           8
        .value_kind:     global_buffer
      - .offset:         48
        .size:           4
        .value_kind:     by_value
      - .offset:         52
        .size:           4
        .value_kind:     by_value
      - .offset:         56
        .size:           4
        .value_kind:     by_value
      - .offset:         60
        .size:           4
        .value_kind:     by_value
      - .offset:         64
        .size:           4
        .value_kind:     by_value
      - .offset:         68
        .size:           4
        .value_kind:     by_value
    .group_segment_fixed_size: 0
    .kernarg_segment_align: 8
    .kernarg_segment_size: 72
    .language:       OpenCL C
    .language_version:
      - 2
      - 0
    .max_flat_workgroup_size: 512
    .name:           _ZN4vllm3moe17topkGatingSoftmaxItLi16ELi256ELi8ELi32ELb0ELi4ELNS0_23SharedExpertScoringFuncE1EEEvPKT_PKbPfiPiS9_iiiiii
    .private_segment_fixed_size: 0
    .sgpr_count:     58
    .sgpr_spill_count: 0
    .symbol:         _ZN4vllm3moe17topkGatingSoftmaxItLi16ELi256ELi8ELi32ELb0ELi4ELNS0_23SharedExpertScoringFuncE1EEEvPKT_PKbPfiPiS9_iiiiii.kd
    .uniform_work_group_size: 1
    .uses_dynamic_stack: false
    .vgpr_count:     50
    .vgpr_spill_count: 0
    .wavefront_size: 64
  - .agpr_count:     0
    .args:
      - .address_space:  global
        .offset:         0
        .size:           8
        .value_kind:     global_buffer
      - .address_space:  global
        .offset:         8
        .size:           8
        .value_kind:     global_buffer
      - .address_space:  global
        .offset:         16
        .size:           8
        .value_kind:     global_buffer
      - .offset:         24
        .size:           4
        .value_kind:     by_value
      - .address_space:  global
        .offset:         32
        .size:           8
        .value_kind:     global_buffer
      - .address_space:  global
        .offset:         40
        .size:           8
        .value_kind:     global_buffer
      - .offset:         48
        .size:           4
        .value_kind:     by_value
      - .offset:         52
        .size:           4
        .value_kind:     by_value
      - .offset:         56
        .size:           4
        .value_kind:     by_value
      - .offset:         60
        .size:           4
        .value_kind:     by_value
      - .offset:         64
        .size:           4
        .value_kind:     by_value
      - .offset:         68
        .size:           4
        .value_kind:     by_value
    .group_segment_fixed_size: 0
    .kernarg_segment_align: 8
    .kernarg_segment_size: 72
    .language:       OpenCL C
    .language_version:
      - 2
      - 0
    .max_flat_workgroup_size: 512
    .name:           _ZN4vllm3moe17topkGatingSoftmaxItLi16ELi256ELi8ELi32ELb1ELi8ELNS0_23SharedExpertScoringFuncE1EEEvPKT_PKbPfiPiS9_iiiiii
    .private_segment_fixed_size: 0
    .sgpr_count:     58
    .sgpr_spill_count: 0
    .symbol:         _ZN4vllm3moe17topkGatingSoftmaxItLi16ELi256ELi8ELi32ELb1ELi8ELNS0_23SharedExpertScoringFuncE1EEEvPKT_PKbPfiPiS9_iiiiii.kd
    .uniform_work_group_size: 1
    .uses_dynamic_stack: false
    .vgpr_count:     50
    .vgpr_spill_count: 0
    .wavefront_size: 64
  - .agpr_count:     0
    .args:
      - .address_space:  global
        .offset:         0
        .size:           8
        .value_kind:     global_buffer
      - .address_space:  global
        .offset:         8
        .size:           8
        .value_kind:     global_buffer
      - .address_space:  global
        .offset:         16
        .size:           8
        .value_kind:     global_buffer
      - .offset:         24
        .size:           4
        .value_kind:     by_value
      - .address_space:  global
        .offset:         32
        .size:           8
        .value_kind:     global_buffer
      - .address_space:  global
        .offset:         40
        .size:           8
        .value_kind:     global_buffer
      - .offset:         48
        .size:           4
        .value_kind:     by_value
      - .offset:         52
        .size:           4
        .value_kind:     by_value
      - .offset:         56
        .size:           4
        .value_kind:     by_value
      - .offset:         60
        .size:           4
        .value_kind:     by_value
      - .offset:         64
        .size:           4
        .value_kind:     by_value
      - .offset:         68
        .size:           4
        .value_kind:     by_value
    .group_segment_fixed_size: 0
    .kernarg_segment_align: 8
    .kernarg_segment_size: 72
    .language:       OpenCL C
    .language_version:
      - 2
      - 0
    .max_flat_workgroup_size: 512
    .name:           _ZN4vllm3moe17topkGatingSoftmaxItLi16ELi256ELi8ELi32ELb0ELi8ELNS0_23SharedExpertScoringFuncE1EEEvPKT_PKbPfiPiS9_iiiiii
    .private_segment_fixed_size: 0
    .sgpr_count:     58
    .sgpr_spill_count: 0
    .symbol:         _ZN4vllm3moe17topkGatingSoftmaxItLi16ELi256ELi8ELi32ELb0ELi8ELNS0_23SharedExpertScoringFuncE1EEEvPKT_PKbPfiPiS9_iiiiii.kd
    .uniform_work_group_size: 1
    .uses_dynamic_stack: false
    .vgpr_count:     50
    .vgpr_spill_count: 0
    .wavefront_size: 64
  - .agpr_count:     0
    .args:
      - .address_space:  global
        .offset:         0
        .size:           8
        .value_kind:     global_buffer
      - .address_space:  global
        .offset:         8
        .size:           8
        .value_kind:     global_buffer
      - .address_space:  global
        .offset:         16
        .size:           8
        .value_kind:     global_buffer
      - .offset:         24
        .size:           4
        .value_kind:     by_value
      - .address_space:  global
        .offset:         32
        .size:           8
        .value_kind:     global_buffer
      - .address_space:  global
        .offset:         40
        .size:           8
        .value_kind:     global_buffer
      - .offset:         48
        .size:           4
        .value_kind:     by_value
      - .offset:         52
        .size:           4
        .value_kind:     by_value
      - .offset:         56
        .size:           4
        .value_kind:     by_value
      - .offset:         60
        .size:           4
        .value_kind:     by_value
      - .offset:         64
        .size:           4
        .value_kind:     by_value
      - .offset:         68
        .size:           4
        .value_kind:     by_value
    .group_segment_fixed_size: 0
    .kernarg_segment_align: 8
    .kernarg_segment_size: 72
    .language:       OpenCL C
    .language_version:
      - 2
      - 0
    .max_flat_workgroup_size: 128
    .name:           _ZN4vllm3moe17topkGatingSoftmaxItLi32ELi512ELi2ELi64ELb1ELi0ELNS0_23SharedExpertScoringFuncE0EEEvPKT_PKbPfiPiS9_iiiiii
    .private_segment_fixed_size: 144
    .sgpr_count:     34
    .sgpr_spill_count: 0
    .symbol:         _ZN4vllm3moe17topkGatingSoftmaxItLi32ELi512ELi2ELi64ELb1ELi0ELNS0_23SharedExpertScoringFuncE0EEEvPKT_PKbPfiPiS9_iiiiii.kd
    .uniform_work_group_size: 1
    .uses_dynamic_stack: false
    .vgpr_count:     61
    .vgpr_spill_count: 0
    .wavefront_size: 64
  - .agpr_count:     0
    .args:
      - .address_space:  global
        .offset:         0
        .size:           8
        .value_kind:     global_buffer
      - .address_space:  global
        .offset:         8
        .size:           8
        .value_kind:     global_buffer
      - .address_space:  global
        .offset:         16
        .size:           8
        .value_kind:     global_buffer
      - .offset:         24
        .size:           4
        .value_kind:     by_value
      - .address_space:  global
        .offset:         32
        .size:           8
        .value_kind:     global_buffer
      - .address_space:  global
        .offset:         40
        .size:           8
        .value_kind:     global_buffer
      - .offset:         48
        .size:           4
        .value_kind:     by_value
      - .offset:         52
        .size:           4
        .value_kind:     by_value
      - .offset:         56
        .size:           4
        .value_kind:     by_value
      - .offset:         60
        .size:           4
        .value_kind:     by_value
      - .offset:         64
        .size:           4
        .value_kind:     by_value
      - .offset:         68
        .size:           4
        .value_kind:     by_value
    .group_segment_fixed_size: 0
    .kernarg_segment_align: 8
    .kernarg_segment_size: 72
    .language:       OpenCL C
    .language_version:
      - 2
      - 0
    .max_flat_workgroup_size: 128
    .name:           _ZN4vllm3moe17topkGatingSoftmaxItLi32ELi512ELi2ELi64ELb0ELi0ELNS0_23SharedExpertScoringFuncE0EEEvPKT_PKbPfiPiS9_iiiiii
    .private_segment_fixed_size: 144
    .sgpr_count:     33
    .sgpr_spill_count: 0
    .symbol:         _ZN4vllm3moe17topkGatingSoftmaxItLi32ELi512ELi2ELi64ELb0ELi0ELNS0_23SharedExpertScoringFuncE0EEEvPKT_PKbPfiPiS9_iiiiii.kd
    .uniform_work_group_size: 1
    .uses_dynamic_stack: false
    .vgpr_count:     61
    .vgpr_spill_count: 0
    .wavefront_size: 64
  - .agpr_count:     0
    .args:
      - .address_space:  global
        .offset:         0
        .size:           8
        .value_kind:     global_buffer
      - .address_space:  global
        .offset:         8
        .size:           8
        .value_kind:     global_buffer
      - .address_space:  global
        .offset:         16
        .size:           8
        .value_kind:     global_buffer
      - .offset:         24
        .size:           4
        .value_kind:     by_value
      - .address_space:  global
        .offset:         32
        .size:           8
        .value_kind:     global_buffer
      - .address_space:  global
        .offset:         40
        .size:           8
        .value_kind:     global_buffer
      - .offset:         48
        .size:           4
        .value_kind:     by_value
      - .offset:         52
        .size:           4
        .value_kind:     by_value
      - .offset:         56
        .size:           4
        .value_kind:     by_value
      - .offset:         60
        .size:           4
        .value_kind:     by_value
      - .offset:         64
        .size:           4
        .value_kind:     by_value
      - .offset:         68
        .size:           4
        .value_kind:     by_value
    .group_segment_fixed_size: 0
    .kernarg_segment_align: 8
    .kernarg_segment_size: 72
    .language:       OpenCL C
    .language_version:
      - 2
      - 0
    .max_flat_workgroup_size: 128
    .name:           _ZN4vllm3moe17topkGatingSoftmaxItLi32ELi512ELi2ELi64ELb1ELi1ELNS0_23SharedExpertScoringFuncE1EEEvPKT_PKbPfiPiS9_iiiiii
    .private_segment_fixed_size: 144
    .sgpr_count:     34
    .sgpr_spill_count: 0
    .symbol:         _ZN4vllm3moe17topkGatingSoftmaxItLi32ELi512ELi2ELi64ELb1ELi1ELNS0_23SharedExpertScoringFuncE1EEEvPKT_PKbPfiPiS9_iiiiii.kd
    .uniform_work_group_size: 1
    .uses_dynamic_stack: false
    .vgpr_count:     61
    .vgpr_spill_count: 0
    .wavefront_size: 64
  - .agpr_count:     0
    .args:
      - .address_space:  global
        .offset:         0
        .size:           8
        .value_kind:     global_buffer
      - .address_space:  global
        .offset:         8
        .size:           8
        .value_kind:     global_buffer
      - .address_space:  global
        .offset:         16
        .size:           8
        .value_kind:     global_buffer
      - .offset:         24
        .size:           4
        .value_kind:     by_value
      - .address_space:  global
        .offset:         32
        .size:           8
        .value_kind:     global_buffer
      - .address_space:  global
        .offset:         40
        .size:           8
        .value_kind:     global_buffer
      - .offset:         48
        .size:           4
        .value_kind:     by_value
      - .offset:         52
        .size:           4
        .value_kind:     by_value
      - .offset:         56
        .size:           4
        .value_kind:     by_value
      - .offset:         60
        .size:           4
        .value_kind:     by_value
      - .offset:         64
        .size:           4
        .value_kind:     by_value
      - .offset:         68
        .size:           4
        .value_kind:     by_value
    .group_segment_fixed_size: 0
    .kernarg_segment_align: 8
    .kernarg_segment_size: 72
    .language:       OpenCL C
    .language_version:
      - 2
      - 0
    .max_flat_workgroup_size: 128
    .name:           _ZN4vllm3moe17topkGatingSoftmaxItLi32ELi512ELi2ELi64ELb0ELi1ELNS0_23SharedExpertScoringFuncE1EEEvPKT_PKbPfiPiS9_iiiiii
    .private_segment_fixed_size: 144
    .sgpr_count:     33
    .sgpr_spill_count: 0
    .symbol:         _ZN4vllm3moe17topkGatingSoftmaxItLi32ELi512ELi2ELi64ELb0ELi1ELNS0_23SharedExpertScoringFuncE1EEEvPKT_PKbPfiPiS9_iiiiii.kd
    .uniform_work_group_size: 1
    .uses_dynamic_stack: false
    .vgpr_count:     61
    .vgpr_spill_count: 0
    .wavefront_size: 64
  - .agpr_count:     0
    .args:
      - .address_space:  global
        .offset:         0
        .size:           8
        .value_kind:     global_buffer
      - .address_space:  global
        .offset:         8
        .size:           8
        .value_kind:     global_buffer
      - .address_space:  global
        .offset:         16
        .size:           8
        .value_kind:     global_buffer
      - .offset:         24
        .size:           4
        .value_kind:     by_value
      - .address_space:  global
        .offset:         32
        .size:           8
        .value_kind:     global_buffer
      - .address_space:  global
        .offset:         40
        .size:           8
        .value_kind:     global_buffer
      - .offset:         48
        .size:           4
        .value_kind:     by_value
      - .offset:         52
        .size:           4
        .value_kind:     by_value
      - .offset:         56
        .size:           4
        .value_kind:     by_value
      - .offset:         60
        .size:           4
        .value_kind:     by_value
      - .offset:         64
        .size:           4
        .value_kind:     by_value
      - .offset:         68
        .size:           4
        .value_kind:     by_value
    .group_segment_fixed_size: 0
    .kernarg_segment_align: 8
    .kernarg_segment_size: 72
    .language:       OpenCL C
    .language_version:
      - 2
      - 0
    .max_flat_workgroup_size: 128
    .name:           _ZN4vllm3moe17topkGatingSoftmaxItLi32ELi512ELi2ELi64ELb1ELi2ELNS0_23SharedExpertScoringFuncE1EEEvPKT_PKbPfiPiS9_iiiiii
    .private_segment_fixed_size: 144
    .sgpr_count:     34
    .sgpr_spill_count: 0
    .symbol:         _ZN4vllm3moe17topkGatingSoftmaxItLi32ELi512ELi2ELi64ELb1ELi2ELNS0_23SharedExpertScoringFuncE1EEEvPKT_PKbPfiPiS9_iiiiii.kd
    .uniform_work_group_size: 1
    .uses_dynamic_stack: false
    .vgpr_count:     61
    .vgpr_spill_count: 0
    .wavefront_size: 64
  - .agpr_count:     0
    .args:
      - .address_space:  global
        .offset:         0
        .size:           8
        .value_kind:     global_buffer
      - .address_space:  global
        .offset:         8
        .size:           8
        .value_kind:     global_buffer
      - .address_space:  global
        .offset:         16
        .size:           8
        .value_kind:     global_buffer
      - .offset:         24
        .size:           4
        .value_kind:     by_value
      - .address_space:  global
        .offset:         32
        .size:           8
        .value_kind:     global_buffer
      - .address_space:  global
        .offset:         40
        .size:           8
        .value_kind:     global_buffer
      - .offset:         48
        .size:           4
        .value_kind:     by_value
      - .offset:         52
        .size:           4
        .value_kind:     by_value
      - .offset:         56
        .size:           4
        .value_kind:     by_value
      - .offset:         60
        .size:           4
        .value_kind:     by_value
      - .offset:         64
        .size:           4
        .value_kind:     by_value
      - .offset:         68
        .size:           4
        .value_kind:     by_value
    .group_segment_fixed_size: 0
    .kernarg_segment_align: 8
    .kernarg_segment_size: 72
    .language:       OpenCL C
    .language_version:
      - 2
      - 0
    .max_flat_workgroup_size: 128
    .name:           _ZN4vllm3moe17topkGatingSoftmaxItLi32ELi512ELi2ELi64ELb0ELi2ELNS0_23SharedExpertScoringFuncE1EEEvPKT_PKbPfiPiS9_iiiiii
    .private_segment_fixed_size: 144
    .sgpr_count:     33
    .sgpr_spill_count: 0
    .symbol:         _ZN4vllm3moe17topkGatingSoftmaxItLi32ELi512ELi2ELi64ELb0ELi2ELNS0_23SharedExpertScoringFuncE1EEEvPKT_PKbPfiPiS9_iiiiii.kd
    .uniform_work_group_size: 1
    .uses_dynamic_stack: false
    .vgpr_count:     61
    .vgpr_spill_count: 0
    .wavefront_size: 64
  - .agpr_count:     0
    .args:
      - .address_space:  global
        .offset:         0
        .size:           8
        .value_kind:     global_buffer
      - .address_space:  global
        .offset:         8
        .size:           8
        .value_kind:     global_buffer
      - .address_space:  global
        .offset:         16
        .size:           8
        .value_kind:     global_buffer
      - .offset:         24
        .size:           4
        .value_kind:     by_value
      - .address_space:  global
        .offset:         32
        .size:           8
        .value_kind:     global_buffer
      - .address_space:  global
        .offset:         40
        .size:           8
        .value_kind:     global_buffer
      - .offset:         48
        .size:           4
        .value_kind:     by_value
      - .offset:         52
        .size:           4
        .value_kind:     by_value
      - .offset:         56
        .size:           4
        .value_kind:     by_value
      - .offset:         60
        .size:           4
        .value_kind:     by_value
      - .offset:         64
        .size:           4
        .value_kind:     by_value
      - .offset:         68
        .size:           4
        .value_kind:     by_value
    .group_segment_fixed_size: 0
    .kernarg_segment_align: 8
    .kernarg_segment_size: 72
    .language:       OpenCL C
    .language_version:
      - 2
      - 0
    .max_flat_workgroup_size: 128
    .name:           _ZN4vllm3moe17topkGatingSoftmaxItLi32ELi512ELi2ELi64ELb1ELi4ELNS0_23SharedExpertScoringFuncE1EEEvPKT_PKbPfiPiS9_iiiiii
    .private_segment_fixed_size: 144
    .sgpr_count:     34
    .sgpr_spill_count: 0
    .symbol:         _ZN4vllm3moe17topkGatingSoftmaxItLi32ELi512ELi2ELi64ELb1ELi4ELNS0_23SharedExpertScoringFuncE1EEEvPKT_PKbPfiPiS9_iiiiii.kd
    .uniform_work_group_size: 1
    .uses_dynamic_stack: false
    .vgpr_count:     61
    .vgpr_spill_count: 0
    .wavefront_size: 64
  - .agpr_count:     0
    .args:
      - .address_space:  global
        .offset:         0
        .size:           8
        .value_kind:     global_buffer
      - .address_space:  global
        .offset:         8
        .size:           8
        .value_kind:     global_buffer
      - .address_space:  global
        .offset:         16
        .size:           8
        .value_kind:     global_buffer
      - .offset:         24
        .size:           4
        .value_kind:     by_value
      - .address_space:  global
        .offset:         32
        .size:           8
        .value_kind:     global_buffer
      - .address_space:  global
        .offset:         40
        .size:           8
        .value_kind:     global_buffer
      - .offset:         48
        .size:           4
        .value_kind:     by_value
      - .offset:         52
        .size:           4
        .value_kind:     by_value
      - .offset:         56
        .size:           4
        .value_kind:     by_value
      - .offset:         60
        .size:           4
        .value_kind:     by_value
      - .offset:         64
        .size:           4
        .value_kind:     by_value
      - .offset:         68
        .size:           4
        .value_kind:     by_value
    .group_segment_fixed_size: 0
    .kernarg_segment_align: 8
    .kernarg_segment_size: 72
    .language:       OpenCL C
    .language_version:
      - 2
      - 0
    .max_flat_workgroup_size: 128
    .name:           _ZN4vllm3moe17topkGatingSoftmaxItLi32ELi512ELi2ELi64ELb0ELi4ELNS0_23SharedExpertScoringFuncE1EEEvPKT_PKbPfiPiS9_iiiiii
    .private_segment_fixed_size: 144
    .sgpr_count:     33
    .sgpr_spill_count: 0
    .symbol:         _ZN4vllm3moe17topkGatingSoftmaxItLi32ELi512ELi2ELi64ELb0ELi4ELNS0_23SharedExpertScoringFuncE1EEEvPKT_PKbPfiPiS9_iiiiii.kd
    .uniform_work_group_size: 1
    .uses_dynamic_stack: false
    .vgpr_count:     61
    .vgpr_spill_count: 0
    .wavefront_size: 64
  - .agpr_count:     0
    .args:
      - .address_space:  global
        .offset:         0
        .size:           8
        .value_kind:     global_buffer
      - .address_space:  global
        .offset:         8
        .size:           8
        .value_kind:     global_buffer
      - .address_space:  global
        .offset:         16
        .size:           8
        .value_kind:     global_buffer
      - .offset:         24
        .size:           4
        .value_kind:     by_value
      - .address_space:  global
        .offset:         32
        .size:           8
        .value_kind:     global_buffer
      - .address_space:  global
        .offset:         40
        .size:           8
        .value_kind:     global_buffer
      - .offset:         48
        .size:           4
        .value_kind:     by_value
      - .offset:         52
        .size:           4
        .value_kind:     by_value
      - .offset:         56
        .size:           4
        .value_kind:     by_value
      - .offset:         60
        .size:           4
        .value_kind:     by_value
      - .offset:         64
        .size:           4
        .value_kind:     by_value
      - .offset:         68
        .size:           4
        .value_kind:     by_value
    .group_segment_fixed_size: 0
    .kernarg_segment_align: 8
    .kernarg_segment_size: 72
    .language:       OpenCL C
    .language_version:
      - 2
      - 0
    .max_flat_workgroup_size: 128
    .name:           _ZN4vllm3moe17topkGatingSoftmaxItLi32ELi512ELi2ELi64ELb1ELi8ELNS0_23SharedExpertScoringFuncE1EEEvPKT_PKbPfiPiS9_iiiiii
    .private_segment_fixed_size: 144
    .sgpr_count:     34
    .sgpr_spill_count: 0
    .symbol:         _ZN4vllm3moe17topkGatingSoftmaxItLi32ELi512ELi2ELi64ELb1ELi8ELNS0_23SharedExpertScoringFuncE1EEEvPKT_PKbPfiPiS9_iiiiii.kd
    .uniform_work_group_size: 1
    .uses_dynamic_stack: false
    .vgpr_count:     61
    .vgpr_spill_count: 0
    .wavefront_size: 64
  - .agpr_count:     0
    .args:
      - .address_space:  global
        .offset:         0
        .size:           8
        .value_kind:     global_buffer
      - .address_space:  global
        .offset:         8
        .size:           8
        .value_kind:     global_buffer
      - .address_space:  global
        .offset:         16
        .size:           8
        .value_kind:     global_buffer
      - .offset:         24
        .size:           4
        .value_kind:     by_value
      - .address_space:  global
        .offset:         32
        .size:           8
        .value_kind:     global_buffer
      - .address_space:  global
        .offset:         40
        .size:           8
        .value_kind:     global_buffer
      - .offset:         48
        .size:           4
        .value_kind:     by_value
      - .offset:         52
        .size:           4
        .value_kind:     by_value
      - .offset:         56
        .size:           4
        .value_kind:     by_value
      - .offset:         60
        .size:           4
        .value_kind:     by_value
      - .offset:         64
        .size:           4
        .value_kind:     by_value
      - .offset:         68
        .size:           4
        .value_kind:     by_value
    .group_segment_fixed_size: 0
    .kernarg_segment_align: 8
    .kernarg_segment_size: 72
    .language:       OpenCL C
    .language_version:
      - 2
      - 0
    .max_flat_workgroup_size: 128
    .name:           _ZN4vllm3moe17topkGatingSoftmaxItLi32ELi512ELi2ELi64ELb0ELi8ELNS0_23SharedExpertScoringFuncE1EEEvPKT_PKbPfiPiS9_iiiiii
    .private_segment_fixed_size: 144
    .sgpr_count:     33
    .sgpr_spill_count: 0
    .symbol:         _ZN4vllm3moe17topkGatingSoftmaxItLi32ELi512ELi2ELi64ELb0ELi8ELNS0_23SharedExpertScoringFuncE1EEEvPKT_PKbPfiPiS9_iiiiii.kd
    .uniform_work_group_size: 1
    .uses_dynamic_stack: false
    .vgpr_count:     61
    .vgpr_spill_count: 0
    .wavefront_size: 64
  - .agpr_count:     0
    .args:
      - .address_space:  global
        .offset:         0
        .size:           8
        .value_kind:     global_buffer
      - .address_space:  global
        .offset:         8
        .size:           8
        .value_kind:     global_buffer
      - .address_space:  global
        .offset:         16
        .size:           8
        .value_kind:     global_buffer
      - .offset:         24
        .size:           4
        .value_kind:     by_value
    .group_segment_fixed_size: 24
    .kernarg_segment_align: 8
    .kernarg_segment_size: 28
    .language:       OpenCL C
    .language_version:
      - 2
      - 0
    .max_flat_workgroup_size: 256
    .name:           _ZN4vllm3moe10moeSoftmaxItLi256EEEvPKT_PKbPfi
    .private_segment_fixed_size: 0
    .sgpr_count:     25
    .sgpr_spill_count: 0
    .symbol:         _ZN4vllm3moe10moeSoftmaxItLi256EEEvPKT_PKbPfi.kd
    .uniform_work_group_size: 1
    .uses_dynamic_stack: false
    .vgpr_count:     27
    .vgpr_spill_count: 0
    .wavefront_size: 64
  - .agpr_count:     0
    .args:
      - .address_space:  global
        .offset:         0
        .size:           8
        .value_kind:     global_buffer
      - .address_space:  global
        .offset:         8
        .size:           8
        .value_kind:     global_buffer
      - .offset:         16
        .size:           4
        .value_kind:     by_value
      - .offset:         20
        .size:           4
        .value_kind:     by_value
      - .offset:         24
        .size:           4
        .value_kind:     by_value
      - .offset:         28
        .size:           4
        .value_kind:     by_value
      - .offset:         32
        .size:           4
        .value_kind:     by_value
    .group_segment_fixed_size: 0
    .kernarg_segment_align: 8
    .kernarg_segment_size: 36
    .language:       OpenCL C
    .language_version:
      - 2
      - 0
    .max_flat_workgroup_size: 256
    .name:           _ZN4vllm3moe24applySharedExpertSigmoidItLi256EEEvPKT_Pfiiiii
    .private_segment_fixed_size: 0
    .sgpr_count:     26
    .sgpr_spill_count: 0
    .symbol:         _ZN4vllm3moe24applySharedExpertSigmoidItLi256EEEvPKT_Pfiiiii.kd
    .uniform_work_group_size: 1
    .uses_dynamic_stack: false
    .vgpr_count:     25
    .vgpr_spill_count: 0
    .wavefront_size: 64
  - .agpr_count:     0
    .args:
      - .actual_access:  write_only
        .address_space:  global
        .offset:         0
        .size:           8
        .value_kind:     global_buffer
      - .actual_access:  read_only
        .address_space:  global
        .offset:         8
        .size:           8
        .value_kind:     global_buffer
      - .offset:         16
        .size:           4
        .value_kind:     by_value
      - .offset:         24
        .size:           4
        .value_kind:     hidden_block_count_x
      - .offset:         28
        .size:           4
        .value_kind:     hidden_block_count_y
      - .offset:         32
        .size:           4
        .value_kind:     hidden_block_count_z
      - .offset:         36
        .size:           2
        .value_kind:     hidden_group_size_x
      - .offset:         38
        .size:           2
        .value_kind:     hidden_group_size_y
      - .offset:         40
        .size:           2
        .value_kind:     hidden_group_size_z
      - .offset:         42
        .size:           2
        .value_kind:     hidden_remainder_x
      - .offset:         44
        .size:           2
        .value_kind:     hidden_remainder_y
      - .offset:         46
        .size:           2
        .value_kind:     hidden_remainder_z
      - .offset:         64
        .size:           8
        .value_kind:     hidden_global_offset_x
      - .offset:         72
        .size:           8
        .value_kind:     hidden_global_offset_y
      - .offset:         80
        .size:           8
        .value_kind:     hidden_global_offset_z
      - .offset:         88
        .size:           2
        .value_kind:     hidden_grid_dims
    .group_segment_fixed_size: 0
    .kernarg_segment_align: 8
    .kernarg_segment_size: 280
    .language:       OpenCL C
    .language_version:
      - 2
      - 0
    .max_flat_workgroup_size: 1024
    .name:           _ZN4vllm3moe14moe_sum_kernelIfLi2EEEvPT_PKS2_i
    .private_segment_fixed_size: 0
    .sgpr_count:     30
    .sgpr_spill_count: 0
    .symbol:         _ZN4vllm3moe14moe_sum_kernelIfLi2EEEvPT_PKS2_i.kd
    .uniform_work_group_size: 1
    .uses_dynamic_stack: false
    .vgpr_count:     26
    .vgpr_spill_count: 0
    .wavefront_size: 64
  - .agpr_count:     0
    .args:
      - .actual_access:  write_only
        .address_space:  global
        .offset:         0
        .size:           8
        .value_kind:     global_buffer
      - .actual_access:  read_only
        .address_space:  global
        .offset:         8
        .size:           8
        .value_kind:     global_buffer
      - .offset:         16
        .size:           4
        .value_kind:     by_value
      - .offset:         24
        .size:           4
        .value_kind:     hidden_block_count_x
      - .offset:         28
        .size:           4
        .value_kind:     hidden_block_count_y
      - .offset:         32
        .size:           4
        .value_kind:     hidden_block_count_z
      - .offset:         36
        .size:           2
        .value_kind:     hidden_group_size_x
      - .offset:         38
        .size:           2
        .value_kind:     hidden_group_size_y
      - .offset:         40
        .size:           2
        .value_kind:     hidden_group_size_z
      - .offset:         42
        .size:           2
        .value_kind:     hidden_remainder_x
      - .offset:         44
        .size:           2
        .value_kind:     hidden_remainder_y
      - .offset:         46
        .size:           2
        .value_kind:     hidden_remainder_z
      - .offset:         64
        .size:           8
        .value_kind:     hidden_global_offset_x
      - .offset:         72
        .size:           8
        .value_kind:     hidden_global_offset_y
      - .offset:         80
        .size:           8
        .value_kind:     hidden_global_offset_z
      - .offset:         88
        .size:           2
        .value_kind:     hidden_grid_dims
    .group_segment_fixed_size: 0
    .kernarg_segment_align: 8
    .kernarg_segment_size: 280
    .language:       OpenCL C
    .language_version:
      - 2
      - 0
    .max_flat_workgroup_size: 1024
    .name:           _ZN4vllm3moe14moe_sum_kernelIN3c104HalfELi2EEEvPT_PKS4_i
    .private_segment_fixed_size: 0
    .sgpr_count:     30
    .sgpr_spill_count: 0
    .symbol:         _ZN4vllm3moe14moe_sum_kernelIN3c104HalfELi2EEEvPT_PKS4_i.kd
    .uniform_work_group_size: 1
    .uses_dynamic_stack: false
    .vgpr_count:     26
    .vgpr_spill_count: 0
    .wavefront_size: 64
  - .agpr_count:     0
    .args:
      - .actual_access:  write_only
        .address_space:  global
        .offset:         0
        .size:           8
        .value_kind:     global_buffer
      - .actual_access:  read_only
        .address_space:  global
        .offset:         8
        .size:           8
        .value_kind:     global_buffer
      - .offset:         16
        .size:           4
        .value_kind:     by_value
      - .offset:         24
        .size:           4
        .value_kind:     hidden_block_count_x
      - .offset:         28
        .size:           4
        .value_kind:     hidden_block_count_y
      - .offset:         32
        .size:           4
        .value_kind:     hidden_block_count_z
      - .offset:         36
        .size:           2
        .value_kind:     hidden_group_size_x
      - .offset:         38
        .size:           2
        .value_kind:     hidden_group_size_y
      - .offset:         40
        .size:           2
        .value_kind:     hidden_group_size_z
      - .offset:         42
        .size:           2
        .value_kind:     hidden_remainder_x
      - .offset:         44
        .size:           2
        .value_kind:     hidden_remainder_y
      - .offset:         46
        .size:           2
        .value_kind:     hidden_remainder_z
      - .offset:         64
        .size:           8
        .value_kind:     hidden_global_offset_x
      - .offset:         72
        .size:           8
        .value_kind:     hidden_global_offset_y
      - .offset:         80
        .size:           8
        .value_kind:     hidden_global_offset_z
      - .offset:         88
        .size:           2
        .value_kind:     hidden_grid_dims
    .group_segment_fixed_size: 0
    .kernarg_segment_align: 8
    .kernarg_segment_size: 280
    .language:       OpenCL C
    .language_version:
      - 2
      - 0
    .max_flat_workgroup_size: 1024
    .name:           _ZN4vllm3moe14moe_sum_kernelIN3c108BFloat16ELi2EEEvPT_PKS4_i
    .private_segment_fixed_size: 0
    .sgpr_count:     34
    .sgpr_spill_count: 0
    .symbol:         _ZN4vllm3moe14moe_sum_kernelIN3c108BFloat16ELi2EEEvPT_PKS4_i.kd
    .uniform_work_group_size: 1
    .uses_dynamic_stack: false
    .vgpr_count:     33
    .vgpr_spill_count: 0
    .wavefront_size: 64
  - .agpr_count:     0
    .args:
      - .actual_access:  write_only
        .address_space:  global
        .offset:         0
        .size:           8
        .value_kind:     global_buffer
      - .actual_access:  read_only
        .address_space:  global
        .offset:         8
        .size:           8
        .value_kind:     global_buffer
      - .offset:         16
        .size:           4
        .value_kind:     by_value
      - .offset:         24
        .size:           4
        .value_kind:     hidden_block_count_x
      - .offset:         28
        .size:           4
        .value_kind:     hidden_block_count_y
      - .offset:         32
        .size:           4
        .value_kind:     hidden_block_count_z
      - .offset:         36
        .size:           2
        .value_kind:     hidden_group_size_x
      - .offset:         38
        .size:           2
        .value_kind:     hidden_group_size_y
      - .offset:         40
        .size:           2
        .value_kind:     hidden_group_size_z
      - .offset:         42
        .size:           2
        .value_kind:     hidden_remainder_x
      - .offset:         44
        .size:           2
        .value_kind:     hidden_remainder_y
      - .offset:         46
        .size:           2
        .value_kind:     hidden_remainder_z
      - .offset:         64
        .size:           8
        .value_kind:     hidden_global_offset_x
      - .offset:         72
        .size:           8
        .value_kind:     hidden_global_offset_y
      - .offset:         80
        .size:           8
        .value_kind:     hidden_global_offset_z
      - .offset:         88
        .size:           2
        .value_kind:     hidden_grid_dims
    .group_segment_fixed_size: 0
    .kernarg_segment_align: 8
    .kernarg_segment_size: 280
    .language:       OpenCL C
    .language_version:
      - 2
      - 0
    .max_flat_workgroup_size: 1024
    .name:           _ZN4vllm3moe14moe_sum_kernelIfLi4EEEvPT_PKS2_i
    .private_segment_fixed_size: 0
    .sgpr_count:     34
    .sgpr_spill_count: 0
    .symbol:         _ZN4vllm3moe14moe_sum_kernelIfLi4EEEvPT_PKS2_i.kd
    .uniform_work_group_size: 1
    .uses_dynamic_stack: false
    .vgpr_count:     32
    .vgpr_spill_count: 0
    .wavefront_size: 64
  - .agpr_count:     0
    .args:
      - .actual_access:  write_only
        .address_space:  global
        .offset:         0
        .size:           8
        .value_kind:     global_buffer
      - .actual_access:  read_only
        .address_space:  global
        .offset:         8
        .size:           8
        .value_kind:     global_buffer
      - .offset:         16
        .size:           4
        .value_kind:     by_value
      - .offset:         24
        .size:           4
        .value_kind:     hidden_block_count_x
      - .offset:         28
        .size:           4
        .value_kind:     hidden_block_count_y
      - .offset:         32
        .size:           4
        .value_kind:     hidden_block_count_z
      - .offset:         36
        .size:           2
        .value_kind:     hidden_group_size_x
      - .offset:         38
        .size:           2
        .value_kind:     hidden_group_size_y
      - .offset:         40
        .size:           2
        .value_kind:     hidden_group_size_z
      - .offset:         42
        .size:           2
        .value_kind:     hidden_remainder_x
      - .offset:         44
        .size:           2
        .value_kind:     hidden_remainder_y
      - .offset:         46
        .size:           2
        .value_kind:     hidden_remainder_z
      - .offset:         64
        .size:           8
        .value_kind:     hidden_global_offset_x
      - .offset:         72
        .size:           8
        .value_kind:     hidden_global_offset_y
      - .offset:         80
        .size:           8
        .value_kind:     hidden_global_offset_z
      - .offset:         88
        .size:           2
        .value_kind:     hidden_grid_dims
    .group_segment_fixed_size: 0
    .kernarg_segment_align: 8
    .kernarg_segment_size: 280
    .language:       OpenCL C
    .language_version:
      - 2
      - 0
    .max_flat_workgroup_size: 1024
    .name:           _ZN4vllm3moe14moe_sum_kernelIN3c104HalfELi4EEEvPT_PKS4_i
    .private_segment_fixed_size: 0
    .sgpr_count:     34
    .sgpr_spill_count: 0
    .symbol:         _ZN4vllm3moe14moe_sum_kernelIN3c104HalfELi4EEEvPT_PKS4_i.kd
    .uniform_work_group_size: 1
    .uses_dynamic_stack: false
    .vgpr_count:     32
    .vgpr_spill_count: 0
    .wavefront_size: 64
  - .agpr_count:     0
    .args:
      - .actual_access:  write_only
        .address_space:  global
        .offset:         0
        .size:           8
        .value_kind:     global_buffer
      - .actual_access:  read_only
        .address_space:  global
        .offset:         8
        .size:           8
        .value_kind:     global_buffer
      - .offset:         16
        .size:           4
        .value_kind:     by_value
      - .offset:         24
        .size:           4
        .value_kind:     hidden_block_count_x
      - .offset:         28
        .size:           4
        .value_kind:     hidden_block_count_y
      - .offset:         32
        .size:           4
        .value_kind:     hidden_block_count_z
      - .offset:         36
        .size:           2
        .value_kind:     hidden_group_size_x
      - .offset:         38
        .size:           2
        .value_kind:     hidden_group_size_y
      - .offset:         40
        .size:           2
        .value_kind:     hidden_group_size_z
      - .offset:         42
        .size:           2
        .value_kind:     hidden_remainder_x
      - .offset:         44
        .size:           2
        .value_kind:     hidden_remainder_y
      - .offset:         46
        .size:           2
        .value_kind:     hidden_remainder_z
      - .offset:         64
        .size:           8
        .value_kind:     hidden_global_offset_x
      - .offset:         72
        .size:           8
        .value_kind:     hidden_global_offset_y
      - .offset:         80
        .size:           8
        .value_kind:     hidden_global_offset_z
      - .offset:         88
        .size:           2
        .value_kind:     hidden_grid_dims
    .group_segment_fixed_size: 0
    .kernarg_segment_align: 8
    .kernarg_segment_size: 280
    .language:       OpenCL C
    .language_version:
      - 2
      - 0
    .max_flat_workgroup_size: 1024
    .name:           _ZN4vllm3moe14moe_sum_kernelIN3c108BFloat16ELi4EEEvPT_PKS4_i
    .private_segment_fixed_size: 0
    .sgpr_count:     41
    .sgpr_spill_count: 0
    .symbol:         _ZN4vllm3moe14moe_sum_kernelIN3c108BFloat16ELi4EEEvPT_PKS4_i.kd
    .uniform_work_group_size: 1
    .uses_dynamic_stack: false
    .vgpr_count:     51
    .vgpr_spill_count: 0
    .wavefront_size: 64
  - .agpr_count:     0
    .args:
      - .actual_access:  write_only
        .address_space:  global
        .offset:         0
        .size:           8
        .value_kind:     global_buffer
      - .actual_access:  read_only
        .address_space:  global
        .offset:         8
        .size:           8
        .value_kind:     global_buffer
      - .offset:         16
        .size:           4
        .value_kind:     by_value
      - .offset:         24
        .size:           4
        .value_kind:     hidden_block_count_x
      - .offset:         28
        .size:           4
        .value_kind:     hidden_block_count_y
      - .offset:         32
        .size:           4
        .value_kind:     hidden_block_count_z
      - .offset:         36
        .size:           2
        .value_kind:     hidden_group_size_x
      - .offset:         38
        .size:           2
        .value_kind:     hidden_group_size_y
      - .offset:         40
        .size:           2
        .value_kind:     hidden_group_size_z
      - .offset:         42
        .size:           2
        .value_kind:     hidden_remainder_x
      - .offset:         44
        .size:           2
        .value_kind:     hidden_remainder_y
      - .offset:         46
        .size:           2
        .value_kind:     hidden_remainder_z
      - .offset:         64
        .size:           8
        .value_kind:     hidden_global_offset_x
      - .offset:         72
        .size:           8
        .value_kind:     hidden_global_offset_y
      - .offset:         80
        .size:           8
        .value_kind:     hidden_global_offset_z
      - .offset:         88
        .size:           2
        .value_kind:     hidden_grid_dims
    .group_segment_fixed_size: 0
    .kernarg_segment_align: 8
    .kernarg_segment_size: 280
    .language:       OpenCL C
    .language_version:
      - 2
      - 0
    .max_flat_workgroup_size: 1024
    .name:           _ZN4vllm3moe14moe_sum_kernelIfLi5EEEvPT_PKS2_i
    .private_segment_fixed_size: 0
    .sgpr_count:     22
    .sgpr_spill_count: 0
    .symbol:         _ZN4vllm3moe14moe_sum_kernelIfLi5EEEvPT_PKS2_i.kd
    .uniform_work_group_size: 1
    .uses_dynamic_stack: false
    .vgpr_count:     26
    .vgpr_spill_count: 0
    .wavefront_size: 64
  - .agpr_count:     0
    .args:
      - .actual_access:  write_only
        .address_space:  global
        .offset:         0
        .size:           8
        .value_kind:     global_buffer
      - .actual_access:  read_only
        .address_space:  global
        .offset:         8
        .size:           8
        .value_kind:     global_buffer
      - .offset:         16
        .size:           4
        .value_kind:     by_value
      - .offset:         24
        .size:           4
        .value_kind:     hidden_block_count_x
      - .offset:         28
        .size:           4
        .value_kind:     hidden_block_count_y
      - .offset:         32
        .size:           4
        .value_kind:     hidden_block_count_z
      - .offset:         36
        .size:           2
        .value_kind:     hidden_group_size_x
      - .offset:         38
        .size:           2
        .value_kind:     hidden_group_size_y
      - .offset:         40
        .size:           2
        .value_kind:     hidden_group_size_z
      - .offset:         42
        .size:           2
        .value_kind:     hidden_remainder_x
      - .offset:         44
        .size:           2
        .value_kind:     hidden_remainder_y
      - .offset:         46
        .size:           2
        .value_kind:     hidden_remainder_z
      - .offset:         64
        .size:           8
        .value_kind:     hidden_global_offset_x
      - .offset:         72
        .size:           8
        .value_kind:     hidden_global_offset_y
      - .offset:         80
        .size:           8
        .value_kind:     hidden_global_offset_z
      - .offset:         88
        .size:           2
        .value_kind:     hidden_grid_dims
    .group_segment_fixed_size: 0
    .kernarg_segment_align: 8
    .kernarg_segment_size: 280
    .language:       OpenCL C
    .language_version:
      - 2
      - 0
    .max_flat_workgroup_size: 1024
    .name:           _ZN4vllm3moe14moe_sum_kernelIN3c104HalfELi5EEEvPT_PKS4_i
    .private_segment_fixed_size: 0
    .sgpr_count:     22
    .sgpr_spill_count: 0
    .symbol:         _ZN4vllm3moe14moe_sum_kernelIN3c104HalfELi5EEEvPT_PKS4_i.kd
    .uniform_work_group_size: 1
    .uses_dynamic_stack: false
    .vgpr_count:     26
    .vgpr_spill_count: 0
    .wavefront_size: 64
  - .agpr_count:     0
    .args:
      - .actual_access:  write_only
        .address_space:  global
        .offset:         0
        .size:           8
        .value_kind:     global_buffer
      - .actual_access:  read_only
        .address_space:  global
        .offset:         8
        .size:           8
        .value_kind:     global_buffer
      - .offset:         16
        .size:           4
        .value_kind:     by_value
      - .offset:         24
        .size:           4
        .value_kind:     hidden_block_count_x
      - .offset:         28
        .size:           4
        .value_kind:     hidden_block_count_y
      - .offset:         32
        .size:           4
        .value_kind:     hidden_block_count_z
      - .offset:         36
        .size:           2
        .value_kind:     hidden_group_size_x
      - .offset:         38
        .size:           2
        .value_kind:     hidden_group_size_y
      - .offset:         40
        .size:           2
        .value_kind:     hidden_group_size_z
      - .offset:         42
        .size:           2
        .value_kind:     hidden_remainder_x
      - .offset:         44
        .size:           2
        .value_kind:     hidden_remainder_y
      - .offset:         46
        .size:           2
        .value_kind:     hidden_remainder_z
      - .offset:         64
        .size:           8
        .value_kind:     hidden_global_offset_x
      - .offset:         72
        .size:           8
        .value_kind:     hidden_global_offset_y
      - .offset:         80
        .size:           8
        .value_kind:     hidden_global_offset_z
      - .offset:         88
        .size:           2
        .value_kind:     hidden_grid_dims
    .group_segment_fixed_size: 0
    .kernarg_segment_align: 8
    .kernarg_segment_size: 280
    .language:       OpenCL C
    .language_version:
      - 2
      - 0
    .max_flat_workgroup_size: 1024
    .name:           _ZN4vllm3moe14moe_sum_kernelIN3c108BFloat16ELi5EEEvPT_PKS4_i
    .private_segment_fixed_size: 0
    .sgpr_count:     31
    .sgpr_spill_count: 0
    .symbol:         _ZN4vllm3moe14moe_sum_kernelIN3c108BFloat16ELi5EEEvPT_PKS4_i.kd
    .uniform_work_group_size: 1
    .uses_dynamic_stack: false
    .vgpr_count:     51
    .vgpr_spill_count: 0
    .wavefront_size: 64
amdhsa.target:   amdgcn-amd-amdhsa--gfx90a
amdhsa.version:
  - 1
  - 2
...

	.end_amdgpu_metadata
